;; amdgpu-corpus repo=ROCm/rocBLAS kind=compiled arch=gfx1250 opt=O3
	.amdgcn_target "amdgcn-amd-amdhsa--gfx1250"
	.amdhsa_code_object_version 6
	.section	.text._ZN12_GLOBAL__N_120gemm_ex_scale_kernelILi32ELi32EdPKPKdPKPdEEviiT1_T2_lllT3_llli,"axG",@progbits,_ZN12_GLOBAL__N_120gemm_ex_scale_kernelILi32ELi32EdPKPKdPKPdEEviiT1_T2_lllT3_llli,comdat
	.globl	_ZN12_GLOBAL__N_120gemm_ex_scale_kernelILi32ELi32EdPKPKdPKPdEEviiT1_T2_lllT3_llli ; -- Begin function _ZN12_GLOBAL__N_120gemm_ex_scale_kernelILi32ELi32EdPKPKdPKPdEEviiT1_T2_lllT3_llli
	.p2align	8
	.type	_ZN12_GLOBAL__N_120gemm_ex_scale_kernelILi32ELi32EdPKPKdPKPdEEviiT1_T2_lllT3_llli,@function
_ZN12_GLOBAL__N_120gemm_ex_scale_kernelILi32ELi32EdPKPKdPKPdEEviiT1_T2_lllT3_llli: ; @_ZN12_GLOBAL__N_120gemm_ex_scale_kernelILi32ELi32EdPKPKdPKPdEEviiT1_T2_lllT3_llli
; %bb.0:
	s_load_b32 s16, s[0:1], 0x50
	s_bfe_u32 s2, ttmp6, 0x40014
	s_lshr_b32 s3, ttmp7, 16
	s_add_co_i32 s2, s2, 1
	s_bfe_u32 s4, ttmp6, 0x40008
	s_mul_i32 s2, s3, s2
	s_getreg_b32 s12, hwreg(HW_REG_IB_STS2, 6, 4)
	s_add_co_i32 s4, s4, s2
	s_cmp_eq_u32 s12, 0
	s_cselect_b32 s2, s3, s4
	s_mov_b32 s3, 0
	s_wait_kmcnt 0x0
	s_cmp_ge_u32 s2, s16
	s_cbranch_scc1 .LBB0_10
; %bb.1:
	s_clause 0x1
	s_load_b256 s[4:11], s[0:1], 0x8
	s_load_b64 s[14:15], s[0:1], 0x40
	s_bfe_u32 s13, ttmp6, 0x40010
	s_bfe_u32 s18, ttmp6, 0x4000c
	s_and_b32 s17, ttmp7, 0xffff
	s_add_co_i32 s13, s13, 1
	s_add_co_i32 s18, s18, 1
	s_mul_i32 s13, s17, s13
	s_bfe_u32 s19, ttmp6, 0x40004
	s_and_b32 s20, ttmp6, 15
	s_mul_i32 s18, ttmp9, s18
	s_add_co_i32 s19, s19, s13
	s_add_co_i32 s20, s20, s18
	v_bfe_u32 v1, v0, 10, 10
	s_cmp_eq_u32 s12, 0
	v_mov_b32_e32 v7, 0
	s_cselect_b32 s12, s17, s19
	v_and_b32_e32 v0, 0x3ff, v0
	v_lshl_add_u32 v6, s12, 5, v1
	s_delay_alu instid0(VALU_DEP_3) | instskip(SKIP_2) | instid1(VALU_DEP_3)
	v_mov_b32_e32 v1, v7
	s_wait_kmcnt 0x0
	v_cmp_neq_f64_e64 s17, s[4:5], 0
	v_mul_u64_e32 v[2:3], s[10:11], v[6:7]
	v_mul_u64_e32 v[4:5], s[14:15], v[6:7]
	s_clause 0x1
	s_load_b64 s[10:11], s[0:1], 0x0
	s_load_b128 s[12:15], s[0:1], 0x30
	s_wait_xcnt 0x0
	s_cselect_b32 s0, ttmp9, s20
	s_delay_alu instid0(SALU_CYCLE_1) | instskip(SKIP_1) | instid1(VALU_DEP_1)
	v_lshl_add_u32 v0, s0, 5, v0
	s_wait_kmcnt 0x0
	v_cmp_gt_u32_e32 vcc_lo, s10, v0
	v_cmp_gt_u32_e64 s0, s11, v6
	s_and_b32 s18, vcc_lo, s0
	s_lshl_b64 s[0:1], s[8:9], 3
	s_lshl_b64 s[8:9], s[14:15], 3
	s_branch .LBB0_5
.LBB0_2:                                ;   in Loop: Header=BB0_5 Depth=1
	v_lshl_add_u64 v[6:7], v[2:3], 3, s[10:11]
	s_delay_alu instid0(VALU_DEP_1)
	v_lshl_add_u64 v[6:7], v[0:1], 3, v[6:7]
	flat_load_b64 v[6:7], v[6:7]
	s_wait_loadcnt_dscnt 0x0
	s_wait_xcnt 0x0
	v_mul_f64_e32 v[6:7], s[4:5], v[6:7]
.LBB0_3:                                ;   in Loop: Header=BB0_5 Depth=1
	s_lshl_b64 s[10:11], s[2:3], 3
	s_delay_alu instid0(SALU_CYCLE_1) | instskip(SKIP_4) | instid1(SALU_CYCLE_1)
	s_add_nc_u64 s[10:11], s[12:13], s[10:11]
	s_load_b64 s[10:11], s[10:11], 0x0
	s_wait_kmcnt 0x0
	s_wait_xcnt 0x0
	s_add_nc_u64 s[10:11], s[10:11], s[8:9]
	v_lshl_add_u64 v[8:9], v[4:5], 3, s[10:11]
	s_delay_alu instid0(VALU_DEP_1)
	v_lshl_add_u64 v[8:9], v[0:1], 3, v[8:9]
	flat_store_b64 v[8:9], v[6:7]
.LBB0_4:                                ;   in Loop: Header=BB0_5 Depth=1
	s_wait_xcnt 0x0
	s_or_b32 exec_lo, exec_lo, s14
	s_add_co_i32 s2, s2, 0x10000
	s_delay_alu instid0(SALU_CYCLE_1)
	s_cmp_lt_u32 s2, s16
	s_cbranch_scc0 .LBB0_10
.LBB0_5:                                ; =>This Inner Loop Header: Depth=1
	s_and_not1_b32 vcc_lo, exec_lo, s17
	s_mov_b64 s[10:11], 0
	s_cbranch_vccnz .LBB0_7
; %bb.6:                                ;   in Loop: Header=BB0_5 Depth=1
	s_lshl_b64 s[10:11], s[2:3], 3
	s_delay_alu instid0(SALU_CYCLE_1)
	s_add_nc_u64 s[10:11], s[6:7], s[10:11]
	s_load_b64 s[10:11], s[10:11], 0x0
	s_wait_kmcnt 0x0
	s_wait_xcnt 0x0
	s_add_nc_u64 s[10:11], s[10:11], s[0:1]
.LBB0_7:                                ;   in Loop: Header=BB0_5 Depth=1
	s_and_saveexec_b32 s14, s18
	s_cbranch_execz .LBB0_4
; %bb.8:                                ;   in Loop: Header=BB0_5 Depth=1
	s_and_not1_b32 vcc_lo, exec_lo, s17
	s_cbranch_vccz .LBB0_2
; %bb.9:                                ;   in Loop: Header=BB0_5 Depth=1
	v_mov_b64_e32 v[6:7], 0
	s_branch .LBB0_3
.LBB0_10:
	s_endpgm
	.section	.rodata,"a",@progbits
	.p2align	6, 0x0
	.amdhsa_kernel _ZN12_GLOBAL__N_120gemm_ex_scale_kernelILi32ELi32EdPKPKdPKPdEEviiT1_T2_lllT3_llli
		.amdhsa_group_segment_fixed_size 0
		.amdhsa_private_segment_fixed_size 0
		.amdhsa_kernarg_size 84
		.amdhsa_user_sgpr_count 2
		.amdhsa_user_sgpr_dispatch_ptr 0
		.amdhsa_user_sgpr_queue_ptr 0
		.amdhsa_user_sgpr_kernarg_segment_ptr 1
		.amdhsa_user_sgpr_dispatch_id 0
		.amdhsa_user_sgpr_kernarg_preload_length 0
		.amdhsa_user_sgpr_kernarg_preload_offset 0
		.amdhsa_user_sgpr_private_segment_size 0
		.amdhsa_wavefront_size32 1
		.amdhsa_uses_dynamic_stack 0
		.amdhsa_enable_private_segment 0
		.amdhsa_system_sgpr_workgroup_id_x 1
		.amdhsa_system_sgpr_workgroup_id_y 1
		.amdhsa_system_sgpr_workgroup_id_z 1
		.amdhsa_system_sgpr_workgroup_info 0
		.amdhsa_system_vgpr_workitem_id 1
		.amdhsa_next_free_vgpr 10
		.amdhsa_next_free_sgpr 21
		.amdhsa_named_barrier_count 0
		.amdhsa_reserve_vcc 1
		.amdhsa_float_round_mode_32 0
		.amdhsa_float_round_mode_16_64 0
		.amdhsa_float_denorm_mode_32 3
		.amdhsa_float_denorm_mode_16_64 3
		.amdhsa_fp16_overflow 0
		.amdhsa_memory_ordered 1
		.amdhsa_forward_progress 1
		.amdhsa_inst_pref_size 4
		.amdhsa_round_robin_scheduling 0
		.amdhsa_exception_fp_ieee_invalid_op 0
		.amdhsa_exception_fp_denorm_src 0
		.amdhsa_exception_fp_ieee_div_zero 0
		.amdhsa_exception_fp_ieee_overflow 0
		.amdhsa_exception_fp_ieee_underflow 0
		.amdhsa_exception_fp_ieee_inexact 0
		.amdhsa_exception_int_div_zero 0
	.end_amdhsa_kernel
	.section	.text._ZN12_GLOBAL__N_120gemm_ex_scale_kernelILi32ELi32EdPKPKdPKPdEEviiT1_T2_lllT3_llli,"axG",@progbits,_ZN12_GLOBAL__N_120gemm_ex_scale_kernelILi32ELi32EdPKPKdPKPdEEviiT1_T2_lllT3_llli,comdat
.Lfunc_end0:
	.size	_ZN12_GLOBAL__N_120gemm_ex_scale_kernelILi32ELi32EdPKPKdPKPdEEviiT1_T2_lllT3_llli, .Lfunc_end0-_ZN12_GLOBAL__N_120gemm_ex_scale_kernelILi32ELi32EdPKPKdPKPdEEviiT1_T2_lllT3_llli
                                        ; -- End function
	.set _ZN12_GLOBAL__N_120gemm_ex_scale_kernelILi32ELi32EdPKPKdPKPdEEviiT1_T2_lllT3_llli.num_vgpr, 10
	.set _ZN12_GLOBAL__N_120gemm_ex_scale_kernelILi32ELi32EdPKPKdPKPdEEviiT1_T2_lllT3_llli.num_agpr, 0
	.set _ZN12_GLOBAL__N_120gemm_ex_scale_kernelILi32ELi32EdPKPKdPKPdEEviiT1_T2_lllT3_llli.numbered_sgpr, 21
	.set _ZN12_GLOBAL__N_120gemm_ex_scale_kernelILi32ELi32EdPKPKdPKPdEEviiT1_T2_lllT3_llli.num_named_barrier, 0
	.set _ZN12_GLOBAL__N_120gemm_ex_scale_kernelILi32ELi32EdPKPKdPKPdEEviiT1_T2_lllT3_llli.private_seg_size, 0
	.set _ZN12_GLOBAL__N_120gemm_ex_scale_kernelILi32ELi32EdPKPKdPKPdEEviiT1_T2_lllT3_llli.uses_vcc, 1
	.set _ZN12_GLOBAL__N_120gemm_ex_scale_kernelILi32ELi32EdPKPKdPKPdEEviiT1_T2_lllT3_llli.uses_flat_scratch, 0
	.set _ZN12_GLOBAL__N_120gemm_ex_scale_kernelILi32ELi32EdPKPKdPKPdEEviiT1_T2_lllT3_llli.has_dyn_sized_stack, 0
	.set _ZN12_GLOBAL__N_120gemm_ex_scale_kernelILi32ELi32EdPKPKdPKPdEEviiT1_T2_lllT3_llli.has_recursion, 0
	.set _ZN12_GLOBAL__N_120gemm_ex_scale_kernelILi32ELi32EdPKPKdPKPdEEviiT1_T2_lllT3_llli.has_indirect_call, 0
	.section	.AMDGPU.csdata,"",@progbits
; Kernel info:
; codeLenInByte = 492
; TotalNumSgprs: 23
; NumVgprs: 10
; ScratchSize: 0
; MemoryBound: 0
; FloatMode: 240
; IeeeMode: 1
; LDSByteSize: 0 bytes/workgroup (compile time only)
; SGPRBlocks: 0
; VGPRBlocks: 0
; NumSGPRsForWavesPerEU: 23
; NumVGPRsForWavesPerEU: 10
; NamedBarCnt: 0
; Occupancy: 16
; WaveLimiterHint : 1
; COMPUTE_PGM_RSRC2:SCRATCH_EN: 0
; COMPUTE_PGM_RSRC2:USER_SGPR: 2
; COMPUTE_PGM_RSRC2:TRAP_HANDLER: 0
; COMPUTE_PGM_RSRC2:TGID_X_EN: 1
; COMPUTE_PGM_RSRC2:TGID_Y_EN: 1
; COMPUTE_PGM_RSRC2:TGID_Z_EN: 1
; COMPUTE_PGM_RSRC2:TIDIG_COMP_CNT: 1
	.section	.text._ZN12_GLOBAL__N_127rocblas_gemm_batched_kernelIdLi16ELi16ELi64ELi64ELi4ELi64ELi4ELi4ELi64ELc78ELc78EKPKdS3_KPdEEvlllT_PT11_llS8_llS6_PT12_llPT13_lli,"axG",@progbits,_ZN12_GLOBAL__N_127rocblas_gemm_batched_kernelIdLi16ELi16ELi64ELi64ELi4ELi64ELi4ELi4ELi64ELc78ELc78EKPKdS3_KPdEEvlllT_PT11_llS8_llS6_PT12_llPT13_lli,comdat
	.globl	_ZN12_GLOBAL__N_127rocblas_gemm_batched_kernelIdLi16ELi16ELi64ELi64ELi4ELi64ELi4ELi4ELi64ELc78ELc78EKPKdS3_KPdEEvlllT_PT11_llS8_llS6_PT12_llPT13_lli ; -- Begin function _ZN12_GLOBAL__N_127rocblas_gemm_batched_kernelIdLi16ELi16ELi64ELi64ELi4ELi64ELi4ELi4ELi64ELc78ELc78EKPKdS3_KPdEEvlllT_PT11_llS8_llS6_PT12_llPT13_lli
	.p2align	8
	.type	_ZN12_GLOBAL__N_127rocblas_gemm_batched_kernelIdLi16ELi16ELi64ELi64ELi4ELi64ELi4ELi4ELi64ELc78ELc78EKPKdS3_KPdEEvlllT_PT11_llS8_llS6_PT12_llPT13_lli,@function
_ZN12_GLOBAL__N_127rocblas_gemm_batched_kernelIdLi16ELi16ELi64ELi64ELi4ELi64ELi4ELi4ELi64ELc78ELc78EKPKdS3_KPdEEvlllT_PT11_llS8_llS6_PT12_llPT13_lli: ; @_ZN12_GLOBAL__N_127rocblas_gemm_batched_kernelIdLi16ELi16ELi64ELi64ELi4ELi64ELi4ELi4ELi64ELc78ELc78EKPKdS3_KPdEEvlllT_PT11_llS8_llS6_PT12_llPT13_lli
; %bb.0:
	s_load_b32 s28, s[0:1], 0x88
	s_bfe_u32 s2, ttmp6, 0x40014
	s_lshr_b32 s3, ttmp7, 16
	s_add_co_i32 s2, s2, 1
	s_bfe_u32 s4, ttmp6, 0x40008
	s_mul_i32 s2, s3, s2
	s_getreg_b32 s29, hwreg(HW_REG_IB_STS2, 6, 4)
	s_add_co_i32 s4, s4, s2
	s_cmp_eq_u32 s29, 0
	s_cselect_b32 s2, s3, s4
	s_mov_b32 s3, 0
	s_wait_kmcnt 0x0
	s_cmp_ge_i32 s2, s28
	s_cbranch_scc1 .LBB1_11
; %bb.1:
	v_bfe_u32 v2, v0, 10, 10
	v_and_b32_e32 v6, 0x3ff, v0
	s_bfe_u32 s31, ttmp6, 0x4000c
	s_bfe_u32 s33, ttmp6, 0x40010
	s_clause 0x1
	s_load_b512 s[4:19], s[0:1], 0x10
	s_load_b256 s[20:27], s[0:1], 0x50
	s_add_co_i32 s31, s31, 1
	s_and_b32 s34, ttmp7, 0xffff
	s_add_co_i32 s33, s33, 1
	v_lshl_add_u32 v7, v2, 4, v6
	v_mov_b32_e32 v3, 0
	s_and_b32 s30, ttmp6, 15
	s_mul_i32 s31, ttmp9, s31
	s_mul_i32 s33, s34, s33
	s_bfe_u32 s35, ttmp6, 0x40004
	s_add_co_i32 s30, s30, s31
	s_add_co_i32 s35, s35, s33
	s_cmp_eq_u32 s29, 0
	v_dual_mov_b32 v9, v3 :: v_dual_lshrrev_b32 v8, 2, v7
	v_lshrrev_b32_e32 v18, 6, v7
	s_cselect_b32 s29, s34, s35
	s_cselect_b32 s30, ttmp9, s30
	s_lshl_b32 s34, s29, 6
	s_mov_b32 s35, s3
	s_load_b256 s[36:43], s[0:1], 0x70
	v_add_nc_u64_e32 v[4:5], s[34:35], v[8:9]
	s_ashr_i32 s31, s30, 31
	v_dual_lshlrev_b32 v9, 3, v0 :: v_dual_bitop2_b32 v14, 63, v7 bitop3:0x40
	s_lshl_b64 s[30:31], s[30:31], 6
	s_wait_kmcnt 0x0
	v_cmp_eq_f64_e64 s1, s[20:21], 0
	v_mad_nc_u64_u32 v[12:13], s10, v18, s[30:31]
	v_mul_u64_e32 v[10:11], s[16:17], v[4:5]
	v_add_nc_u64_e32 v[4:5], s[34:35], v[2:3]
	v_dual_mov_b32 v15, v3 :: v_dual_bitop2_b32 v16, 24, v9 bitop3:0x40
	v_dual_mov_b32 v7, v3 :: v_dual_lshlrev_b32 v52, 3, v6
	v_cmp_gt_i64_e64 s0, s[4:5], 0
	s_delay_alu instid0(VALU_DEP_3)
	v_lshl_or_b32 v20, v8, 5, v16
	s_lshl_b64 s[16:17], s[18:19], 3
	v_dual_lshlrev_b32 v19, 3, v14 :: v_dual_mov_b32 v17, v3
	v_mad_u32 v13, s11, v18, v13
	v_mul_u64_e32 v[0:1], s[38:39], v[4:5]
	v_mul_u64_e32 v[4:5], s[24:25], v[4:5]
	v_lshl_add_u32 v2, v2, 5, 0x800
	v_lshl_or_b32 v53, v18, 9, v19
	v_add_nc_u32_e32 v54, 0x800, v20
	s_lshl_b64 s[18:19], s[24:25], 4
	s_lshl_b64 s[10:11], s[10:11], 5
	;; [unrolled: 1-line block ×3, first 2 shown]
	v_add_nc_u64_e32 v[8:9], v[12:13], v[14:15]
	v_add_nc_u64_e32 v[12:13], s[30:31], v[6:7]
	v_cndmask_b32_e64 v14, 0, 1, s0
	s_lshl_b64 s[30:31], s[38:39], 4
	s_delay_alu instid0(SALU_CYCLE_1) | instskip(NEXT) | instid1(VALU_DEP_3)
	s_lshl_b64 s[24:25], s[30:31], 3
	v_lshlrev_b64_e32 v[6:7], 3, v[8:9]
	s_delay_alu instid0(VALU_DEP_2) | instskip(SKIP_4) | instid1(VALU_DEP_3)
	v_cmp_ne_u32_e64 s0, 1, v14
	v_lshl_add_u64 v[8:9], v[10:11], 3, s[16:17]
	v_lshlrev_b64_e32 v[10:11], 3, v[12:13]
	s_lshl_b64 s[16:17], s[26:27], 3
	v_lshl_add_u64 v[6:7], s[12:13], 3, v[6:7]
	v_add_nc_u64_e32 v[8:9], v[8:9], v[16:17]
	s_lshl_b64 s[12:13], s[40:41], 3
	s_branch .LBB1_3
.LBB1_2:                                ;   in Loop: Header=BB1_3 Depth=1
	s_add_co_i32 s2, s2, 0x10000
	s_delay_alu instid0(SALU_CYCLE_1)
	s_cmp_lt_i32 s2, s28
	s_cbranch_scc0 .LBB1_11
.LBB1_3:                                ; =>This Loop Header: Depth=1
                                        ;     Child Loop BB1_5 Depth 2
	v_mov_b32_e32 v12, s2
	s_and_b32 vcc_lo, exec_lo, s0
	s_clause 0x1
	global_load_b64 v[30:31], v12, s[22:23] scale_offset
	global_load_b64 v[46:47], v12, s[36:37] scale_offset
	s_cbranch_vccnz .LBB1_6
; %bb.4:                                ;   in Loop: Header=BB1_3 Depth=1
	s_lshl_b64 s[26:27], s[2:3], 3
	s_wait_xcnt 0x0
	v_mov_b64_e32 v[12:13], 0
	s_add_nc_u64 s[30:31], s[14:15], s[26:27]
	s_add_nc_u64 s[26:27], s[8:9], s[26:27]
	s_clause 0x1
	global_load_b64 v[44:45], v3, s[30:31]
	global_load_b64 v[50:51], v3, s[26:27]
	v_mov_b64_e32 v[14:15], 0
	v_mov_b64_e32 v[16:17], 0
	;; [unrolled: 1-line block ×14, first 2 shown]
	s_wait_xcnt 0x0
	s_mov_b64 s[26:27], 0
	s_wait_loadcnt 0x1
	v_add_nc_u64_e32 v[48:49], v[44:45], v[8:9]
	s_wait_loadcnt 0x0
	v_add_nc_u64_e32 v[50:51], v[50:51], v[6:7]
	v_mov_b64_e32 v[44:45], 0
.LBB1_5:                                ;   Parent Loop BB1_3 Depth=1
                                        ; =>  This Inner Loop Header: Depth=2
	flat_load_b64 v[56:57], v[50:51]
	s_add_nc_u64 s[26:27], s[26:27], 4
	s_wait_xcnt 0x0
	v_add_nc_u64_e32 v[50:51], s[10:11], v[50:51]
	v_cmp_lt_i64_e64 s29, s[26:27], s[4:5]
	s_and_b32 vcc_lo, exec_lo, s29
	s_wait_loadcnt_dscnt 0x0
	ds_store_b64 v53, v[56:57]
	flat_load_b64 v[56:57], v[48:49]
	s_wait_xcnt 0x0
	v_add_nc_u64_e32 v[48:49], 32, v[48:49]
	s_wait_loadcnt_dscnt 0x0
	ds_store_b64 v54, v[56:57]
	s_wait_dscnt 0x0
	s_barrier_signal -1
	s_barrier_wait -1
	ds_load_b128 v[56:59], v2
	ds_load_2addr_b64 v[60:63], v52 offset1:16
	ds_load_b128 v[64:67], v2 offset:512
	ds_load_2addr_b64 v[68:71], v52 offset0:32 offset1:48
	ds_load_b128 v[72:75], v2 offset:1024
	ds_load_b128 v[76:79], v2 offset:1536
	ds_load_2addr_b64 v[80:83], v52 offset0:64 offset1:80
	ds_load_b128 v[84:87], v2 offset:16
	ds_load_b128 v[88:91], v2 offset:528
	;; [unrolled: 1-line block ×4, first 2 shown]
	s_wait_dscnt 0x9
	v_fmac_f64_e32 v[44:45], v[60:61], v[56:57]
	v_fmac_f64_e32 v[42:43], v[62:63], v[56:57]
	s_wait_dscnt 0x8
	v_fmac_f64_e32 v[36:37], v[60:61], v[64:65]
	v_fmac_f64_e32 v[34:35], v[62:63], v[64:65]
	;; [unrolled: 3-line block ×4, first 2 shown]
	v_fmac_f64_e32 v[32:33], v[68:69], v[64:65]
	v_fmac_f64_e32 v[28:29], v[70:71], v[64:65]
	s_wait_dscnt 0x5
	v_fmac_f64_e32 v[18:19], v[60:61], v[76:77]
	v_fmac_f64_e32 v[16:17], v[62:63], v[76:77]
	;; [unrolled: 1-line block ×6, first 2 shown]
	ds_load_2addr_b64 v[60:63], v52 offset0:96 offset1:112
	ds_load_2addr_b64 v[68:71], v52 offset0:128 offset1:144
	s_wait_dscnt 0x6
	v_fmac_f64_e32 v[44:45], v[80:81], v[58:59]
	v_fmac_f64_e32 v[42:43], v[82:83], v[58:59]
	;; [unrolled: 1-line block ×4, first 2 shown]
	s_wait_dscnt 0x1
	v_fmac_f64_e32 v[40:41], v[60:61], v[58:59]
	v_fmac_f64_e32 v[38:39], v[62:63], v[58:59]
	;; [unrolled: 1-line block ×12, first 2 shown]
	ds_load_2addr_b64 v[56:59], v52 offset0:160 offset1:176
	ds_load_2addr_b64 v[60:63], v52 offset0:192 offset1:208
	s_wait_dscnt 0x2
	v_fmac_f64_e32 v[44:45], v[68:69], v[84:85]
	v_fmac_f64_e32 v[42:43], v[70:71], v[84:85]
	v_fmac_f64_e32 v[36:37], v[68:69], v[88:89]
	v_fmac_f64_e32 v[34:35], v[70:71], v[88:89]
	s_wait_dscnt 0x1
	v_fmac_f64_e32 v[40:41], v[56:57], v[84:85]
	v_fmac_f64_e32 v[38:39], v[58:59], v[84:85]
	;; [unrolled: 1-line block ×12, first 2 shown]
	ds_load_2addr_b64 v[56:59], v52 offset0:224 offset1:240
	s_wait_dscnt 0x0
	s_barrier_signal -1
	s_barrier_wait -1
	v_fmac_f64_e32 v[44:45], v[60:61], v[86:87]
	v_fmac_f64_e32 v[42:43], v[62:63], v[86:87]
	;; [unrolled: 1-line block ×16, first 2 shown]
	s_cbranch_vccnz .LBB1_5
	s_branch .LBB1_7
.LBB1_6:                                ;   in Loop: Header=BB1_3 Depth=1
	v_mov_b64_e32 v[44:45], 0
	v_mov_b64_e32 v[42:43], 0
	;; [unrolled: 1-line block ×10, first 2 shown]
	s_wait_xcnt 0x6
	v_mov_b64_e32 v[22:23], 0
	s_wait_xcnt 0x3
	v_mov_b64_e32 v[20:21], 0
	;; [unrolled: 2-line block ×3, first 2 shown]
	v_mov_b64_e32 v[16:17], 0
	v_mov_b64_e32 v[14:15], 0
	s_wait_xcnt 0x0
	v_mov_b64_e32 v[12:13], 0
.LBB1_7:                                ;   in Loop: Header=BB1_3 Depth=1
	s_wait_loadcnt 0x0
	v_add_nc_u64_e32 v[46:47], s[12:13], v[46:47]
	s_and_not1_b32 vcc_lo, exec_lo, s1
	s_delay_alu instid0(VALU_DEP_1) | instskip(NEXT) | instid1(VALU_DEP_1)
	v_lshl_add_u64 v[46:47], v[0:1], 3, v[46:47]
	v_add_nc_u64_e32 v[48:49], v[46:47], v[10:11]
	v_add_nc_u64_e32 v[46:47], s[24:25], v[46:47]
	s_cbranch_vccnz .LBB1_9
; %bb.8:                                ;   in Loop: Header=BB1_3 Depth=1
	v_mul_f64_e32 v[50:51], s[6:7], v[44:45]
	v_mul_f64_e32 v[78:79], s[6:7], v[18:19]
	;; [unrolled: 1-line block ×16, first 2 shown]
	v_add_nc_u64_e32 v[86:87], s[24:25], v[46:47]
	v_add_nc_u64_e32 v[90:91], v[46:47], v[10:11]
	s_delay_alu instid0(VALU_DEP_2)
	v_add_nc_u64_e32 v[88:89], s[24:25], v[86:87]
	v_add_nc_u64_e32 v[86:87], v[86:87], v[10:11]
	s_clause 0xb
	flat_store_b64 v[48:49], v[50:51]
	flat_store_b64 v[48:49], v[56:57] offset:128
	flat_store_b64 v[48:49], v[58:59] offset:256
	flat_store_b64 v[48:49], v[60:61] offset:384
	flat_store_b64 v[90:91], v[62:63]
	flat_store_b64 v[90:91], v[64:65] offset:128
	flat_store_b64 v[90:91], v[66:67] offset:256
	flat_store_b64 v[90:91], v[68:69] offset:384
	;; [unrolled: 4-line block ×3, first 2 shown]
	v_add_nc_u64_e32 v[88:89], v[88:89], v[10:11]
	s_clause 0x3
	flat_store_b64 v[88:89], v[78:79]
	flat_store_b64 v[88:89], v[80:81] offset:128
	flat_store_b64 v[88:89], v[82:83] offset:256
	;; [unrolled: 1-line block ×3, first 2 shown]
	s_cbranch_execnz .LBB1_2
	s_branch .LBB1_10
.LBB1_9:                                ;   in Loop: Header=BB1_3 Depth=1
.LBB1_10:                               ;   in Loop: Header=BB1_3 Depth=1
	v_add_nc_u64_e32 v[30:31], s[16:17], v[30:31]
	s_delay_alu instid0(VALU_DEP_1) | instskip(SKIP_1) | instid1(VALU_DEP_1)
	v_lshl_add_u64 v[30:31], v[4:5], 3, v[30:31]
	s_wait_xcnt 0xf
	v_add_nc_u64_e32 v[50:51], v[30:31], v[10:11]
	v_add_nc_u64_e32 v[30:31], s[18:19], v[30:31]
	flat_load_b64 v[56:57], v[50:51]
	s_wait_loadcnt_dscnt 0x0
	v_mul_f64_e32 v[56:57], s[20:21], v[56:57]
	s_delay_alu instid0(VALU_DEP_1) | instskip(SKIP_4) | instid1(VALU_DEP_1)
	v_fmac_f64_e32 v[56:57], s[6:7], v[44:45]
	flat_store_b64 v[48:49], v[56:57]
	flat_load_b64 v[44:45], v[50:51] offset:128
	s_wait_loadcnt_dscnt 0x0
	v_mul_f64_e32 v[44:45], s[20:21], v[44:45]
	v_fmac_f64_e32 v[44:45], s[6:7], v[42:43]
	flat_store_b64 v[48:49], v[44:45] offset:128
	flat_load_b64 v[42:43], v[50:51] offset:256
	s_wait_loadcnt_dscnt 0x0
	v_mul_f64_e32 v[42:43], s[20:21], v[42:43]
	s_delay_alu instid0(VALU_DEP_1) | instskip(SKIP_4) | instid1(VALU_DEP_1)
	v_fmac_f64_e32 v[42:43], s[6:7], v[40:41]
	flat_store_b64 v[48:49], v[42:43] offset:256
	flat_load_b64 v[40:41], v[50:51] offset:384
	s_wait_loadcnt_dscnt 0x0
	v_mul_f64_e32 v[40:41], s[20:21], v[40:41]
	v_fmac_f64_e32 v[40:41], s[6:7], v[38:39]
	v_add_nc_u64_e32 v[38:39], v[30:31], v[10:11]
	flat_store_b64 v[48:49], v[40:41] offset:384
	flat_load_b64 v[40:41], v[38:39]
	s_wait_loadcnt_dscnt 0x0
	v_mul_f64_e32 v[40:41], s[20:21], v[40:41]
	s_delay_alu instid0(VALU_DEP_1)
	v_fmac_f64_e32 v[40:41], s[6:7], v[36:37]
	v_add_nc_u64_e32 v[36:37], v[46:47], v[10:11]
	flat_store_b64 v[36:37], v[40:41]
	flat_load_b64 v[40:41], v[38:39] offset:128
	s_wait_loadcnt_dscnt 0x0
	v_mul_f64_e32 v[40:41], s[20:21], v[40:41]
	s_delay_alu instid0(VALU_DEP_1) | instskip(SKIP_4) | instid1(VALU_DEP_1)
	v_fmac_f64_e32 v[40:41], s[6:7], v[34:35]
	flat_store_b64 v[36:37], v[40:41] offset:128
	flat_load_b64 v[34:35], v[38:39] offset:256
	s_wait_loadcnt_dscnt 0x0
	v_mul_f64_e32 v[34:35], s[20:21], v[34:35]
	v_fmac_f64_e32 v[34:35], s[6:7], v[32:33]
	flat_store_b64 v[36:37], v[34:35] offset:256
	flat_load_b64 v[32:33], v[38:39] offset:384
	s_wait_loadcnt_dscnt 0x0
	v_mul_f64_e32 v[32:33], s[20:21], v[32:33]
	s_delay_alu instid0(VALU_DEP_1) | instskip(SKIP_1) | instid1(VALU_DEP_1)
	v_fmac_f64_e32 v[32:33], s[6:7], v[28:29]
	v_add_nc_u64_e32 v[28:29], s[18:19], v[30:31]
	v_add_nc_u64_e32 v[30:31], v[28:29], v[10:11]
	flat_store_b64 v[36:37], v[32:33] offset:384
	flat_load_b64 v[32:33], v[30:31]
	s_wait_loadcnt_dscnt 0x0
	v_mul_f64_e32 v[32:33], s[20:21], v[32:33]
	s_delay_alu instid0(VALU_DEP_1) | instskip(SKIP_1) | instid1(VALU_DEP_1)
	v_fmac_f64_e32 v[32:33], s[6:7], v[26:27]
	v_add_nc_u64_e32 v[26:27], s[24:25], v[46:47]
	v_add_nc_u64_e32 v[34:35], v[26:27], v[10:11]
	flat_store_b64 v[34:35], v[32:33]
	flat_load_b64 v[32:33], v[30:31] offset:128
	s_wait_loadcnt_dscnt 0x0
	v_mul_f64_e32 v[32:33], s[20:21], v[32:33]
	s_delay_alu instid0(VALU_DEP_1) | instskip(SKIP_4) | instid1(VALU_DEP_1)
	v_fmac_f64_e32 v[32:33], s[6:7], v[24:25]
	flat_store_b64 v[34:35], v[32:33] offset:128
	flat_load_b64 v[24:25], v[30:31] offset:256
	s_wait_loadcnt_dscnt 0x0
	v_mul_f64_e32 v[24:25], s[20:21], v[24:25]
	v_fmac_f64_e32 v[24:25], s[6:7], v[22:23]
	flat_store_b64 v[34:35], v[24:25] offset:256
	flat_load_b64 v[22:23], v[30:31] offset:384
	s_wait_loadcnt_dscnt 0x0
	v_mul_f64_e32 v[22:23], s[20:21], v[22:23]
	s_delay_alu instid0(VALU_DEP_1) | instskip(SKIP_1) | instid1(VALU_DEP_1)
	v_fmac_f64_e32 v[22:23], s[6:7], v[20:21]
	v_add_nc_u64_e32 v[20:21], s[18:19], v[28:29]
	v_add_nc_u64_e32 v[20:21], v[20:21], v[10:11]
	flat_store_b64 v[34:35], v[22:23] offset:384
	flat_load_b64 v[22:23], v[20:21]
	s_wait_loadcnt_dscnt 0x0
	v_mul_f64_e32 v[22:23], s[20:21], v[22:23]
	s_delay_alu instid0(VALU_DEP_1) | instskip(SKIP_1) | instid1(VALU_DEP_1)
	v_fmac_f64_e32 v[22:23], s[6:7], v[18:19]
	v_add_nc_u64_e32 v[18:19], s[24:25], v[26:27]
	v_add_nc_u64_e32 v[18:19], v[18:19], v[10:11]
	flat_store_b64 v[18:19], v[22:23]
	flat_load_b64 v[22:23], v[20:21] offset:128
	s_wait_loadcnt_dscnt 0x0
	v_mul_f64_e32 v[22:23], s[20:21], v[22:23]
	s_delay_alu instid0(VALU_DEP_1) | instskip(SKIP_4) | instid1(VALU_DEP_1)
	v_fmac_f64_e32 v[22:23], s[6:7], v[16:17]
	flat_store_b64 v[18:19], v[22:23] offset:128
	flat_load_b64 v[16:17], v[20:21] offset:256
	s_wait_loadcnt_dscnt 0x0
	v_mul_f64_e32 v[16:17], s[20:21], v[16:17]
	v_fmac_f64_e32 v[16:17], s[6:7], v[14:15]
	flat_store_b64 v[18:19], v[16:17] offset:256
	flat_load_b64 v[14:15], v[20:21] offset:384
	s_wait_loadcnt_dscnt 0x0
	v_mul_f64_e32 v[14:15], s[20:21], v[14:15]
	s_delay_alu instid0(VALU_DEP_1)
	v_fmac_f64_e32 v[14:15], s[6:7], v[12:13]
	flat_store_b64 v[18:19], v[14:15] offset:384
	s_branch .LBB1_2
.LBB1_11:
	s_sendmsg sendmsg(MSG_DEALLOC_VGPRS)
	s_endpgm
	.section	.rodata,"a",@progbits
	.p2align	6, 0x0
	.amdhsa_kernel _ZN12_GLOBAL__N_127rocblas_gemm_batched_kernelIdLi16ELi16ELi64ELi64ELi4ELi64ELi4ELi4ELi64ELc78ELc78EKPKdS3_KPdEEvlllT_PT11_llS8_llS6_PT12_llPT13_lli
		.amdhsa_group_segment_fixed_size 4096
		.amdhsa_private_segment_fixed_size 0
		.amdhsa_kernarg_size 140
		.amdhsa_user_sgpr_count 2
		.amdhsa_user_sgpr_dispatch_ptr 0
		.amdhsa_user_sgpr_queue_ptr 0
		.amdhsa_user_sgpr_kernarg_segment_ptr 1
		.amdhsa_user_sgpr_dispatch_id 0
		.amdhsa_user_sgpr_kernarg_preload_length 0
		.amdhsa_user_sgpr_kernarg_preload_offset 0
		.amdhsa_user_sgpr_private_segment_size 0
		.amdhsa_wavefront_size32 1
		.amdhsa_uses_dynamic_stack 0
		.amdhsa_enable_private_segment 0
		.amdhsa_system_sgpr_workgroup_id_x 1
		.amdhsa_system_sgpr_workgroup_id_y 1
		.amdhsa_system_sgpr_workgroup_id_z 1
		.amdhsa_system_sgpr_workgroup_info 0
		.amdhsa_system_vgpr_workitem_id 1
		.amdhsa_next_free_vgpr 100
		.amdhsa_next_free_sgpr 44
		.amdhsa_named_barrier_count 0
		.amdhsa_reserve_vcc 1
		.amdhsa_float_round_mode_32 0
		.amdhsa_float_round_mode_16_64 0
		.amdhsa_float_denorm_mode_32 3
		.amdhsa_float_denorm_mode_16_64 3
		.amdhsa_fp16_overflow 0
		.amdhsa_memory_ordered 1
		.amdhsa_forward_progress 1
		.amdhsa_inst_pref_size 18
		.amdhsa_round_robin_scheduling 0
		.amdhsa_exception_fp_ieee_invalid_op 0
		.amdhsa_exception_fp_denorm_src 0
		.amdhsa_exception_fp_ieee_div_zero 0
		.amdhsa_exception_fp_ieee_overflow 0
		.amdhsa_exception_fp_ieee_underflow 0
		.amdhsa_exception_fp_ieee_inexact 0
		.amdhsa_exception_int_div_zero 0
	.end_amdhsa_kernel
	.section	.text._ZN12_GLOBAL__N_127rocblas_gemm_batched_kernelIdLi16ELi16ELi64ELi64ELi4ELi64ELi4ELi4ELi64ELc78ELc78EKPKdS3_KPdEEvlllT_PT11_llS8_llS6_PT12_llPT13_lli,"axG",@progbits,_ZN12_GLOBAL__N_127rocblas_gemm_batched_kernelIdLi16ELi16ELi64ELi64ELi4ELi64ELi4ELi4ELi64ELc78ELc78EKPKdS3_KPdEEvlllT_PT11_llS8_llS6_PT12_llPT13_lli,comdat
.Lfunc_end1:
	.size	_ZN12_GLOBAL__N_127rocblas_gemm_batched_kernelIdLi16ELi16ELi64ELi64ELi4ELi64ELi4ELi4ELi64ELc78ELc78EKPKdS3_KPdEEvlllT_PT11_llS8_llS6_PT12_llPT13_lli, .Lfunc_end1-_ZN12_GLOBAL__N_127rocblas_gemm_batched_kernelIdLi16ELi16ELi64ELi64ELi4ELi64ELi4ELi4ELi64ELc78ELc78EKPKdS3_KPdEEvlllT_PT11_llS8_llS6_PT12_llPT13_lli
                                        ; -- End function
	.set _ZN12_GLOBAL__N_127rocblas_gemm_batched_kernelIdLi16ELi16ELi64ELi64ELi4ELi64ELi4ELi4ELi64ELc78ELc78EKPKdS3_KPdEEvlllT_PT11_llS8_llS6_PT12_llPT13_lli.num_vgpr, 100
	.set _ZN12_GLOBAL__N_127rocblas_gemm_batched_kernelIdLi16ELi16ELi64ELi64ELi4ELi64ELi4ELi4ELi64ELc78ELc78EKPKdS3_KPdEEvlllT_PT11_llS8_llS6_PT12_llPT13_lli.num_agpr, 0
	.set _ZN12_GLOBAL__N_127rocblas_gemm_batched_kernelIdLi16ELi16ELi64ELi64ELi4ELi64ELi4ELi4ELi64ELc78ELc78EKPKdS3_KPdEEvlllT_PT11_llS8_llS6_PT12_llPT13_lli.numbered_sgpr, 44
	.set _ZN12_GLOBAL__N_127rocblas_gemm_batched_kernelIdLi16ELi16ELi64ELi64ELi4ELi64ELi4ELi4ELi64ELc78ELc78EKPKdS3_KPdEEvlllT_PT11_llS8_llS6_PT12_llPT13_lli.num_named_barrier, 0
	.set _ZN12_GLOBAL__N_127rocblas_gemm_batched_kernelIdLi16ELi16ELi64ELi64ELi4ELi64ELi4ELi4ELi64ELc78ELc78EKPKdS3_KPdEEvlllT_PT11_llS8_llS6_PT12_llPT13_lli.private_seg_size, 0
	.set _ZN12_GLOBAL__N_127rocblas_gemm_batched_kernelIdLi16ELi16ELi64ELi64ELi4ELi64ELi4ELi4ELi64ELc78ELc78EKPKdS3_KPdEEvlllT_PT11_llS8_llS6_PT12_llPT13_lli.uses_vcc, 1
	.set _ZN12_GLOBAL__N_127rocblas_gemm_batched_kernelIdLi16ELi16ELi64ELi64ELi4ELi64ELi4ELi4ELi64ELc78ELc78EKPKdS3_KPdEEvlllT_PT11_llS8_llS6_PT12_llPT13_lli.uses_flat_scratch, 1
	.set _ZN12_GLOBAL__N_127rocblas_gemm_batched_kernelIdLi16ELi16ELi64ELi64ELi4ELi64ELi4ELi4ELi64ELc78ELc78EKPKdS3_KPdEEvlllT_PT11_llS8_llS6_PT12_llPT13_lli.has_dyn_sized_stack, 0
	.set _ZN12_GLOBAL__N_127rocblas_gemm_batched_kernelIdLi16ELi16ELi64ELi64ELi4ELi64ELi4ELi4ELi64ELc78ELc78EKPKdS3_KPdEEvlllT_PT11_llS8_llS6_PT12_llPT13_lli.has_recursion, 0
	.set _ZN12_GLOBAL__N_127rocblas_gemm_batched_kernelIdLi16ELi16ELi64ELi64ELi4ELi64ELi4ELi4ELi64ELc78ELc78EKPKdS3_KPdEEvlllT_PT11_llS8_llS6_PT12_llPT13_lli.has_indirect_call, 0
	.section	.AMDGPU.csdata,"",@progbits
; Kernel info:
; codeLenInByte = 2296
; TotalNumSgprs: 46
; NumVgprs: 100
; ScratchSize: 0
; MemoryBound: 0
; FloatMode: 240
; IeeeMode: 1
; LDSByteSize: 4096 bytes/workgroup (compile time only)
; SGPRBlocks: 0
; VGPRBlocks: 6
; NumSGPRsForWavesPerEU: 46
; NumVGPRsForWavesPerEU: 100
; NamedBarCnt: 0
; Occupancy: 9
; WaveLimiterHint : 1
; COMPUTE_PGM_RSRC2:SCRATCH_EN: 0
; COMPUTE_PGM_RSRC2:USER_SGPR: 2
; COMPUTE_PGM_RSRC2:TRAP_HANDLER: 0
; COMPUTE_PGM_RSRC2:TGID_X_EN: 1
; COMPUTE_PGM_RSRC2:TGID_Y_EN: 1
; COMPUTE_PGM_RSRC2:TGID_Z_EN: 1
; COMPUTE_PGM_RSRC2:TIDIG_COMP_CNT: 1
	.section	.text._ZN12_GLOBAL__N_127rocblas_gemm_batched_kernelIdLi16ELi16ELi64ELi64ELi4ELi64ELi4ELi4ELi64ELc84ELc78EKPKdS3_KPdEEvlllT_PT11_llS8_llS6_PT12_llPT13_lli,"axG",@progbits,_ZN12_GLOBAL__N_127rocblas_gemm_batched_kernelIdLi16ELi16ELi64ELi64ELi4ELi64ELi4ELi4ELi64ELc84ELc78EKPKdS3_KPdEEvlllT_PT11_llS8_llS6_PT12_llPT13_lli,comdat
	.globl	_ZN12_GLOBAL__N_127rocblas_gemm_batched_kernelIdLi16ELi16ELi64ELi64ELi4ELi64ELi4ELi4ELi64ELc84ELc78EKPKdS3_KPdEEvlllT_PT11_llS8_llS6_PT12_llPT13_lli ; -- Begin function _ZN12_GLOBAL__N_127rocblas_gemm_batched_kernelIdLi16ELi16ELi64ELi64ELi4ELi64ELi4ELi4ELi64ELc84ELc78EKPKdS3_KPdEEvlllT_PT11_llS8_llS6_PT12_llPT13_lli
	.p2align	8
	.type	_ZN12_GLOBAL__N_127rocblas_gemm_batched_kernelIdLi16ELi16ELi64ELi64ELi4ELi64ELi4ELi4ELi64ELc84ELc78EKPKdS3_KPdEEvlllT_PT11_llS8_llS6_PT12_llPT13_lli,@function
_ZN12_GLOBAL__N_127rocblas_gemm_batched_kernelIdLi16ELi16ELi64ELi64ELi4ELi64ELi4ELi4ELi64ELc84ELc78EKPKdS3_KPdEEvlllT_PT11_llS8_llS6_PT12_llPT13_lli: ; @_ZN12_GLOBAL__N_127rocblas_gemm_batched_kernelIdLi16ELi16ELi64ELi64ELi4ELi64ELi4ELi4ELi64ELc84ELc78EKPKdS3_KPdEEvlllT_PT11_llS8_llS6_PT12_llPT13_lli
; %bb.0:
	s_load_b32 s28, s[0:1], 0x88
	s_bfe_u32 s2, ttmp6, 0x40014
	s_lshr_b32 s3, ttmp7, 16
	s_add_co_i32 s2, s2, 1
	s_bfe_u32 s4, ttmp6, 0x40008
	s_mul_i32 s2, s3, s2
	s_getreg_b32 s29, hwreg(HW_REG_IB_STS2, 6, 4)
	s_add_co_i32 s4, s4, s2
	s_cmp_eq_u32 s29, 0
	s_cselect_b32 s2, s3, s4
	s_mov_b32 s3, 0
	s_wait_kmcnt 0x0
	s_cmp_ge_i32 s2, s28
	s_cbranch_scc1 .LBB2_11
; %bb.1:
	v_bfe_u32 v2, v0, 10, 10
	v_and_b32_e32 v6, 0x3ff, v0
	s_clause 0x2
	s_load_b512 s[4:19], s[0:1], 0x10
	s_load_b256 s[20:27], s[0:1], 0x70
	s_load_b256 s[36:43], s[0:1], 0x50
	s_wait_xcnt 0x0
	s_bfe_u32 s1, ttmp6, 0x4000c
	s_wait_kmcnt 0x0
	s_bfe_u32 s26, ttmp6, 0x40010
	s_add_co_i32 s1, s1, 1
	s_and_b32 s27, ttmp7, 0xffff
	s_add_co_i32 s26, s26, 1
	v_lshl_add_u32 v15, v2, 4, v6
	v_mov_b32_e32 v3, 0
	s_and_b32 s0, ttmp6, 15
	s_mul_i32 s1, ttmp9, s1
	s_mul_i32 s26, s27, s26
	s_bfe_u32 s30, ttmp6, 0x40004
	s_add_co_i32 s0, s0, s1
	s_add_co_i32 s30, s30, s26
	s_cmp_eq_u32 s29, 0
	v_dual_lshrrev_b32 v8, 2, v15 :: v_dual_bitop2_b32 v16, 63, v15 bitop3:0x40
	v_mov_b32_e32 v9, v3
	s_cselect_b32 s0, ttmp9, s0
	s_cselect_b32 s26, s27, s30
	s_ashr_i32 s1, s0, 31
	s_lshl_b32 s26, s26, 6
	s_mov_b32 s27, s3
	s_lshl_b64 s[30:31], s[0:1], 6
	v_add_nc_u64_e32 v[4:5], s[26:27], v[8:9]
	v_dual_mov_b32 v11, s31 :: v_dual_bitop2_b32 v10, s30, v16 bitop3:0x54
	v_dual_lshlrev_b32 v9, 3, v0 :: v_dual_mov_b32 v7, v3
	v_cmp_eq_f64_e64 s1, s[36:37], 0
	v_lshlrev_b32_e32 v52, 3, v6
	s_delay_alu instid0(VALU_DEP_4)
	v_mul_u64_e32 v[10:11], s[10:11], v[10:11]
	v_mul_u64_e32 v[12:13], s[16:17], v[4:5]
	v_add_nc_u64_e32 v[4:5], s[26:27], v[2:3]
	v_dual_lshrrev_b32 v9, 6, v15 :: v_dual_bitop2_b32 v14, 24, v9 bitop3:0x40
	v_lshlrev_b32_e32 v18, 3, v16
	v_cmp_gt_i64_e64 s0, s[4:5], 0
	v_add_nc_u64_e32 v[16:17], s[30:31], v[6:7]
	s_delay_alu instid0(VALU_DEP_4)
	v_lshl_or_b32 v8, v8, 5, v14
	v_mul_u64_e32 v[0:1], s[22:23], v[4:5]
	v_mul_u64_e32 v[4:5], s[40:41], v[4:5]
	s_lshl_b64 s[10:11], s[12:13], 3
	s_lshl_b64 s[12:13], s[18:19], 3
	v_lshl_add_u32 v53, v2, 5, 0x800
	v_dual_mov_b32 v15, v3 :: v_dual_lshlrev_b32 v2, 3, v9
	v_lshl_or_b32 v54, v9, 9, v18
	v_add_nc_u32_e32 v55, 0x800, v8
	s_lshl_b64 s[22:23], s[22:23], 4
	s_lshl_b64 s[16:17], s[40:41], 4
	s_lshl_b64 s[18:19], s[22:23], 3
	s_lshl_b64 s[16:17], s[16:17], 3
	v_lshl_add_u64 v[6:7], v[10:11], 3, s[10:11]
	v_lshl_add_u64 v[8:9], v[12:13], 3, s[12:13]
	v_cndmask_b32_e64 v12, 0, 1, s0
	v_lshlrev_b64_e32 v[10:11], 3, v[16:17]
	s_lshl_b64 s[10:11], s[24:25], 3
	v_add_nc_u64_e32 v[6:7], v[6:7], v[2:3]
	v_add_nc_u64_e32 v[8:9], v[8:9], v[14:15]
	v_cmp_ne_u32_e64 s0, 1, v12
	s_lshl_b64 s[12:13], s[42:43], 3
	s_branch .LBB2_3
.LBB2_2:                                ;   in Loop: Header=BB2_3 Depth=1
	s_add_co_i32 s2, s2, 0x10000
	s_delay_alu instid0(SALU_CYCLE_1)
	s_cmp_lt_i32 s2, s28
	s_cbranch_scc0 .LBB2_11
.LBB2_3:                                ; =>This Loop Header: Depth=1
                                        ;     Child Loop BB2_5 Depth 2
	s_wait_xcnt 0x0
	v_mov_b32_e32 v2, s2
	s_and_b32 vcc_lo, exec_lo, s0
	s_clause 0x1
	global_load_b64 v[30:31], v2, s[38:39] scale_offset
	global_load_b64 v[46:47], v2, s[20:21] scale_offset
	s_cbranch_vccnz .LBB2_6
; %bb.4:                                ;   in Loop: Header=BB2_3 Depth=1
	s_lshl_b64 s[22:23], s[2:3], 3
	v_mov_b64_e32 v[12:13], 0
	s_add_nc_u64 s[24:25], s[14:15], s[22:23]
	s_add_nc_u64 s[22:23], s[8:9], s[22:23]
	s_clause 0x1
	global_load_b64 v[44:45], v3, s[24:25]
	global_load_b64 v[50:51], v3, s[22:23]
	s_wait_xcnt 0x4
	v_mov_b64_e32 v[14:15], 0
	v_mov_b64_e32 v[16:17], 0
	;; [unrolled: 1-line block ×14, first 2 shown]
	s_wait_xcnt 0x0
	s_mov_b64 s[22:23], 0
	s_wait_loadcnt 0x1
	v_add_nc_u64_e32 v[48:49], v[44:45], v[8:9]
	s_wait_loadcnt 0x0
	v_add_nc_u64_e32 v[50:51], v[50:51], v[6:7]
	v_mov_b64_e32 v[44:45], 0
.LBB2_5:                                ;   Parent Loop BB2_3 Depth=1
                                        ; =>  This Inner Loop Header: Depth=2
	flat_load_b64 v[56:57], v[50:51]
	s_add_nc_u64 s[22:23], s[22:23], 4
	s_wait_xcnt 0x0
	v_add_nc_u64_e32 v[50:51], 32, v[50:51]
	v_cmp_lt_i64_e64 s24, s[22:23], s[4:5]
	s_and_b32 vcc_lo, exec_lo, s24
	s_wait_loadcnt_dscnt 0x0
	ds_store_b64 v54, v[56:57]
	flat_load_b64 v[56:57], v[48:49]
	s_wait_xcnt 0x0
	v_add_nc_u64_e32 v[48:49], 32, v[48:49]
	s_wait_loadcnt_dscnt 0x0
	ds_store_b64 v55, v[56:57]
	s_wait_dscnt 0x0
	s_barrier_signal -1
	s_barrier_wait -1
	ds_load_b128 v[56:59], v53
	ds_load_2addr_b64 v[60:63], v52 offset1:16
	ds_load_b128 v[64:67], v53 offset:512
	ds_load_2addr_b64 v[68:71], v52 offset0:32 offset1:48
	ds_load_b128 v[72:75], v53 offset:1024
	ds_load_b128 v[76:79], v53 offset:1536
	ds_load_2addr_b64 v[80:83], v52 offset0:64 offset1:80
	ds_load_b128 v[84:87], v53 offset:16
	ds_load_b128 v[88:91], v53 offset:528
	;; [unrolled: 1-line block ×4, first 2 shown]
	s_wait_dscnt 0x9
	v_fmac_f64_e32 v[44:45], v[60:61], v[56:57]
	v_fmac_f64_e32 v[42:43], v[62:63], v[56:57]
	s_wait_dscnt 0x8
	v_fmac_f64_e32 v[36:37], v[60:61], v[64:65]
	v_fmac_f64_e32 v[34:35], v[62:63], v[64:65]
	;; [unrolled: 3-line block ×4, first 2 shown]
	v_fmac_f64_e32 v[32:33], v[68:69], v[64:65]
	v_fmac_f64_e32 v[28:29], v[70:71], v[64:65]
	s_wait_dscnt 0x5
	v_fmac_f64_e32 v[18:19], v[60:61], v[76:77]
	v_fmac_f64_e32 v[16:17], v[62:63], v[76:77]
	;; [unrolled: 1-line block ×6, first 2 shown]
	ds_load_2addr_b64 v[60:63], v52 offset0:96 offset1:112
	ds_load_2addr_b64 v[68:71], v52 offset0:128 offset1:144
	s_wait_dscnt 0x6
	v_fmac_f64_e32 v[44:45], v[80:81], v[58:59]
	v_fmac_f64_e32 v[42:43], v[82:83], v[58:59]
	;; [unrolled: 1-line block ×4, first 2 shown]
	s_wait_dscnt 0x1
	v_fmac_f64_e32 v[40:41], v[60:61], v[58:59]
	v_fmac_f64_e32 v[38:39], v[62:63], v[58:59]
	;; [unrolled: 1-line block ×12, first 2 shown]
	ds_load_2addr_b64 v[56:59], v52 offset0:160 offset1:176
	ds_load_2addr_b64 v[60:63], v52 offset0:192 offset1:208
	s_wait_dscnt 0x2
	v_fmac_f64_e32 v[44:45], v[68:69], v[84:85]
	v_fmac_f64_e32 v[42:43], v[70:71], v[84:85]
	;; [unrolled: 1-line block ×4, first 2 shown]
	s_wait_dscnt 0x1
	v_fmac_f64_e32 v[40:41], v[56:57], v[84:85]
	v_fmac_f64_e32 v[38:39], v[58:59], v[84:85]
	;; [unrolled: 1-line block ×12, first 2 shown]
	ds_load_2addr_b64 v[56:59], v52 offset0:224 offset1:240
	s_wait_dscnt 0x0
	s_barrier_signal -1
	s_barrier_wait -1
	v_fmac_f64_e32 v[44:45], v[60:61], v[86:87]
	v_fmac_f64_e32 v[42:43], v[62:63], v[86:87]
	;; [unrolled: 1-line block ×16, first 2 shown]
	s_cbranch_vccnz .LBB2_5
	s_branch .LBB2_7
.LBB2_6:                                ;   in Loop: Header=BB2_3 Depth=1
	v_mov_b64_e32 v[44:45], 0
	v_mov_b64_e32 v[42:43], 0
	;; [unrolled: 1-line block ×10, first 2 shown]
	s_wait_xcnt 0x6
	v_mov_b64_e32 v[22:23], 0
	s_wait_xcnt 0x3
	v_mov_b64_e32 v[20:21], 0
	;; [unrolled: 2-line block ×3, first 2 shown]
	v_mov_b64_e32 v[16:17], 0
	v_mov_b64_e32 v[14:15], 0
	;; [unrolled: 1-line block ×3, first 2 shown]
.LBB2_7:                                ;   in Loop: Header=BB2_3 Depth=1
	s_wait_loadcnt 0x0
	v_add_nc_u64_e32 v[46:47], s[10:11], v[46:47]
	s_and_not1_b32 vcc_lo, exec_lo, s1
	s_delay_alu instid0(VALU_DEP_1) | instskip(NEXT) | instid1(VALU_DEP_1)
	v_lshl_add_u64 v[46:47], v[0:1], 3, v[46:47]
	v_add_nc_u64_e32 v[48:49], v[46:47], v[10:11]
	v_add_nc_u64_e32 v[46:47], s[18:19], v[46:47]
	s_cbranch_vccnz .LBB2_9
; %bb.8:                                ;   in Loop: Header=BB2_3 Depth=1
	v_mul_f64_e32 v[50:51], s[6:7], v[44:45]
	v_mul_f64_e32 v[78:79], s[6:7], v[18:19]
	;; [unrolled: 1-line block ×16, first 2 shown]
	v_add_nc_u64_e32 v[86:87], s[18:19], v[46:47]
	v_add_nc_u64_e32 v[90:91], v[46:47], v[10:11]
	s_delay_alu instid0(VALU_DEP_2)
	v_add_nc_u64_e32 v[88:89], s[18:19], v[86:87]
	v_add_nc_u64_e32 v[86:87], v[86:87], v[10:11]
	s_clause 0xb
	flat_store_b64 v[48:49], v[50:51]
	flat_store_b64 v[48:49], v[56:57] offset:128
	flat_store_b64 v[48:49], v[58:59] offset:256
	flat_store_b64 v[48:49], v[60:61] offset:384
	flat_store_b64 v[90:91], v[62:63]
	flat_store_b64 v[90:91], v[64:65] offset:128
	flat_store_b64 v[90:91], v[66:67] offset:256
	flat_store_b64 v[90:91], v[68:69] offset:384
	;; [unrolled: 4-line block ×3, first 2 shown]
	v_add_nc_u64_e32 v[88:89], v[88:89], v[10:11]
	s_clause 0x3
	flat_store_b64 v[88:89], v[78:79]
	flat_store_b64 v[88:89], v[80:81] offset:128
	flat_store_b64 v[88:89], v[82:83] offset:256
	flat_store_b64 v[88:89], v[84:85] offset:384
	s_cbranch_execnz .LBB2_2
	s_branch .LBB2_10
.LBB2_9:                                ;   in Loop: Header=BB2_3 Depth=1
.LBB2_10:                               ;   in Loop: Header=BB2_3 Depth=1
	v_add_nc_u64_e32 v[30:31], s[12:13], v[30:31]
	s_delay_alu instid0(VALU_DEP_1) | instskip(SKIP_1) | instid1(VALU_DEP_1)
	v_lshl_add_u64 v[30:31], v[4:5], 3, v[30:31]
	s_wait_xcnt 0xf
	v_add_nc_u64_e32 v[50:51], v[30:31], v[10:11]
	v_add_nc_u64_e32 v[30:31], s[16:17], v[30:31]
	flat_load_b64 v[56:57], v[50:51]
	s_wait_loadcnt_dscnt 0x0
	v_mul_f64_e32 v[56:57], s[36:37], v[56:57]
	s_delay_alu instid0(VALU_DEP_1) | instskip(SKIP_4) | instid1(VALU_DEP_1)
	v_fmac_f64_e32 v[56:57], s[6:7], v[44:45]
	flat_store_b64 v[48:49], v[56:57]
	flat_load_b64 v[44:45], v[50:51] offset:128
	s_wait_loadcnt_dscnt 0x0
	v_mul_f64_e32 v[44:45], s[36:37], v[44:45]
	v_fmac_f64_e32 v[44:45], s[6:7], v[42:43]
	flat_store_b64 v[48:49], v[44:45] offset:128
	flat_load_b64 v[42:43], v[50:51] offset:256
	s_wait_loadcnt_dscnt 0x0
	v_mul_f64_e32 v[42:43], s[36:37], v[42:43]
	s_delay_alu instid0(VALU_DEP_1) | instskip(SKIP_4) | instid1(VALU_DEP_1)
	v_fmac_f64_e32 v[42:43], s[6:7], v[40:41]
	flat_store_b64 v[48:49], v[42:43] offset:256
	flat_load_b64 v[40:41], v[50:51] offset:384
	s_wait_loadcnt_dscnt 0x0
	v_mul_f64_e32 v[40:41], s[36:37], v[40:41]
	v_fmac_f64_e32 v[40:41], s[6:7], v[38:39]
	v_add_nc_u64_e32 v[38:39], v[30:31], v[10:11]
	flat_store_b64 v[48:49], v[40:41] offset:384
	flat_load_b64 v[40:41], v[38:39]
	s_wait_loadcnt_dscnt 0x0
	v_mul_f64_e32 v[40:41], s[36:37], v[40:41]
	s_delay_alu instid0(VALU_DEP_1)
	v_fmac_f64_e32 v[40:41], s[6:7], v[36:37]
	v_add_nc_u64_e32 v[36:37], v[46:47], v[10:11]
	flat_store_b64 v[36:37], v[40:41]
	flat_load_b64 v[40:41], v[38:39] offset:128
	s_wait_loadcnt_dscnt 0x0
	v_mul_f64_e32 v[40:41], s[36:37], v[40:41]
	s_delay_alu instid0(VALU_DEP_1) | instskip(SKIP_4) | instid1(VALU_DEP_1)
	v_fmac_f64_e32 v[40:41], s[6:7], v[34:35]
	flat_store_b64 v[36:37], v[40:41] offset:128
	flat_load_b64 v[34:35], v[38:39] offset:256
	s_wait_loadcnt_dscnt 0x0
	v_mul_f64_e32 v[34:35], s[36:37], v[34:35]
	v_fmac_f64_e32 v[34:35], s[6:7], v[32:33]
	flat_store_b64 v[36:37], v[34:35] offset:256
	flat_load_b64 v[32:33], v[38:39] offset:384
	s_wait_loadcnt_dscnt 0x0
	v_mul_f64_e32 v[32:33], s[36:37], v[32:33]
	s_delay_alu instid0(VALU_DEP_1) | instskip(SKIP_1) | instid1(VALU_DEP_1)
	v_fmac_f64_e32 v[32:33], s[6:7], v[28:29]
	v_add_nc_u64_e32 v[28:29], s[16:17], v[30:31]
	v_add_nc_u64_e32 v[30:31], v[28:29], v[10:11]
	flat_store_b64 v[36:37], v[32:33] offset:384
	flat_load_b64 v[32:33], v[30:31]
	s_wait_loadcnt_dscnt 0x0
	v_mul_f64_e32 v[32:33], s[36:37], v[32:33]
	s_delay_alu instid0(VALU_DEP_1) | instskip(SKIP_1) | instid1(VALU_DEP_1)
	v_fmac_f64_e32 v[32:33], s[6:7], v[26:27]
	v_add_nc_u64_e32 v[26:27], s[18:19], v[46:47]
	v_add_nc_u64_e32 v[34:35], v[26:27], v[10:11]
	flat_store_b64 v[34:35], v[32:33]
	flat_load_b64 v[32:33], v[30:31] offset:128
	s_wait_loadcnt_dscnt 0x0
	v_mul_f64_e32 v[32:33], s[36:37], v[32:33]
	s_delay_alu instid0(VALU_DEP_1) | instskip(SKIP_4) | instid1(VALU_DEP_1)
	v_fmac_f64_e32 v[32:33], s[6:7], v[24:25]
	flat_store_b64 v[34:35], v[32:33] offset:128
	flat_load_b64 v[24:25], v[30:31] offset:256
	s_wait_loadcnt_dscnt 0x0
	v_mul_f64_e32 v[24:25], s[36:37], v[24:25]
	v_fmac_f64_e32 v[24:25], s[6:7], v[22:23]
	flat_store_b64 v[34:35], v[24:25] offset:256
	flat_load_b64 v[22:23], v[30:31] offset:384
	s_wait_loadcnt_dscnt 0x0
	v_mul_f64_e32 v[22:23], s[36:37], v[22:23]
	s_delay_alu instid0(VALU_DEP_1) | instskip(SKIP_1) | instid1(VALU_DEP_1)
	v_fmac_f64_e32 v[22:23], s[6:7], v[20:21]
	v_add_nc_u64_e32 v[20:21], s[16:17], v[28:29]
	v_add_nc_u64_e32 v[20:21], v[20:21], v[10:11]
	flat_store_b64 v[34:35], v[22:23] offset:384
	flat_load_b64 v[22:23], v[20:21]
	s_wait_loadcnt_dscnt 0x0
	v_mul_f64_e32 v[22:23], s[36:37], v[22:23]
	s_delay_alu instid0(VALU_DEP_1) | instskip(SKIP_1) | instid1(VALU_DEP_1)
	v_fmac_f64_e32 v[22:23], s[6:7], v[18:19]
	v_add_nc_u64_e32 v[18:19], s[18:19], v[26:27]
	v_add_nc_u64_e32 v[18:19], v[18:19], v[10:11]
	flat_store_b64 v[18:19], v[22:23]
	flat_load_b64 v[22:23], v[20:21] offset:128
	s_wait_loadcnt_dscnt 0x0
	v_mul_f64_e32 v[22:23], s[36:37], v[22:23]
	s_delay_alu instid0(VALU_DEP_1) | instskip(SKIP_4) | instid1(VALU_DEP_1)
	v_fmac_f64_e32 v[22:23], s[6:7], v[16:17]
	flat_store_b64 v[18:19], v[22:23] offset:128
	flat_load_b64 v[16:17], v[20:21] offset:256
	s_wait_loadcnt_dscnt 0x0
	v_mul_f64_e32 v[16:17], s[36:37], v[16:17]
	v_fmac_f64_e32 v[16:17], s[6:7], v[14:15]
	flat_store_b64 v[18:19], v[16:17] offset:256
	flat_load_b64 v[14:15], v[20:21] offset:384
	s_wait_loadcnt_dscnt 0x0
	v_mul_f64_e32 v[14:15], s[36:37], v[14:15]
	s_delay_alu instid0(VALU_DEP_1)
	v_fmac_f64_e32 v[14:15], s[6:7], v[12:13]
	flat_store_b64 v[18:19], v[14:15] offset:384
	s_branch .LBB2_2
.LBB2_11:
	s_sendmsg sendmsg(MSG_DEALLOC_VGPRS)
	s_endpgm
	.section	.rodata,"a",@progbits
	.p2align	6, 0x0
	.amdhsa_kernel _ZN12_GLOBAL__N_127rocblas_gemm_batched_kernelIdLi16ELi16ELi64ELi64ELi4ELi64ELi4ELi4ELi64ELc84ELc78EKPKdS3_KPdEEvlllT_PT11_llS8_llS6_PT12_llPT13_lli
		.amdhsa_group_segment_fixed_size 4096
		.amdhsa_private_segment_fixed_size 0
		.amdhsa_kernarg_size 140
		.amdhsa_user_sgpr_count 2
		.amdhsa_user_sgpr_dispatch_ptr 0
		.amdhsa_user_sgpr_queue_ptr 0
		.amdhsa_user_sgpr_kernarg_segment_ptr 1
		.amdhsa_user_sgpr_dispatch_id 0
		.amdhsa_user_sgpr_kernarg_preload_length 0
		.amdhsa_user_sgpr_kernarg_preload_offset 0
		.amdhsa_user_sgpr_private_segment_size 0
		.amdhsa_wavefront_size32 1
		.amdhsa_uses_dynamic_stack 0
		.amdhsa_enable_private_segment 0
		.amdhsa_system_sgpr_workgroup_id_x 1
		.amdhsa_system_sgpr_workgroup_id_y 1
		.amdhsa_system_sgpr_workgroup_id_z 1
		.amdhsa_system_sgpr_workgroup_info 0
		.amdhsa_system_vgpr_workitem_id 1
		.amdhsa_next_free_vgpr 100
		.amdhsa_next_free_sgpr 44
		.amdhsa_named_barrier_count 0
		.amdhsa_reserve_vcc 1
		.amdhsa_float_round_mode_32 0
		.amdhsa_float_round_mode_16_64 0
		.amdhsa_float_denorm_mode_32 3
		.amdhsa_float_denorm_mode_16_64 3
		.amdhsa_fp16_overflow 0
		.amdhsa_memory_ordered 1
		.amdhsa_forward_progress 1
		.amdhsa_inst_pref_size 18
		.amdhsa_round_robin_scheduling 0
		.amdhsa_exception_fp_ieee_invalid_op 0
		.amdhsa_exception_fp_denorm_src 0
		.amdhsa_exception_fp_ieee_div_zero 0
		.amdhsa_exception_fp_ieee_overflow 0
		.amdhsa_exception_fp_ieee_underflow 0
		.amdhsa_exception_fp_ieee_inexact 0
		.amdhsa_exception_int_div_zero 0
	.end_amdhsa_kernel
	.section	.text._ZN12_GLOBAL__N_127rocblas_gemm_batched_kernelIdLi16ELi16ELi64ELi64ELi4ELi64ELi4ELi4ELi64ELc84ELc78EKPKdS3_KPdEEvlllT_PT11_llS8_llS6_PT12_llPT13_lli,"axG",@progbits,_ZN12_GLOBAL__N_127rocblas_gemm_batched_kernelIdLi16ELi16ELi64ELi64ELi4ELi64ELi4ELi4ELi64ELc84ELc78EKPKdS3_KPdEEvlllT_PT11_llS8_llS6_PT12_llPT13_lli,comdat
.Lfunc_end2:
	.size	_ZN12_GLOBAL__N_127rocblas_gemm_batched_kernelIdLi16ELi16ELi64ELi64ELi4ELi64ELi4ELi4ELi64ELc84ELc78EKPKdS3_KPdEEvlllT_PT11_llS8_llS6_PT12_llPT13_lli, .Lfunc_end2-_ZN12_GLOBAL__N_127rocblas_gemm_batched_kernelIdLi16ELi16ELi64ELi64ELi4ELi64ELi4ELi4ELi64ELc84ELc78EKPKdS3_KPdEEvlllT_PT11_llS8_llS6_PT12_llPT13_lli
                                        ; -- End function
	.set _ZN12_GLOBAL__N_127rocblas_gemm_batched_kernelIdLi16ELi16ELi64ELi64ELi4ELi64ELi4ELi4ELi64ELc84ELc78EKPKdS3_KPdEEvlllT_PT11_llS8_llS6_PT12_llPT13_lli.num_vgpr, 100
	.set _ZN12_GLOBAL__N_127rocblas_gemm_batched_kernelIdLi16ELi16ELi64ELi64ELi4ELi64ELi4ELi4ELi64ELc84ELc78EKPKdS3_KPdEEvlllT_PT11_llS8_llS6_PT12_llPT13_lli.num_agpr, 0
	.set _ZN12_GLOBAL__N_127rocblas_gemm_batched_kernelIdLi16ELi16ELi64ELi64ELi4ELi64ELi4ELi4ELi64ELc84ELc78EKPKdS3_KPdEEvlllT_PT11_llS8_llS6_PT12_llPT13_lli.numbered_sgpr, 44
	.set _ZN12_GLOBAL__N_127rocblas_gemm_batched_kernelIdLi16ELi16ELi64ELi64ELi4ELi64ELi4ELi4ELi64ELc84ELc78EKPKdS3_KPdEEvlllT_PT11_llS8_llS6_PT12_llPT13_lli.num_named_barrier, 0
	.set _ZN12_GLOBAL__N_127rocblas_gemm_batched_kernelIdLi16ELi16ELi64ELi64ELi4ELi64ELi4ELi4ELi64ELc84ELc78EKPKdS3_KPdEEvlllT_PT11_llS8_llS6_PT12_llPT13_lli.private_seg_size, 0
	.set _ZN12_GLOBAL__N_127rocblas_gemm_batched_kernelIdLi16ELi16ELi64ELi64ELi4ELi64ELi4ELi4ELi64ELc84ELc78EKPKdS3_KPdEEvlllT_PT11_llS8_llS6_PT12_llPT13_lli.uses_vcc, 1
	.set _ZN12_GLOBAL__N_127rocblas_gemm_batched_kernelIdLi16ELi16ELi64ELi64ELi4ELi64ELi4ELi4ELi64ELc84ELc78EKPKdS3_KPdEEvlllT_PT11_llS8_llS6_PT12_llPT13_lli.uses_flat_scratch, 1
	.set _ZN12_GLOBAL__N_127rocblas_gemm_batched_kernelIdLi16ELi16ELi64ELi64ELi4ELi64ELi4ELi4ELi64ELc84ELc78EKPKdS3_KPdEEvlllT_PT11_llS8_llS6_PT12_llPT13_lli.has_dyn_sized_stack, 0
	.set _ZN12_GLOBAL__N_127rocblas_gemm_batched_kernelIdLi16ELi16ELi64ELi64ELi4ELi64ELi4ELi4ELi64ELc84ELc78EKPKdS3_KPdEEvlllT_PT11_llS8_llS6_PT12_llPT13_lli.has_recursion, 0
	.set _ZN12_GLOBAL__N_127rocblas_gemm_batched_kernelIdLi16ELi16ELi64ELi64ELi4ELi64ELi4ELi4ELi64ELc84ELc78EKPKdS3_KPdEEvlllT_PT11_llS8_llS6_PT12_llPT13_lli.has_indirect_call, 0
	.section	.AMDGPU.csdata,"",@progbits
; Kernel info:
; codeLenInByte = 2292
; TotalNumSgprs: 46
; NumVgprs: 100
; ScratchSize: 0
; MemoryBound: 0
; FloatMode: 240
; IeeeMode: 1
; LDSByteSize: 4096 bytes/workgroup (compile time only)
; SGPRBlocks: 0
; VGPRBlocks: 6
; NumSGPRsForWavesPerEU: 46
; NumVGPRsForWavesPerEU: 100
; NamedBarCnt: 0
; Occupancy: 9
; WaveLimiterHint : 1
; COMPUTE_PGM_RSRC2:SCRATCH_EN: 0
; COMPUTE_PGM_RSRC2:USER_SGPR: 2
; COMPUTE_PGM_RSRC2:TRAP_HANDLER: 0
; COMPUTE_PGM_RSRC2:TGID_X_EN: 1
; COMPUTE_PGM_RSRC2:TGID_Y_EN: 1
; COMPUTE_PGM_RSRC2:TGID_Z_EN: 1
; COMPUTE_PGM_RSRC2:TIDIG_COMP_CNT: 1
	.section	.text._ZN12_GLOBAL__N_127rocblas_gemm_batched_kernelIdLi16ELi16ELi64ELi64ELi4ELi64ELi4ELi4ELi64ELc78ELc84EKPKdS3_KPdEEvlllT_PT11_llS8_llS6_PT12_llPT13_lli,"axG",@progbits,_ZN12_GLOBAL__N_127rocblas_gemm_batched_kernelIdLi16ELi16ELi64ELi64ELi4ELi64ELi4ELi4ELi64ELc78ELc84EKPKdS3_KPdEEvlllT_PT11_llS8_llS6_PT12_llPT13_lli,comdat
	.globl	_ZN12_GLOBAL__N_127rocblas_gemm_batched_kernelIdLi16ELi16ELi64ELi64ELi4ELi64ELi4ELi4ELi64ELc78ELc84EKPKdS3_KPdEEvlllT_PT11_llS8_llS6_PT12_llPT13_lli ; -- Begin function _ZN12_GLOBAL__N_127rocblas_gemm_batched_kernelIdLi16ELi16ELi64ELi64ELi4ELi64ELi4ELi4ELi64ELc78ELc84EKPKdS3_KPdEEvlllT_PT11_llS8_llS6_PT12_llPT13_lli
	.p2align	8
	.type	_ZN12_GLOBAL__N_127rocblas_gemm_batched_kernelIdLi16ELi16ELi64ELi64ELi4ELi64ELi4ELi4ELi64ELc78ELc84EKPKdS3_KPdEEvlllT_PT11_llS8_llS6_PT12_llPT13_lli,@function
_ZN12_GLOBAL__N_127rocblas_gemm_batched_kernelIdLi16ELi16ELi64ELi64ELi4ELi64ELi4ELi4ELi64ELc78ELc84EKPKdS3_KPdEEvlllT_PT11_llS8_llS6_PT12_llPT13_lli: ; @_ZN12_GLOBAL__N_127rocblas_gemm_batched_kernelIdLi16ELi16ELi64ELi64ELi4ELi64ELi4ELi4ELi64ELc78ELc84EKPKdS3_KPdEEvlllT_PT11_llS8_llS6_PT12_llPT13_lli
; %bb.0:
	s_load_b32 s28, s[0:1], 0x88
	s_bfe_u32 s2, ttmp6, 0x40014
	s_lshr_b32 s3, ttmp7, 16
	s_add_co_i32 s2, s2, 1
	s_bfe_u32 s4, ttmp6, 0x40008
	s_mul_i32 s2, s3, s2
	s_getreg_b32 s29, hwreg(HW_REG_IB_STS2, 6, 4)
	s_add_co_i32 s4, s4, s2
	s_cmp_eq_u32 s29, 0
	s_cselect_b32 s2, s3, s4
	s_mov_b32 s3, 0
	s_wait_kmcnt 0x0
	s_cmp_ge_i32 s2, s28
	s_cbranch_scc1 .LBB3_11
; %bb.1:
	s_clause 0x1
	s_load_b512 s[4:19], s[0:1], 0x10
	s_load_b256 s[20:27], s[0:1], 0x70
	v_bfe_u32 v2, v0, 10, 10
	v_and_b32_e32 v6, 0x3ff, v0
	s_load_b256 s[36:43], s[0:1], 0x50
	s_wait_xcnt 0x0
	s_bfe_u32 s0, ttmp6, 0x4000c
	s_wait_kmcnt 0x0
	s_bfe_u32 s26, ttmp6, 0x40010
	s_add_co_i32 s0, s0, 1
	s_and_b32 s27, ttmp7, 0xffff
	s_add_co_i32 s26, s26, 1
	s_and_b32 s1, ttmp6, 15
	s_mul_i32 s0, ttmp9, s0
	s_mul_i32 s26, s27, s26
	s_bfe_u32 s30, ttmp6, 0x40004
	v_dual_mov_b32 v3, 0 :: v_dual_bitop2_b32 v16, 3, v0 bitop3:0x40
	v_lshl_add_u32 v14, v2, 4, v6
	s_add_co_i32 s1, s1, s0
	s_add_co_i32 s30, s30, s26
	s_cmp_eq_u32 s29, 0
	s_delay_alu instid0(VALU_DEP_1)
	v_dual_mov_b32 v9, v3 :: v_dual_lshrrev_b32 v8, 2, v14
	s_cselect_b32 s0, ttmp9, s1
	v_dual_lshrrev_b32 v17, 6, v14 :: v_dual_mov_b32 v7, v3
	s_cselect_b32 s29, s27, s30
	s_ashr_i32 s1, s0, 31
	v_mad_nc_u64_u32 v[10:11], s16, v16, v[8:9]
	s_lshl_b64 s[26:27], s[0:1], 6
	s_lshl_b32 s30, s29, 6
	v_mad_nc_u64_u32 v[12:13], s10, v17, s[26:27]
	s_mov_b32 s31, s3
	v_cmp_eq_f64_e64 s1, s[36:37], 0
	v_add_nc_u64_e32 v[4:5], s[30:31], v[2:3]
	v_dual_mov_b32 v15, v3 :: v_dual_bitop2_b32 v14, 63, v14 bitop3:0x40
	v_dual_lshlrev_b32 v9, 3, v16 :: v_dual_lshlrev_b32 v52, 3, v6
	v_mad_u32 v11, s17, v16, v11
	v_cmp_gt_i64_e64 s0, s[4:5], 0
	v_mul_u64_e32 v[0:1], s[22:23], v[4:5]
	v_mul_u64_e32 v[4:5], s[40:41], v[4:5]
	v_mad_u32 v13, s11, v17, v13
	v_lshl_or_b32 v8, v8, 5, v9
	v_lshlrev_b32_e32 v16, 3, v14
	v_lshl_add_u32 v2, v2, 5, 0x800
	s_lshl_b64 s[16:17], s[16:17], 5
	s_lshl_b64 s[10:11], s[10:11], 5
	v_add_nc_u32_e32 v54, 0x800, v8
	v_add_nc_u64_e32 v[10:11], s[30:31], v[10:11]
	v_lshl_or_b32 v53, v17, 9, v16
	v_add_nc_u64_e32 v[12:13], v[12:13], v[14:15]
	v_add_nc_u64_e32 v[14:15], s[26:27], v[6:7]
	s_lshl_b64 s[26:27], s[22:23], 4
	s_delay_alu instid0(VALU_DEP_4) | instskip(SKIP_1) | instid1(SALU_CYCLE_1)
	v_lshlrev_b64_e32 v[6:7], 3, v[10:11]
	s_lshl_b64 s[22:23], s[40:41], 4
	s_lshl_b64 s[22:23], s[22:23], 3
	s_delay_alu instid0(VALU_DEP_3) | instskip(SKIP_2) | instid1(VALU_DEP_4)
	v_lshlrev_b64_e32 v[8:9], 3, v[12:13]
	v_cndmask_b32_e64 v12, 0, 1, s0
	v_lshlrev_b64_e32 v[10:11], 3, v[14:15]
	v_lshl_add_u64 v[6:7], s[18:19], 3, v[6:7]
	s_lshl_b64 s[18:19], s[42:43], 3
	s_delay_alu instid0(VALU_DEP_3)
	v_cmp_ne_u32_e64 s0, 1, v12
	v_lshl_add_u64 v[8:9], s[12:13], 3, v[8:9]
	s_lshl_b64 s[12:13], s[24:25], 3
	s_lshl_b64 s[24:25], s[26:27], 3
	s_branch .LBB3_3
.LBB3_2:                                ;   in Loop: Header=BB3_3 Depth=1
	s_add_co_i32 s2, s2, 0x10000
	s_delay_alu instid0(SALU_CYCLE_1)
	s_cmp_lt_i32 s2, s28
	s_cbranch_scc0 .LBB3_11
.LBB3_3:                                ; =>This Loop Header: Depth=1
                                        ;     Child Loop BB3_5 Depth 2
	v_mov_b32_e32 v12, s2
	s_and_b32 vcc_lo, exec_lo, s0
	s_clause 0x1
	global_load_b64 v[30:31], v12, s[38:39] scale_offset
	global_load_b64 v[46:47], v12, s[20:21] scale_offset
	s_cbranch_vccnz .LBB3_6
; %bb.4:                                ;   in Loop: Header=BB3_3 Depth=1
	s_lshl_b64 s[26:27], s[2:3], 3
	s_wait_xcnt 0x0
	v_mov_b64_e32 v[12:13], 0
	s_add_nc_u64 s[30:31], s[14:15], s[26:27]
	s_add_nc_u64 s[26:27], s[8:9], s[26:27]
	s_clause 0x1
	global_load_b64 v[44:45], v3, s[30:31]
	global_load_b64 v[50:51], v3, s[26:27]
	v_mov_b64_e32 v[14:15], 0
	v_mov_b64_e32 v[16:17], 0
	;; [unrolled: 1-line block ×14, first 2 shown]
	s_wait_xcnt 0x0
	s_mov_b64 s[26:27], 0
	s_wait_loadcnt 0x1
	v_add_nc_u64_e32 v[48:49], v[44:45], v[6:7]
	s_wait_loadcnt 0x0
	v_add_nc_u64_e32 v[50:51], v[50:51], v[8:9]
	v_mov_b64_e32 v[44:45], 0
.LBB3_5:                                ;   Parent Loop BB3_3 Depth=1
                                        ; =>  This Inner Loop Header: Depth=2
	flat_load_b64 v[56:57], v[50:51]
	s_add_nc_u64 s[26:27], s[26:27], 4
	s_wait_xcnt 0x0
	v_add_nc_u64_e32 v[50:51], s[10:11], v[50:51]
	v_cmp_lt_i64_e64 s29, s[26:27], s[4:5]
	s_and_b32 vcc_lo, exec_lo, s29
	s_wait_loadcnt_dscnt 0x0
	ds_store_b64 v53, v[56:57]
	flat_load_b64 v[56:57], v[48:49]
	s_wait_xcnt 0x0
	v_add_nc_u64_e32 v[48:49], s[16:17], v[48:49]
	s_wait_loadcnt_dscnt 0x0
	ds_store_b64 v54, v[56:57]
	s_wait_dscnt 0x0
	s_barrier_signal -1
	s_barrier_wait -1
	ds_load_b128 v[56:59], v2
	ds_load_2addr_b64 v[60:63], v52 offset1:16
	ds_load_b128 v[64:67], v2 offset:512
	ds_load_2addr_b64 v[68:71], v52 offset0:32 offset1:48
	ds_load_b128 v[72:75], v2 offset:1024
	ds_load_b128 v[76:79], v2 offset:1536
	ds_load_2addr_b64 v[80:83], v52 offset0:64 offset1:80
	ds_load_b128 v[84:87], v2 offset:16
	ds_load_b128 v[88:91], v2 offset:528
	;; [unrolled: 1-line block ×4, first 2 shown]
	s_wait_dscnt 0x9
	v_fmac_f64_e32 v[44:45], v[60:61], v[56:57]
	v_fmac_f64_e32 v[42:43], v[62:63], v[56:57]
	s_wait_dscnt 0x8
	v_fmac_f64_e32 v[36:37], v[60:61], v[64:65]
	v_fmac_f64_e32 v[34:35], v[62:63], v[64:65]
	;; [unrolled: 3-line block ×4, first 2 shown]
	v_fmac_f64_e32 v[32:33], v[68:69], v[64:65]
	v_fmac_f64_e32 v[28:29], v[70:71], v[64:65]
	s_wait_dscnt 0x5
	v_fmac_f64_e32 v[18:19], v[60:61], v[76:77]
	v_fmac_f64_e32 v[16:17], v[62:63], v[76:77]
	;; [unrolled: 1-line block ×6, first 2 shown]
	ds_load_2addr_b64 v[60:63], v52 offset0:96 offset1:112
	ds_load_2addr_b64 v[68:71], v52 offset0:128 offset1:144
	s_wait_dscnt 0x6
	v_fmac_f64_e32 v[44:45], v[80:81], v[58:59]
	v_fmac_f64_e32 v[42:43], v[82:83], v[58:59]
	;; [unrolled: 1-line block ×4, first 2 shown]
	s_wait_dscnt 0x1
	v_fmac_f64_e32 v[40:41], v[60:61], v[58:59]
	v_fmac_f64_e32 v[38:39], v[62:63], v[58:59]
	;; [unrolled: 1-line block ×12, first 2 shown]
	ds_load_2addr_b64 v[56:59], v52 offset0:160 offset1:176
	ds_load_2addr_b64 v[60:63], v52 offset0:192 offset1:208
	s_wait_dscnt 0x2
	v_fmac_f64_e32 v[44:45], v[68:69], v[84:85]
	v_fmac_f64_e32 v[42:43], v[70:71], v[84:85]
	v_fmac_f64_e32 v[36:37], v[68:69], v[88:89]
	v_fmac_f64_e32 v[34:35], v[70:71], v[88:89]
	s_wait_dscnt 0x1
	v_fmac_f64_e32 v[40:41], v[56:57], v[84:85]
	v_fmac_f64_e32 v[38:39], v[58:59], v[84:85]
	v_fmac_f64_e32 v[26:27], v[68:69], v[92:93]
	v_fmac_f64_e32 v[24:25], v[70:71], v[92:93]
	v_fmac_f64_e32 v[32:33], v[56:57], v[88:89]
	v_fmac_f64_e32 v[28:29], v[58:59], v[88:89]
	v_fmac_f64_e32 v[18:19], v[68:69], v[96:97]
	v_fmac_f64_e32 v[16:17], v[70:71], v[96:97]
	v_fmac_f64_e32 v[22:23], v[56:57], v[92:93]
	v_fmac_f64_e32 v[20:21], v[58:59], v[92:93]
	v_fmac_f64_e32 v[14:15], v[56:57], v[96:97]
	v_fmac_f64_e32 v[12:13], v[58:59], v[96:97]
	ds_load_2addr_b64 v[56:59], v52 offset0:224 offset1:240
	s_wait_dscnt 0x0
	s_barrier_signal -1
	s_barrier_wait -1
	v_fmac_f64_e32 v[44:45], v[60:61], v[86:87]
	v_fmac_f64_e32 v[42:43], v[62:63], v[86:87]
	;; [unrolled: 1-line block ×16, first 2 shown]
	s_cbranch_vccnz .LBB3_5
	s_branch .LBB3_7
.LBB3_6:                                ;   in Loop: Header=BB3_3 Depth=1
	v_mov_b64_e32 v[44:45], 0
	v_mov_b64_e32 v[42:43], 0
	;; [unrolled: 1-line block ×10, first 2 shown]
	s_wait_xcnt 0x6
	v_mov_b64_e32 v[22:23], 0
	s_wait_xcnt 0x3
	v_mov_b64_e32 v[20:21], 0
	;; [unrolled: 2-line block ×3, first 2 shown]
	v_mov_b64_e32 v[16:17], 0
	v_mov_b64_e32 v[14:15], 0
	s_wait_xcnt 0x0
	v_mov_b64_e32 v[12:13], 0
.LBB3_7:                                ;   in Loop: Header=BB3_3 Depth=1
	s_wait_loadcnt 0x0
	v_add_nc_u64_e32 v[46:47], s[12:13], v[46:47]
	s_and_not1_b32 vcc_lo, exec_lo, s1
	s_delay_alu instid0(VALU_DEP_1) | instskip(NEXT) | instid1(VALU_DEP_1)
	v_lshl_add_u64 v[46:47], v[0:1], 3, v[46:47]
	v_add_nc_u64_e32 v[48:49], v[46:47], v[10:11]
	v_add_nc_u64_e32 v[46:47], s[24:25], v[46:47]
	s_cbranch_vccnz .LBB3_9
; %bb.8:                                ;   in Loop: Header=BB3_3 Depth=1
	v_mul_f64_e32 v[50:51], s[6:7], v[44:45]
	v_mul_f64_e32 v[78:79], s[6:7], v[18:19]
	;; [unrolled: 1-line block ×16, first 2 shown]
	v_add_nc_u64_e32 v[86:87], s[24:25], v[46:47]
	v_add_nc_u64_e32 v[90:91], v[46:47], v[10:11]
	s_delay_alu instid0(VALU_DEP_2)
	v_add_nc_u64_e32 v[88:89], s[24:25], v[86:87]
	v_add_nc_u64_e32 v[86:87], v[86:87], v[10:11]
	s_clause 0xb
	flat_store_b64 v[48:49], v[50:51]
	flat_store_b64 v[48:49], v[56:57] offset:128
	flat_store_b64 v[48:49], v[58:59] offset:256
	flat_store_b64 v[48:49], v[60:61] offset:384
	flat_store_b64 v[90:91], v[62:63]
	flat_store_b64 v[90:91], v[64:65] offset:128
	flat_store_b64 v[90:91], v[66:67] offset:256
	flat_store_b64 v[90:91], v[68:69] offset:384
	;; [unrolled: 4-line block ×3, first 2 shown]
	v_add_nc_u64_e32 v[88:89], v[88:89], v[10:11]
	s_clause 0x3
	flat_store_b64 v[88:89], v[78:79]
	flat_store_b64 v[88:89], v[80:81] offset:128
	flat_store_b64 v[88:89], v[82:83] offset:256
	;; [unrolled: 1-line block ×3, first 2 shown]
	s_cbranch_execnz .LBB3_2
	s_branch .LBB3_10
.LBB3_9:                                ;   in Loop: Header=BB3_3 Depth=1
.LBB3_10:                               ;   in Loop: Header=BB3_3 Depth=1
	v_add_nc_u64_e32 v[30:31], s[18:19], v[30:31]
	s_delay_alu instid0(VALU_DEP_1) | instskip(SKIP_1) | instid1(VALU_DEP_1)
	v_lshl_add_u64 v[30:31], v[4:5], 3, v[30:31]
	s_wait_xcnt 0xf
	v_add_nc_u64_e32 v[50:51], v[30:31], v[10:11]
	v_add_nc_u64_e32 v[30:31], s[22:23], v[30:31]
	flat_load_b64 v[56:57], v[50:51]
	s_wait_loadcnt_dscnt 0x0
	v_mul_f64_e32 v[56:57], s[36:37], v[56:57]
	s_delay_alu instid0(VALU_DEP_1) | instskip(SKIP_4) | instid1(VALU_DEP_1)
	v_fmac_f64_e32 v[56:57], s[6:7], v[44:45]
	flat_store_b64 v[48:49], v[56:57]
	flat_load_b64 v[44:45], v[50:51] offset:128
	s_wait_loadcnt_dscnt 0x0
	v_mul_f64_e32 v[44:45], s[36:37], v[44:45]
	v_fmac_f64_e32 v[44:45], s[6:7], v[42:43]
	flat_store_b64 v[48:49], v[44:45] offset:128
	flat_load_b64 v[42:43], v[50:51] offset:256
	s_wait_loadcnt_dscnt 0x0
	v_mul_f64_e32 v[42:43], s[36:37], v[42:43]
	s_delay_alu instid0(VALU_DEP_1) | instskip(SKIP_4) | instid1(VALU_DEP_1)
	v_fmac_f64_e32 v[42:43], s[6:7], v[40:41]
	flat_store_b64 v[48:49], v[42:43] offset:256
	flat_load_b64 v[40:41], v[50:51] offset:384
	s_wait_loadcnt_dscnt 0x0
	v_mul_f64_e32 v[40:41], s[36:37], v[40:41]
	v_fmac_f64_e32 v[40:41], s[6:7], v[38:39]
	v_add_nc_u64_e32 v[38:39], v[30:31], v[10:11]
	flat_store_b64 v[48:49], v[40:41] offset:384
	flat_load_b64 v[40:41], v[38:39]
	s_wait_loadcnt_dscnt 0x0
	v_mul_f64_e32 v[40:41], s[36:37], v[40:41]
	s_delay_alu instid0(VALU_DEP_1)
	v_fmac_f64_e32 v[40:41], s[6:7], v[36:37]
	v_add_nc_u64_e32 v[36:37], v[46:47], v[10:11]
	flat_store_b64 v[36:37], v[40:41]
	flat_load_b64 v[40:41], v[38:39] offset:128
	s_wait_loadcnt_dscnt 0x0
	v_mul_f64_e32 v[40:41], s[36:37], v[40:41]
	s_delay_alu instid0(VALU_DEP_1) | instskip(SKIP_4) | instid1(VALU_DEP_1)
	v_fmac_f64_e32 v[40:41], s[6:7], v[34:35]
	flat_store_b64 v[36:37], v[40:41] offset:128
	flat_load_b64 v[34:35], v[38:39] offset:256
	s_wait_loadcnt_dscnt 0x0
	v_mul_f64_e32 v[34:35], s[36:37], v[34:35]
	v_fmac_f64_e32 v[34:35], s[6:7], v[32:33]
	flat_store_b64 v[36:37], v[34:35] offset:256
	flat_load_b64 v[32:33], v[38:39] offset:384
	s_wait_loadcnt_dscnt 0x0
	v_mul_f64_e32 v[32:33], s[36:37], v[32:33]
	s_delay_alu instid0(VALU_DEP_1) | instskip(SKIP_1) | instid1(VALU_DEP_1)
	v_fmac_f64_e32 v[32:33], s[6:7], v[28:29]
	v_add_nc_u64_e32 v[28:29], s[22:23], v[30:31]
	v_add_nc_u64_e32 v[30:31], v[28:29], v[10:11]
	flat_store_b64 v[36:37], v[32:33] offset:384
	flat_load_b64 v[32:33], v[30:31]
	s_wait_loadcnt_dscnt 0x0
	v_mul_f64_e32 v[32:33], s[36:37], v[32:33]
	s_delay_alu instid0(VALU_DEP_1) | instskip(SKIP_1) | instid1(VALU_DEP_1)
	v_fmac_f64_e32 v[32:33], s[6:7], v[26:27]
	v_add_nc_u64_e32 v[26:27], s[24:25], v[46:47]
	v_add_nc_u64_e32 v[34:35], v[26:27], v[10:11]
	flat_store_b64 v[34:35], v[32:33]
	flat_load_b64 v[32:33], v[30:31] offset:128
	s_wait_loadcnt_dscnt 0x0
	v_mul_f64_e32 v[32:33], s[36:37], v[32:33]
	s_delay_alu instid0(VALU_DEP_1) | instskip(SKIP_4) | instid1(VALU_DEP_1)
	v_fmac_f64_e32 v[32:33], s[6:7], v[24:25]
	flat_store_b64 v[34:35], v[32:33] offset:128
	flat_load_b64 v[24:25], v[30:31] offset:256
	s_wait_loadcnt_dscnt 0x0
	v_mul_f64_e32 v[24:25], s[36:37], v[24:25]
	v_fmac_f64_e32 v[24:25], s[6:7], v[22:23]
	flat_store_b64 v[34:35], v[24:25] offset:256
	flat_load_b64 v[22:23], v[30:31] offset:384
	s_wait_loadcnt_dscnt 0x0
	v_mul_f64_e32 v[22:23], s[36:37], v[22:23]
	s_delay_alu instid0(VALU_DEP_1) | instskip(SKIP_1) | instid1(VALU_DEP_1)
	v_fmac_f64_e32 v[22:23], s[6:7], v[20:21]
	v_add_nc_u64_e32 v[20:21], s[22:23], v[28:29]
	v_add_nc_u64_e32 v[20:21], v[20:21], v[10:11]
	flat_store_b64 v[34:35], v[22:23] offset:384
	flat_load_b64 v[22:23], v[20:21]
	s_wait_loadcnt_dscnt 0x0
	v_mul_f64_e32 v[22:23], s[36:37], v[22:23]
	s_delay_alu instid0(VALU_DEP_1) | instskip(SKIP_1) | instid1(VALU_DEP_1)
	v_fmac_f64_e32 v[22:23], s[6:7], v[18:19]
	v_add_nc_u64_e32 v[18:19], s[24:25], v[26:27]
	v_add_nc_u64_e32 v[18:19], v[18:19], v[10:11]
	flat_store_b64 v[18:19], v[22:23]
	flat_load_b64 v[22:23], v[20:21] offset:128
	s_wait_loadcnt_dscnt 0x0
	v_mul_f64_e32 v[22:23], s[36:37], v[22:23]
	s_delay_alu instid0(VALU_DEP_1) | instskip(SKIP_4) | instid1(VALU_DEP_1)
	v_fmac_f64_e32 v[22:23], s[6:7], v[16:17]
	flat_store_b64 v[18:19], v[22:23] offset:128
	flat_load_b64 v[16:17], v[20:21] offset:256
	s_wait_loadcnt_dscnt 0x0
	v_mul_f64_e32 v[16:17], s[36:37], v[16:17]
	v_fmac_f64_e32 v[16:17], s[6:7], v[14:15]
	flat_store_b64 v[18:19], v[16:17] offset:256
	flat_load_b64 v[14:15], v[20:21] offset:384
	s_wait_loadcnt_dscnt 0x0
	v_mul_f64_e32 v[14:15], s[36:37], v[14:15]
	s_delay_alu instid0(VALU_DEP_1)
	v_fmac_f64_e32 v[14:15], s[6:7], v[12:13]
	flat_store_b64 v[18:19], v[14:15] offset:384
	s_branch .LBB3_2
.LBB3_11:
	s_sendmsg sendmsg(MSG_DEALLOC_VGPRS)
	s_endpgm
	.section	.rodata,"a",@progbits
	.p2align	6, 0x0
	.amdhsa_kernel _ZN12_GLOBAL__N_127rocblas_gemm_batched_kernelIdLi16ELi16ELi64ELi64ELi4ELi64ELi4ELi4ELi64ELc78ELc84EKPKdS3_KPdEEvlllT_PT11_llS8_llS6_PT12_llPT13_lli
		.amdhsa_group_segment_fixed_size 4096
		.amdhsa_private_segment_fixed_size 0
		.amdhsa_kernarg_size 140
		.amdhsa_user_sgpr_count 2
		.amdhsa_user_sgpr_dispatch_ptr 0
		.amdhsa_user_sgpr_queue_ptr 0
		.amdhsa_user_sgpr_kernarg_segment_ptr 1
		.amdhsa_user_sgpr_dispatch_id 0
		.amdhsa_user_sgpr_kernarg_preload_length 0
		.amdhsa_user_sgpr_kernarg_preload_offset 0
		.amdhsa_user_sgpr_private_segment_size 0
		.amdhsa_wavefront_size32 1
		.amdhsa_uses_dynamic_stack 0
		.amdhsa_enable_private_segment 0
		.amdhsa_system_sgpr_workgroup_id_x 1
		.amdhsa_system_sgpr_workgroup_id_y 1
		.amdhsa_system_sgpr_workgroup_id_z 1
		.amdhsa_system_sgpr_workgroup_info 0
		.amdhsa_system_vgpr_workitem_id 1
		.amdhsa_next_free_vgpr 100
		.amdhsa_next_free_sgpr 44
		.amdhsa_named_barrier_count 0
		.amdhsa_reserve_vcc 1
		.amdhsa_float_round_mode_32 0
		.amdhsa_float_round_mode_16_64 0
		.amdhsa_float_denorm_mode_32 3
		.amdhsa_float_denorm_mode_16_64 3
		.amdhsa_fp16_overflow 0
		.amdhsa_memory_ordered 1
		.amdhsa_forward_progress 1
		.amdhsa_inst_pref_size 19
		.amdhsa_round_robin_scheduling 0
		.amdhsa_exception_fp_ieee_invalid_op 0
		.amdhsa_exception_fp_denorm_src 0
		.amdhsa_exception_fp_ieee_div_zero 0
		.amdhsa_exception_fp_ieee_overflow 0
		.amdhsa_exception_fp_ieee_underflow 0
		.amdhsa_exception_fp_ieee_inexact 0
		.amdhsa_exception_int_div_zero 0
	.end_amdhsa_kernel
	.section	.text._ZN12_GLOBAL__N_127rocblas_gemm_batched_kernelIdLi16ELi16ELi64ELi64ELi4ELi64ELi4ELi4ELi64ELc78ELc84EKPKdS3_KPdEEvlllT_PT11_llS8_llS6_PT12_llPT13_lli,"axG",@progbits,_ZN12_GLOBAL__N_127rocblas_gemm_batched_kernelIdLi16ELi16ELi64ELi64ELi4ELi64ELi4ELi4ELi64ELc78ELc84EKPKdS3_KPdEEvlllT_PT11_llS8_llS6_PT12_llPT13_lli,comdat
.Lfunc_end3:
	.size	_ZN12_GLOBAL__N_127rocblas_gemm_batched_kernelIdLi16ELi16ELi64ELi64ELi4ELi64ELi4ELi4ELi64ELc78ELc84EKPKdS3_KPdEEvlllT_PT11_llS8_llS6_PT12_llPT13_lli, .Lfunc_end3-_ZN12_GLOBAL__N_127rocblas_gemm_batched_kernelIdLi16ELi16ELi64ELi64ELi4ELi64ELi4ELi4ELi64ELc78ELc84EKPKdS3_KPdEEvlllT_PT11_llS8_llS6_PT12_llPT13_lli
                                        ; -- End function
	.set _ZN12_GLOBAL__N_127rocblas_gemm_batched_kernelIdLi16ELi16ELi64ELi64ELi4ELi64ELi4ELi4ELi64ELc78ELc84EKPKdS3_KPdEEvlllT_PT11_llS8_llS6_PT12_llPT13_lli.num_vgpr, 100
	.set _ZN12_GLOBAL__N_127rocblas_gemm_batched_kernelIdLi16ELi16ELi64ELi64ELi4ELi64ELi4ELi4ELi64ELc78ELc84EKPKdS3_KPdEEvlllT_PT11_llS8_llS6_PT12_llPT13_lli.num_agpr, 0
	.set _ZN12_GLOBAL__N_127rocblas_gemm_batched_kernelIdLi16ELi16ELi64ELi64ELi4ELi64ELi4ELi4ELi64ELc78ELc84EKPKdS3_KPdEEvlllT_PT11_llS8_llS6_PT12_llPT13_lli.numbered_sgpr, 44
	.set _ZN12_GLOBAL__N_127rocblas_gemm_batched_kernelIdLi16ELi16ELi64ELi64ELi4ELi64ELi4ELi4ELi64ELc78ELc84EKPKdS3_KPdEEvlllT_PT11_llS8_llS6_PT12_llPT13_lli.num_named_barrier, 0
	.set _ZN12_GLOBAL__N_127rocblas_gemm_batched_kernelIdLi16ELi16ELi64ELi64ELi4ELi64ELi4ELi4ELi64ELc78ELc84EKPKdS3_KPdEEvlllT_PT11_llS8_llS6_PT12_llPT13_lli.private_seg_size, 0
	.set _ZN12_GLOBAL__N_127rocblas_gemm_batched_kernelIdLi16ELi16ELi64ELi64ELi4ELi64ELi4ELi4ELi64ELc78ELc84EKPKdS3_KPdEEvlllT_PT11_llS8_llS6_PT12_llPT13_lli.uses_vcc, 1
	.set _ZN12_GLOBAL__N_127rocblas_gemm_batched_kernelIdLi16ELi16ELi64ELi64ELi4ELi64ELi4ELi4ELi64ELc78ELc84EKPKdS3_KPdEEvlllT_PT11_llS8_llS6_PT12_llPT13_lli.uses_flat_scratch, 1
	.set _ZN12_GLOBAL__N_127rocblas_gemm_batched_kernelIdLi16ELi16ELi64ELi64ELi4ELi64ELi4ELi4ELi64ELc78ELc84EKPKdS3_KPdEEvlllT_PT11_llS8_llS6_PT12_llPT13_lli.has_dyn_sized_stack, 0
	.set _ZN12_GLOBAL__N_127rocblas_gemm_batched_kernelIdLi16ELi16ELi64ELi64ELi4ELi64ELi4ELi4ELi64ELc78ELc84EKPKdS3_KPdEEvlllT_PT11_llS8_llS6_PT12_llPT13_lli.has_recursion, 0
	.set _ZN12_GLOBAL__N_127rocblas_gemm_batched_kernelIdLi16ELi16ELi64ELi64ELi4ELi64ELi4ELi4ELi64ELc78ELc84EKPKdS3_KPdEEvlllT_PT11_llS8_llS6_PT12_llPT13_lli.has_indirect_call, 0
	.section	.AMDGPU.csdata,"",@progbits
; Kernel info:
; codeLenInByte = 2316
; TotalNumSgprs: 46
; NumVgprs: 100
; ScratchSize: 0
; MemoryBound: 0
; FloatMode: 240
; IeeeMode: 1
; LDSByteSize: 4096 bytes/workgroup (compile time only)
; SGPRBlocks: 0
; VGPRBlocks: 6
; NumSGPRsForWavesPerEU: 46
; NumVGPRsForWavesPerEU: 100
; NamedBarCnt: 0
; Occupancy: 9
; WaveLimiterHint : 1
; COMPUTE_PGM_RSRC2:SCRATCH_EN: 0
; COMPUTE_PGM_RSRC2:USER_SGPR: 2
; COMPUTE_PGM_RSRC2:TRAP_HANDLER: 0
; COMPUTE_PGM_RSRC2:TGID_X_EN: 1
; COMPUTE_PGM_RSRC2:TGID_Y_EN: 1
; COMPUTE_PGM_RSRC2:TGID_Z_EN: 1
; COMPUTE_PGM_RSRC2:TIDIG_COMP_CNT: 1
	.section	.text._ZN12_GLOBAL__N_127rocblas_gemm_batched_kernelIdLi16ELi16ELi64ELi64ELi4ELi64ELi4ELi4ELi64ELc84ELc84EKPKdS3_KPdEEvlllT_PT11_llS8_llS6_PT12_llPT13_lli,"axG",@progbits,_ZN12_GLOBAL__N_127rocblas_gemm_batched_kernelIdLi16ELi16ELi64ELi64ELi4ELi64ELi4ELi4ELi64ELc84ELc84EKPKdS3_KPdEEvlllT_PT11_llS8_llS6_PT12_llPT13_lli,comdat
	.globl	_ZN12_GLOBAL__N_127rocblas_gemm_batched_kernelIdLi16ELi16ELi64ELi64ELi4ELi64ELi4ELi4ELi64ELc84ELc84EKPKdS3_KPdEEvlllT_PT11_llS8_llS6_PT12_llPT13_lli ; -- Begin function _ZN12_GLOBAL__N_127rocblas_gemm_batched_kernelIdLi16ELi16ELi64ELi64ELi4ELi64ELi4ELi4ELi64ELc84ELc84EKPKdS3_KPdEEvlllT_PT11_llS8_llS6_PT12_llPT13_lli
	.p2align	8
	.type	_ZN12_GLOBAL__N_127rocblas_gemm_batched_kernelIdLi16ELi16ELi64ELi64ELi4ELi64ELi4ELi4ELi64ELc84ELc84EKPKdS3_KPdEEvlllT_PT11_llS8_llS6_PT12_llPT13_lli,@function
_ZN12_GLOBAL__N_127rocblas_gemm_batched_kernelIdLi16ELi16ELi64ELi64ELi4ELi64ELi4ELi4ELi64ELc84ELc84EKPKdS3_KPdEEvlllT_PT11_llS8_llS6_PT12_llPT13_lli: ; @_ZN12_GLOBAL__N_127rocblas_gemm_batched_kernelIdLi16ELi16ELi64ELi64ELi4ELi64ELi4ELi4ELi64ELc84ELc84EKPKdS3_KPdEEvlllT_PT11_llS8_llS6_PT12_llPT13_lli
; %bb.0:
	s_load_b32 s28, s[0:1], 0x88
	s_bfe_u32 s2, ttmp6, 0x40014
	s_lshr_b32 s3, ttmp7, 16
	s_add_co_i32 s2, s2, 1
	s_bfe_u32 s4, ttmp6, 0x40008
	s_mul_i32 s2, s3, s2
	s_getreg_b32 s29, hwreg(HW_REG_IB_STS2, 6, 4)
	s_add_co_i32 s4, s4, s2
	s_cmp_eq_u32 s29, 0
	s_cselect_b32 s2, s3, s4
	s_mov_b32 s3, 0
	s_wait_kmcnt 0x0
	s_cmp_ge_i32 s2, s28
	s_cbranch_scc1 .LBB4_11
; %bb.1:
	s_clause 0x2
	s_load_b512 s[4:19], s[0:1], 0x10
	s_load_b256 s[20:27], s[0:1], 0x70
	s_load_b256 s[36:43], s[0:1], 0x50
	v_bfe_u32 v2, v0, 10, 10
	v_and_b32_e32 v6, 0x3ff, v0
	s_wait_xcnt 0x0
	s_bfe_u32 s1, ttmp6, 0x4000c
	s_wait_kmcnt 0x0
	s_bfe_u32 s26, ttmp6, 0x40010
	s_add_co_i32 s1, s1, 1
	s_and_b32 s27, ttmp7, 0xffff
	s_add_co_i32 s26, s26, 1
	s_and_b32 s0, ttmp6, 15
	s_mul_i32 s1, ttmp9, s1
	s_mul_i32 s26, s27, s26
	s_bfe_u32 s30, ttmp6, 0x40004
	v_lshl_add_u32 v14, v2, 4, v6
	s_add_co_i32 s0, s0, s1
	s_add_co_i32 s30, s30, s26
	s_cmp_eq_u32 s29, 0
	v_dual_mov_b32 v3, 0 :: v_dual_bitop2_b32 v15, 3, v0 bitop3:0x40
	s_cselect_b32 s0, ttmp9, s0
	v_dual_lshrrev_b32 v8, 2, v14 :: v_dual_bitop2_b32 v16, 63, v14 bitop3:0x40
	s_cselect_b32 s29, s27, s30
	s_ashr_i32 s1, s0, 31
	v_mov_b32_e32 v7, v3
	s_lshl_b64 s[26:27], s[0:1], 6
	s_delay_alu instid0(SALU_CYCLE_1) | instskip(SKIP_3) | instid1(VALU_DEP_4)
	v_dual_mov_b32 v9, v3 :: v_dual_bitop2_b32 v0, s26, v16 bitop3:0x54
	v_mov_b32_e32 v1, s27
	v_cmp_eq_f64_e64 s1, s[36:37], 0
	v_lshlrev_b32_e32 v52, 3, v6
	v_mad_nc_u64_u32 v[10:11], s16, v15, v[8:9]
	v_lshlrev_b32_e32 v9, 3, v15
	v_mul_u64_e32 v[12:13], s[10:11], v[0:1]
	s_lshl_b32 s10, s29, 6
	s_mov_b32 s11, s3
	v_dual_lshrrev_b32 v17, 6, v14 :: v_dual_lshlrev_b32 v16, 3, v16
	v_add_nc_u64_e32 v[4:5], s[10:11], v[2:3]
	v_lshl_or_b32 v8, v8, 5, v9
	v_cmp_gt_i64_e64 s0, s[4:5], 0
	v_lshl_add_u32 v53, v2, 5, 0x800
	v_mad_u32 v11, s17, v15, v11
	v_add_nc_u64_e32 v[14:15], s[26:27], v[6:7]
	v_lshlrev_b32_e32 v2, 3, v17
	v_mul_u64_e32 v[0:1], s[22:23], v[4:5]
	v_mul_u64_e32 v[4:5], s[40:41], v[4:5]
	v_add_nc_u32_e32 v55, 0x800, v8
	v_lshl_or_b32 v54, v17, 9, v16
	s_lshl_b64 s[22:23], s[22:23], 4
	s_lshl_b64 s[26:27], s[40:41], 4
	;; [unrolled: 1-line block ×3, first 2 shown]
	v_add_nc_u64_e32 v[10:11], s[10:11], v[10:11]
	s_lshl_b64 s[10:11], s[12:13], 3
	s_lshl_b64 s[12:13], s[24:25], 3
	s_delay_alu instid0(VALU_DEP_1) | instskip(SKIP_3) | instid1(VALU_DEP_4)
	v_lshlrev_b64_e32 v[6:7], 3, v[10:11]
	v_lshlrev_b64_e32 v[10:11], 3, v[14:15]
	v_lshl_add_u64 v[8:9], v[12:13], 3, s[10:11]
	v_cndmask_b32_e64 v12, 0, 1, s0
	v_lshl_add_u64 v[6:7], s[18:19], 3, v[6:7]
	s_lshl_b64 s[10:11], s[16:17], 5
	s_lshl_b64 s[16:17], s[42:43], 3
	v_add_nc_u64_e32 v[8:9], v[8:9], v[2:3]
	v_cmp_ne_u32_e64 s0, 1, v12
	s_lshl_b64 s[18:19], s[26:27], 3
	s_branch .LBB4_3
.LBB4_2:                                ;   in Loop: Header=BB4_3 Depth=1
	s_add_co_i32 s2, s2, 0x10000
	s_delay_alu instid0(SALU_CYCLE_1)
	s_cmp_lt_i32 s2, s28
	s_cbranch_scc0 .LBB4_11
.LBB4_3:                                ; =>This Loop Header: Depth=1
                                        ;     Child Loop BB4_5 Depth 2
	s_wait_xcnt 0x0
	v_mov_b32_e32 v2, s2
	s_and_b32 vcc_lo, exec_lo, s0
	s_clause 0x1
	global_load_b64 v[30:31], v2, s[38:39] scale_offset
	global_load_b64 v[46:47], v2, s[20:21] scale_offset
	s_cbranch_vccnz .LBB4_6
; %bb.4:                                ;   in Loop: Header=BB4_3 Depth=1
	s_lshl_b64 s[24:25], s[2:3], 3
	v_mov_b64_e32 v[12:13], 0
	s_add_nc_u64 s[26:27], s[14:15], s[24:25]
	s_add_nc_u64 s[24:25], s[8:9], s[24:25]
	s_clause 0x1
	global_load_b64 v[44:45], v3, s[26:27]
	global_load_b64 v[50:51], v3, s[24:25]
	s_wait_xcnt 0x4
	v_mov_b64_e32 v[14:15], 0
	v_mov_b64_e32 v[16:17], 0
	;; [unrolled: 1-line block ×14, first 2 shown]
	s_wait_xcnt 0x0
	s_mov_b64 s[24:25], 0
	s_wait_loadcnt 0x1
	v_add_nc_u64_e32 v[48:49], v[44:45], v[6:7]
	s_wait_loadcnt 0x0
	v_add_nc_u64_e32 v[50:51], v[50:51], v[8:9]
	v_mov_b64_e32 v[44:45], 0
.LBB4_5:                                ;   Parent Loop BB4_3 Depth=1
                                        ; =>  This Inner Loop Header: Depth=2
	flat_load_b64 v[56:57], v[50:51]
	s_add_nc_u64 s[24:25], s[24:25], 4
	s_wait_xcnt 0x0
	v_add_nc_u64_e32 v[50:51], 32, v[50:51]
	v_cmp_lt_i64_e64 s26, s[24:25], s[4:5]
	s_and_b32 vcc_lo, exec_lo, s26
	s_wait_loadcnt_dscnt 0x0
	ds_store_b64 v54, v[56:57]
	flat_load_b64 v[56:57], v[48:49]
	s_wait_xcnt 0x0
	v_add_nc_u64_e32 v[48:49], s[10:11], v[48:49]
	s_wait_loadcnt_dscnt 0x0
	ds_store_b64 v55, v[56:57]
	s_wait_dscnt 0x0
	s_barrier_signal -1
	s_barrier_wait -1
	ds_load_b128 v[56:59], v53
	ds_load_2addr_b64 v[60:63], v52 offset1:16
	ds_load_b128 v[64:67], v53 offset:512
	ds_load_2addr_b64 v[68:71], v52 offset0:32 offset1:48
	ds_load_b128 v[72:75], v53 offset:1024
	ds_load_b128 v[76:79], v53 offset:1536
	ds_load_2addr_b64 v[80:83], v52 offset0:64 offset1:80
	ds_load_b128 v[84:87], v53 offset:16
	ds_load_b128 v[88:91], v53 offset:528
	;; [unrolled: 1-line block ×4, first 2 shown]
	s_wait_dscnt 0x9
	v_fmac_f64_e32 v[44:45], v[60:61], v[56:57]
	v_fmac_f64_e32 v[42:43], v[62:63], v[56:57]
	s_wait_dscnt 0x8
	v_fmac_f64_e32 v[36:37], v[60:61], v[64:65]
	v_fmac_f64_e32 v[34:35], v[62:63], v[64:65]
	;; [unrolled: 3-line block ×4, first 2 shown]
	v_fmac_f64_e32 v[32:33], v[68:69], v[64:65]
	v_fmac_f64_e32 v[28:29], v[70:71], v[64:65]
	s_wait_dscnt 0x5
	v_fmac_f64_e32 v[18:19], v[60:61], v[76:77]
	v_fmac_f64_e32 v[16:17], v[62:63], v[76:77]
	;; [unrolled: 1-line block ×6, first 2 shown]
	ds_load_2addr_b64 v[60:63], v52 offset0:96 offset1:112
	ds_load_2addr_b64 v[68:71], v52 offset0:128 offset1:144
	s_wait_dscnt 0x6
	v_fmac_f64_e32 v[44:45], v[80:81], v[58:59]
	v_fmac_f64_e32 v[42:43], v[82:83], v[58:59]
	;; [unrolled: 1-line block ×4, first 2 shown]
	s_wait_dscnt 0x1
	v_fmac_f64_e32 v[40:41], v[60:61], v[58:59]
	v_fmac_f64_e32 v[38:39], v[62:63], v[58:59]
	;; [unrolled: 1-line block ×12, first 2 shown]
	ds_load_2addr_b64 v[56:59], v52 offset0:160 offset1:176
	ds_load_2addr_b64 v[60:63], v52 offset0:192 offset1:208
	s_wait_dscnt 0x2
	v_fmac_f64_e32 v[44:45], v[68:69], v[84:85]
	v_fmac_f64_e32 v[42:43], v[70:71], v[84:85]
	;; [unrolled: 1-line block ×4, first 2 shown]
	s_wait_dscnt 0x1
	v_fmac_f64_e32 v[40:41], v[56:57], v[84:85]
	v_fmac_f64_e32 v[38:39], v[58:59], v[84:85]
	;; [unrolled: 1-line block ×12, first 2 shown]
	ds_load_2addr_b64 v[56:59], v52 offset0:224 offset1:240
	s_wait_dscnt 0x0
	s_barrier_signal -1
	s_barrier_wait -1
	v_fmac_f64_e32 v[44:45], v[60:61], v[86:87]
	v_fmac_f64_e32 v[42:43], v[62:63], v[86:87]
	;; [unrolled: 1-line block ×16, first 2 shown]
	s_cbranch_vccnz .LBB4_5
	s_branch .LBB4_7
.LBB4_6:                                ;   in Loop: Header=BB4_3 Depth=1
	v_mov_b64_e32 v[44:45], 0
	v_mov_b64_e32 v[42:43], 0
	v_mov_b64_e32 v[40:41], 0
	v_mov_b64_e32 v[38:39], 0
	v_mov_b64_e32 v[36:37], 0
	v_mov_b64_e32 v[34:35], 0
	v_mov_b64_e32 v[32:33], 0
	v_mov_b64_e32 v[28:29], 0
	v_mov_b64_e32 v[26:27], 0
	v_mov_b64_e32 v[24:25], 0
	s_wait_xcnt 0x6
	v_mov_b64_e32 v[22:23], 0
	s_wait_xcnt 0x3
	v_mov_b64_e32 v[20:21], 0
	s_wait_xcnt 0x2
	v_mov_b64_e32 v[18:19], 0
	v_mov_b64_e32 v[16:17], 0
	v_mov_b64_e32 v[14:15], 0
	;; [unrolled: 1-line block ×3, first 2 shown]
.LBB4_7:                                ;   in Loop: Header=BB4_3 Depth=1
	s_wait_loadcnt 0x0
	v_add_nc_u64_e32 v[46:47], s[12:13], v[46:47]
	s_and_not1_b32 vcc_lo, exec_lo, s1
	s_delay_alu instid0(VALU_DEP_1) | instskip(NEXT) | instid1(VALU_DEP_1)
	v_lshl_add_u64 v[46:47], v[0:1], 3, v[46:47]
	v_add_nc_u64_e32 v[48:49], v[46:47], v[10:11]
	v_add_nc_u64_e32 v[46:47], s[22:23], v[46:47]
	s_cbranch_vccnz .LBB4_9
; %bb.8:                                ;   in Loop: Header=BB4_3 Depth=1
	v_mul_f64_e32 v[50:51], s[6:7], v[44:45]
	v_mul_f64_e32 v[78:79], s[6:7], v[18:19]
	v_mul_f64_e32 v[56:57], s[6:7], v[42:43]
	v_mul_f64_e32 v[80:81], s[6:7], v[16:17]
	v_mul_f64_e32 v[58:59], s[6:7], v[40:41]
	v_mul_f64_e32 v[82:83], s[6:7], v[14:15]
	v_mul_f64_e32 v[60:61], s[6:7], v[38:39]
	v_mul_f64_e32 v[84:85], s[6:7], v[12:13]
	v_mul_f64_e32 v[62:63], s[6:7], v[36:37]
	v_mul_f64_e32 v[64:65], s[6:7], v[34:35]
	v_mul_f64_e32 v[66:67], s[6:7], v[32:33]
	v_mul_f64_e32 v[68:69], s[6:7], v[28:29]
	v_mul_f64_e32 v[70:71], s[6:7], v[26:27]
	v_mul_f64_e32 v[72:73], s[6:7], v[24:25]
	v_mul_f64_e32 v[74:75], s[6:7], v[22:23]
	v_mul_f64_e32 v[76:77], s[6:7], v[20:21]
	v_add_nc_u64_e32 v[86:87], s[22:23], v[46:47]
	v_add_nc_u64_e32 v[90:91], v[46:47], v[10:11]
	s_delay_alu instid0(VALU_DEP_2)
	v_add_nc_u64_e32 v[88:89], s[22:23], v[86:87]
	v_add_nc_u64_e32 v[86:87], v[86:87], v[10:11]
	s_clause 0xb
	flat_store_b64 v[48:49], v[50:51]
	flat_store_b64 v[48:49], v[56:57] offset:128
	flat_store_b64 v[48:49], v[58:59] offset:256
	flat_store_b64 v[48:49], v[60:61] offset:384
	flat_store_b64 v[90:91], v[62:63]
	flat_store_b64 v[90:91], v[64:65] offset:128
	flat_store_b64 v[90:91], v[66:67] offset:256
	flat_store_b64 v[90:91], v[68:69] offset:384
	flat_store_b64 v[86:87], v[70:71]
	flat_store_b64 v[86:87], v[72:73] offset:128
	flat_store_b64 v[86:87], v[74:75] offset:256
	flat_store_b64 v[86:87], v[76:77] offset:384
	v_add_nc_u64_e32 v[88:89], v[88:89], v[10:11]
	s_clause 0x3
	flat_store_b64 v[88:89], v[78:79]
	flat_store_b64 v[88:89], v[80:81] offset:128
	flat_store_b64 v[88:89], v[82:83] offset:256
	;; [unrolled: 1-line block ×3, first 2 shown]
	s_cbranch_execnz .LBB4_2
	s_branch .LBB4_10
.LBB4_9:                                ;   in Loop: Header=BB4_3 Depth=1
.LBB4_10:                               ;   in Loop: Header=BB4_3 Depth=1
	v_add_nc_u64_e32 v[30:31], s[16:17], v[30:31]
	s_delay_alu instid0(VALU_DEP_1) | instskip(SKIP_1) | instid1(VALU_DEP_1)
	v_lshl_add_u64 v[30:31], v[4:5], 3, v[30:31]
	s_wait_xcnt 0xf
	v_add_nc_u64_e32 v[50:51], v[30:31], v[10:11]
	v_add_nc_u64_e32 v[30:31], s[18:19], v[30:31]
	flat_load_b64 v[56:57], v[50:51]
	s_wait_loadcnt_dscnt 0x0
	v_mul_f64_e32 v[56:57], s[36:37], v[56:57]
	s_delay_alu instid0(VALU_DEP_1) | instskip(SKIP_4) | instid1(VALU_DEP_1)
	v_fmac_f64_e32 v[56:57], s[6:7], v[44:45]
	flat_store_b64 v[48:49], v[56:57]
	flat_load_b64 v[44:45], v[50:51] offset:128
	s_wait_loadcnt_dscnt 0x0
	v_mul_f64_e32 v[44:45], s[36:37], v[44:45]
	v_fmac_f64_e32 v[44:45], s[6:7], v[42:43]
	flat_store_b64 v[48:49], v[44:45] offset:128
	flat_load_b64 v[42:43], v[50:51] offset:256
	s_wait_loadcnt_dscnt 0x0
	v_mul_f64_e32 v[42:43], s[36:37], v[42:43]
	s_delay_alu instid0(VALU_DEP_1) | instskip(SKIP_4) | instid1(VALU_DEP_1)
	v_fmac_f64_e32 v[42:43], s[6:7], v[40:41]
	flat_store_b64 v[48:49], v[42:43] offset:256
	flat_load_b64 v[40:41], v[50:51] offset:384
	s_wait_loadcnt_dscnt 0x0
	v_mul_f64_e32 v[40:41], s[36:37], v[40:41]
	v_fmac_f64_e32 v[40:41], s[6:7], v[38:39]
	v_add_nc_u64_e32 v[38:39], v[30:31], v[10:11]
	flat_store_b64 v[48:49], v[40:41] offset:384
	flat_load_b64 v[40:41], v[38:39]
	s_wait_loadcnt_dscnt 0x0
	v_mul_f64_e32 v[40:41], s[36:37], v[40:41]
	s_delay_alu instid0(VALU_DEP_1)
	v_fmac_f64_e32 v[40:41], s[6:7], v[36:37]
	v_add_nc_u64_e32 v[36:37], v[46:47], v[10:11]
	flat_store_b64 v[36:37], v[40:41]
	flat_load_b64 v[40:41], v[38:39] offset:128
	s_wait_loadcnt_dscnt 0x0
	v_mul_f64_e32 v[40:41], s[36:37], v[40:41]
	s_delay_alu instid0(VALU_DEP_1) | instskip(SKIP_4) | instid1(VALU_DEP_1)
	v_fmac_f64_e32 v[40:41], s[6:7], v[34:35]
	flat_store_b64 v[36:37], v[40:41] offset:128
	flat_load_b64 v[34:35], v[38:39] offset:256
	s_wait_loadcnt_dscnt 0x0
	v_mul_f64_e32 v[34:35], s[36:37], v[34:35]
	v_fmac_f64_e32 v[34:35], s[6:7], v[32:33]
	flat_store_b64 v[36:37], v[34:35] offset:256
	flat_load_b64 v[32:33], v[38:39] offset:384
	s_wait_loadcnt_dscnt 0x0
	v_mul_f64_e32 v[32:33], s[36:37], v[32:33]
	s_delay_alu instid0(VALU_DEP_1) | instskip(SKIP_1) | instid1(VALU_DEP_1)
	v_fmac_f64_e32 v[32:33], s[6:7], v[28:29]
	v_add_nc_u64_e32 v[28:29], s[18:19], v[30:31]
	v_add_nc_u64_e32 v[30:31], v[28:29], v[10:11]
	flat_store_b64 v[36:37], v[32:33] offset:384
	flat_load_b64 v[32:33], v[30:31]
	s_wait_loadcnt_dscnt 0x0
	v_mul_f64_e32 v[32:33], s[36:37], v[32:33]
	s_delay_alu instid0(VALU_DEP_1) | instskip(SKIP_1) | instid1(VALU_DEP_1)
	v_fmac_f64_e32 v[32:33], s[6:7], v[26:27]
	v_add_nc_u64_e32 v[26:27], s[22:23], v[46:47]
	v_add_nc_u64_e32 v[34:35], v[26:27], v[10:11]
	flat_store_b64 v[34:35], v[32:33]
	flat_load_b64 v[32:33], v[30:31] offset:128
	s_wait_loadcnt_dscnt 0x0
	v_mul_f64_e32 v[32:33], s[36:37], v[32:33]
	s_delay_alu instid0(VALU_DEP_1) | instskip(SKIP_4) | instid1(VALU_DEP_1)
	v_fmac_f64_e32 v[32:33], s[6:7], v[24:25]
	flat_store_b64 v[34:35], v[32:33] offset:128
	flat_load_b64 v[24:25], v[30:31] offset:256
	s_wait_loadcnt_dscnt 0x0
	v_mul_f64_e32 v[24:25], s[36:37], v[24:25]
	v_fmac_f64_e32 v[24:25], s[6:7], v[22:23]
	flat_store_b64 v[34:35], v[24:25] offset:256
	flat_load_b64 v[22:23], v[30:31] offset:384
	s_wait_loadcnt_dscnt 0x0
	v_mul_f64_e32 v[22:23], s[36:37], v[22:23]
	s_delay_alu instid0(VALU_DEP_1) | instskip(SKIP_1) | instid1(VALU_DEP_1)
	v_fmac_f64_e32 v[22:23], s[6:7], v[20:21]
	v_add_nc_u64_e32 v[20:21], s[18:19], v[28:29]
	v_add_nc_u64_e32 v[20:21], v[20:21], v[10:11]
	flat_store_b64 v[34:35], v[22:23] offset:384
	flat_load_b64 v[22:23], v[20:21]
	s_wait_loadcnt_dscnt 0x0
	v_mul_f64_e32 v[22:23], s[36:37], v[22:23]
	s_delay_alu instid0(VALU_DEP_1) | instskip(SKIP_1) | instid1(VALU_DEP_1)
	v_fmac_f64_e32 v[22:23], s[6:7], v[18:19]
	v_add_nc_u64_e32 v[18:19], s[22:23], v[26:27]
	v_add_nc_u64_e32 v[18:19], v[18:19], v[10:11]
	flat_store_b64 v[18:19], v[22:23]
	flat_load_b64 v[22:23], v[20:21] offset:128
	s_wait_loadcnt_dscnt 0x0
	v_mul_f64_e32 v[22:23], s[36:37], v[22:23]
	s_delay_alu instid0(VALU_DEP_1) | instskip(SKIP_4) | instid1(VALU_DEP_1)
	v_fmac_f64_e32 v[22:23], s[6:7], v[16:17]
	flat_store_b64 v[18:19], v[22:23] offset:128
	flat_load_b64 v[16:17], v[20:21] offset:256
	s_wait_loadcnt_dscnt 0x0
	v_mul_f64_e32 v[16:17], s[36:37], v[16:17]
	v_fmac_f64_e32 v[16:17], s[6:7], v[14:15]
	flat_store_b64 v[18:19], v[16:17] offset:256
	flat_load_b64 v[14:15], v[20:21] offset:384
	s_wait_loadcnt_dscnt 0x0
	v_mul_f64_e32 v[14:15], s[36:37], v[14:15]
	s_delay_alu instid0(VALU_DEP_1)
	v_fmac_f64_e32 v[14:15], s[6:7], v[12:13]
	flat_store_b64 v[18:19], v[14:15] offset:384
	s_branch .LBB4_2
.LBB4_11:
	s_sendmsg sendmsg(MSG_DEALLOC_VGPRS)
	s_endpgm
	.section	.rodata,"a",@progbits
	.p2align	6, 0x0
	.amdhsa_kernel _ZN12_GLOBAL__N_127rocblas_gemm_batched_kernelIdLi16ELi16ELi64ELi64ELi4ELi64ELi4ELi4ELi64ELc84ELc84EKPKdS3_KPdEEvlllT_PT11_llS8_llS6_PT12_llPT13_lli
		.amdhsa_group_segment_fixed_size 4096
		.amdhsa_private_segment_fixed_size 0
		.amdhsa_kernarg_size 140
		.amdhsa_user_sgpr_count 2
		.amdhsa_user_sgpr_dispatch_ptr 0
		.amdhsa_user_sgpr_queue_ptr 0
		.amdhsa_user_sgpr_kernarg_segment_ptr 1
		.amdhsa_user_sgpr_dispatch_id 0
		.amdhsa_user_sgpr_kernarg_preload_length 0
		.amdhsa_user_sgpr_kernarg_preload_offset 0
		.amdhsa_user_sgpr_private_segment_size 0
		.amdhsa_wavefront_size32 1
		.amdhsa_uses_dynamic_stack 0
		.amdhsa_enable_private_segment 0
		.amdhsa_system_sgpr_workgroup_id_x 1
		.amdhsa_system_sgpr_workgroup_id_y 1
		.amdhsa_system_sgpr_workgroup_id_z 1
		.amdhsa_system_sgpr_workgroup_info 0
		.amdhsa_system_vgpr_workitem_id 1
		.amdhsa_next_free_vgpr 100
		.amdhsa_next_free_sgpr 44
		.amdhsa_named_barrier_count 0
		.amdhsa_reserve_vcc 1
		.amdhsa_float_round_mode_32 0
		.amdhsa_float_round_mode_16_64 0
		.amdhsa_float_denorm_mode_32 3
		.amdhsa_float_denorm_mode_16_64 3
		.amdhsa_fp16_overflow 0
		.amdhsa_memory_ordered 1
		.amdhsa_forward_progress 1
		.amdhsa_inst_pref_size 18
		.amdhsa_round_robin_scheduling 0
		.amdhsa_exception_fp_ieee_invalid_op 0
		.amdhsa_exception_fp_denorm_src 0
		.amdhsa_exception_fp_ieee_div_zero 0
		.amdhsa_exception_fp_ieee_overflow 0
		.amdhsa_exception_fp_ieee_underflow 0
		.amdhsa_exception_fp_ieee_inexact 0
		.amdhsa_exception_int_div_zero 0
	.end_amdhsa_kernel
	.section	.text._ZN12_GLOBAL__N_127rocblas_gemm_batched_kernelIdLi16ELi16ELi64ELi64ELi4ELi64ELi4ELi4ELi64ELc84ELc84EKPKdS3_KPdEEvlllT_PT11_llS8_llS6_PT12_llPT13_lli,"axG",@progbits,_ZN12_GLOBAL__N_127rocblas_gemm_batched_kernelIdLi16ELi16ELi64ELi64ELi4ELi64ELi4ELi4ELi64ELc84ELc84EKPKdS3_KPdEEvlllT_PT11_llS8_llS6_PT12_llPT13_lli,comdat
.Lfunc_end4:
	.size	_ZN12_GLOBAL__N_127rocblas_gemm_batched_kernelIdLi16ELi16ELi64ELi64ELi4ELi64ELi4ELi4ELi64ELc84ELc84EKPKdS3_KPdEEvlllT_PT11_llS8_llS6_PT12_llPT13_lli, .Lfunc_end4-_ZN12_GLOBAL__N_127rocblas_gemm_batched_kernelIdLi16ELi16ELi64ELi64ELi4ELi64ELi4ELi4ELi64ELc84ELc84EKPKdS3_KPdEEvlllT_PT11_llS8_llS6_PT12_llPT13_lli
                                        ; -- End function
	.set _ZN12_GLOBAL__N_127rocblas_gemm_batched_kernelIdLi16ELi16ELi64ELi64ELi4ELi64ELi4ELi4ELi64ELc84ELc84EKPKdS3_KPdEEvlllT_PT11_llS8_llS6_PT12_llPT13_lli.num_vgpr, 100
	.set _ZN12_GLOBAL__N_127rocblas_gemm_batched_kernelIdLi16ELi16ELi64ELi64ELi4ELi64ELi4ELi4ELi64ELc84ELc84EKPKdS3_KPdEEvlllT_PT11_llS8_llS6_PT12_llPT13_lli.num_agpr, 0
	.set _ZN12_GLOBAL__N_127rocblas_gemm_batched_kernelIdLi16ELi16ELi64ELi64ELi4ELi64ELi4ELi4ELi64ELc84ELc84EKPKdS3_KPdEEvlllT_PT11_llS8_llS6_PT12_llPT13_lli.numbered_sgpr, 44
	.set _ZN12_GLOBAL__N_127rocblas_gemm_batched_kernelIdLi16ELi16ELi64ELi64ELi4ELi64ELi4ELi4ELi64ELc84ELc84EKPKdS3_KPdEEvlllT_PT11_llS8_llS6_PT12_llPT13_lli.num_named_barrier, 0
	.set _ZN12_GLOBAL__N_127rocblas_gemm_batched_kernelIdLi16ELi16ELi64ELi64ELi4ELi64ELi4ELi4ELi64ELc84ELc84EKPKdS3_KPdEEvlllT_PT11_llS8_llS6_PT12_llPT13_lli.private_seg_size, 0
	.set _ZN12_GLOBAL__N_127rocblas_gemm_batched_kernelIdLi16ELi16ELi64ELi64ELi4ELi64ELi4ELi4ELi64ELc84ELc84EKPKdS3_KPdEEvlllT_PT11_llS8_llS6_PT12_llPT13_lli.uses_vcc, 1
	.set _ZN12_GLOBAL__N_127rocblas_gemm_batched_kernelIdLi16ELi16ELi64ELi64ELi4ELi64ELi4ELi4ELi64ELc84ELc84EKPKdS3_KPdEEvlllT_PT11_llS8_llS6_PT12_llPT13_lli.uses_flat_scratch, 1
	.set _ZN12_GLOBAL__N_127rocblas_gemm_batched_kernelIdLi16ELi16ELi64ELi64ELi4ELi64ELi4ELi4ELi64ELc84ELc84EKPKdS3_KPdEEvlllT_PT11_llS8_llS6_PT12_llPT13_lli.has_dyn_sized_stack, 0
	.set _ZN12_GLOBAL__N_127rocblas_gemm_batched_kernelIdLi16ELi16ELi64ELi64ELi4ELi64ELi4ELi4ELi64ELc84ELc84EKPKdS3_KPdEEvlllT_PT11_llS8_llS6_PT12_llPT13_lli.has_recursion, 0
	.set _ZN12_GLOBAL__N_127rocblas_gemm_batched_kernelIdLi16ELi16ELi64ELi64ELi4ELi64ELi4ELi4ELi64ELc84ELc84EKPKdS3_KPdEEvlllT_PT11_llS8_llS6_PT12_llPT13_lli.has_indirect_call, 0
	.section	.AMDGPU.csdata,"",@progbits
; Kernel info:
; codeLenInByte = 2300
; TotalNumSgprs: 46
; NumVgprs: 100
; ScratchSize: 0
; MemoryBound: 0
; FloatMode: 240
; IeeeMode: 1
; LDSByteSize: 4096 bytes/workgroup (compile time only)
; SGPRBlocks: 0
; VGPRBlocks: 6
; NumSGPRsForWavesPerEU: 46
; NumVGPRsForWavesPerEU: 100
; NamedBarCnt: 0
; Occupancy: 9
; WaveLimiterHint : 1
; COMPUTE_PGM_RSRC2:SCRATCH_EN: 0
; COMPUTE_PGM_RSRC2:USER_SGPR: 2
; COMPUTE_PGM_RSRC2:TRAP_HANDLER: 0
; COMPUTE_PGM_RSRC2:TGID_X_EN: 1
; COMPUTE_PGM_RSRC2:TGID_Y_EN: 1
; COMPUTE_PGM_RSRC2:TGID_Z_EN: 1
; COMPUTE_PGM_RSRC2:TIDIG_COMP_CNT: 1
	.section	.text._ZN12_GLOBAL__N_127rocblas_gemm_batched_kernelIdLi16ELi16ELi64ELi64ELi4ELi64ELi4ELi4ELi64ELc67ELc67EKPKdS3_KPdEEvlllT_PT11_llS8_llS6_PT12_llPT13_lli,"axG",@progbits,_ZN12_GLOBAL__N_127rocblas_gemm_batched_kernelIdLi16ELi16ELi64ELi64ELi4ELi64ELi4ELi4ELi64ELc67ELc67EKPKdS3_KPdEEvlllT_PT11_llS8_llS6_PT12_llPT13_lli,comdat
	.globl	_ZN12_GLOBAL__N_127rocblas_gemm_batched_kernelIdLi16ELi16ELi64ELi64ELi4ELi64ELi4ELi4ELi64ELc67ELc67EKPKdS3_KPdEEvlllT_PT11_llS8_llS6_PT12_llPT13_lli ; -- Begin function _ZN12_GLOBAL__N_127rocblas_gemm_batched_kernelIdLi16ELi16ELi64ELi64ELi4ELi64ELi4ELi4ELi64ELc67ELc67EKPKdS3_KPdEEvlllT_PT11_llS8_llS6_PT12_llPT13_lli
	.p2align	8
	.type	_ZN12_GLOBAL__N_127rocblas_gemm_batched_kernelIdLi16ELi16ELi64ELi64ELi4ELi64ELi4ELi4ELi64ELc67ELc67EKPKdS3_KPdEEvlllT_PT11_llS8_llS6_PT12_llPT13_lli,@function
_ZN12_GLOBAL__N_127rocblas_gemm_batched_kernelIdLi16ELi16ELi64ELi64ELi4ELi64ELi4ELi4ELi64ELc67ELc67EKPKdS3_KPdEEvlllT_PT11_llS8_llS6_PT12_llPT13_lli: ; @_ZN12_GLOBAL__N_127rocblas_gemm_batched_kernelIdLi16ELi16ELi64ELi64ELi4ELi64ELi4ELi4ELi64ELc67ELc67EKPKdS3_KPdEEvlllT_PT11_llS8_llS6_PT12_llPT13_lli
; %bb.0:
	s_load_b32 s28, s[0:1], 0x88
	s_bfe_u32 s2, ttmp6, 0x40014
	s_lshr_b32 s3, ttmp7, 16
	s_add_co_i32 s2, s2, 1
	s_bfe_u32 s4, ttmp6, 0x40008
	s_mul_i32 s2, s3, s2
	s_getreg_b32 s29, hwreg(HW_REG_IB_STS2, 6, 4)
	s_add_co_i32 s4, s4, s2
	s_cmp_eq_u32 s29, 0
	s_cselect_b32 s2, s3, s4
	s_mov_b32 s3, 0
	s_wait_kmcnt 0x0
	s_cmp_ge_i32 s2, s28
	s_cbranch_scc1 .LBB5_11
; %bb.1:
	s_clause 0x2
	s_load_b512 s[4:19], s[0:1], 0x10
	s_load_b256 s[20:27], s[0:1], 0x70
	s_load_b256 s[36:43], s[0:1], 0x50
	v_bfe_u32 v2, v0, 10, 10
	v_and_b32_e32 v6, 0x3ff, v0
	s_wait_xcnt 0x0
	s_bfe_u32 s1, ttmp6, 0x4000c
	s_wait_kmcnt 0x0
	s_bfe_u32 s26, ttmp6, 0x40010
	s_add_co_i32 s1, s1, 1
	s_and_b32 s27, ttmp7, 0xffff
	s_add_co_i32 s26, s26, 1
	s_and_b32 s0, ttmp6, 15
	s_mul_i32 s1, ttmp9, s1
	s_mul_i32 s26, s27, s26
	s_bfe_u32 s30, ttmp6, 0x40004
	v_lshl_add_u32 v14, v2, 4, v6
	s_add_co_i32 s0, s0, s1
	s_add_co_i32 s30, s30, s26
	s_cmp_eq_u32 s29, 0
	v_dual_mov_b32 v3, 0 :: v_dual_bitop2_b32 v15, 3, v0 bitop3:0x40
	s_cselect_b32 s0, ttmp9, s0
	v_dual_lshrrev_b32 v8, 2, v14 :: v_dual_bitop2_b32 v16, 63, v14 bitop3:0x40
	s_cselect_b32 s29, s27, s30
	s_ashr_i32 s1, s0, 31
	v_mov_b32_e32 v7, v3
	s_lshl_b64 s[26:27], s[0:1], 6
	s_delay_alu instid0(SALU_CYCLE_1) | instskip(SKIP_3) | instid1(VALU_DEP_4)
	v_dual_mov_b32 v9, v3 :: v_dual_bitop2_b32 v0, s26, v16 bitop3:0x54
	v_mov_b32_e32 v1, s27
	v_cmp_eq_f64_e64 s1, s[36:37], 0
	v_lshlrev_b32_e32 v52, 3, v6
	v_mad_nc_u64_u32 v[10:11], s16, v15, v[8:9]
	v_lshlrev_b32_e32 v9, 3, v15
	v_mul_u64_e32 v[12:13], s[10:11], v[0:1]
	s_lshl_b32 s10, s29, 6
	s_mov_b32 s11, s3
	v_dual_lshrrev_b32 v17, 6, v14 :: v_dual_lshlrev_b32 v16, 3, v16
	v_add_nc_u64_e32 v[4:5], s[10:11], v[2:3]
	v_lshl_or_b32 v8, v8, 5, v9
	v_cmp_gt_i64_e64 s0, s[4:5], 0
	v_lshl_add_u32 v53, v2, 5, 0x800
	v_mad_u32 v11, s17, v15, v11
	v_add_nc_u64_e32 v[14:15], s[26:27], v[6:7]
	v_lshlrev_b32_e32 v2, 3, v17
	v_mul_u64_e32 v[0:1], s[22:23], v[4:5]
	v_mul_u64_e32 v[4:5], s[40:41], v[4:5]
	v_add_nc_u32_e32 v55, 0x800, v8
	v_lshl_or_b32 v54, v17, 9, v16
	s_lshl_b64 s[22:23], s[22:23], 4
	s_lshl_b64 s[26:27], s[40:41], 4
	;; [unrolled: 1-line block ×3, first 2 shown]
	v_add_nc_u64_e32 v[10:11], s[10:11], v[10:11]
	s_lshl_b64 s[10:11], s[12:13], 3
	s_lshl_b64 s[12:13], s[24:25], 3
	s_delay_alu instid0(VALU_DEP_1) | instskip(SKIP_3) | instid1(VALU_DEP_4)
	v_lshlrev_b64_e32 v[6:7], 3, v[10:11]
	v_lshlrev_b64_e32 v[10:11], 3, v[14:15]
	v_lshl_add_u64 v[8:9], v[12:13], 3, s[10:11]
	v_cndmask_b32_e64 v12, 0, 1, s0
	v_lshl_add_u64 v[6:7], s[18:19], 3, v[6:7]
	s_lshl_b64 s[10:11], s[16:17], 5
	s_lshl_b64 s[16:17], s[42:43], 3
	v_add_nc_u64_e32 v[8:9], v[8:9], v[2:3]
	v_cmp_ne_u32_e64 s0, 1, v12
	s_lshl_b64 s[18:19], s[26:27], 3
	s_branch .LBB5_3
.LBB5_2:                                ;   in Loop: Header=BB5_3 Depth=1
	s_add_co_i32 s2, s2, 0x10000
	s_delay_alu instid0(SALU_CYCLE_1)
	s_cmp_lt_i32 s2, s28
	s_cbranch_scc0 .LBB5_11
.LBB5_3:                                ; =>This Loop Header: Depth=1
                                        ;     Child Loop BB5_5 Depth 2
	s_wait_xcnt 0x0
	v_mov_b32_e32 v2, s2
	s_and_b32 vcc_lo, exec_lo, s0
	s_clause 0x1
	global_load_b64 v[30:31], v2, s[38:39] scale_offset
	global_load_b64 v[46:47], v2, s[20:21] scale_offset
	s_cbranch_vccnz .LBB5_6
; %bb.4:                                ;   in Loop: Header=BB5_3 Depth=1
	s_lshl_b64 s[24:25], s[2:3], 3
	v_mov_b64_e32 v[12:13], 0
	s_add_nc_u64 s[26:27], s[14:15], s[24:25]
	s_add_nc_u64 s[24:25], s[8:9], s[24:25]
	s_clause 0x1
	global_load_b64 v[44:45], v3, s[26:27]
	global_load_b64 v[50:51], v3, s[24:25]
	s_wait_xcnt 0x4
	v_mov_b64_e32 v[14:15], 0
	v_mov_b64_e32 v[16:17], 0
	;; [unrolled: 1-line block ×14, first 2 shown]
	s_wait_xcnt 0x0
	s_mov_b64 s[24:25], 0
	s_wait_loadcnt 0x1
	v_add_nc_u64_e32 v[48:49], v[44:45], v[6:7]
	s_wait_loadcnt 0x0
	v_add_nc_u64_e32 v[50:51], v[50:51], v[8:9]
	v_mov_b64_e32 v[44:45], 0
.LBB5_5:                                ;   Parent Loop BB5_3 Depth=1
                                        ; =>  This Inner Loop Header: Depth=2
	flat_load_b64 v[56:57], v[50:51]
	s_add_nc_u64 s[24:25], s[24:25], 4
	s_wait_xcnt 0x0
	v_add_nc_u64_e32 v[50:51], 32, v[50:51]
	v_cmp_lt_i64_e64 s26, s[24:25], s[4:5]
	s_and_b32 vcc_lo, exec_lo, s26
	s_wait_loadcnt_dscnt 0x0
	ds_store_b64 v54, v[56:57]
	flat_load_b64 v[56:57], v[48:49]
	s_wait_xcnt 0x0
	v_add_nc_u64_e32 v[48:49], s[10:11], v[48:49]
	s_wait_loadcnt_dscnt 0x0
	ds_store_b64 v55, v[56:57]
	s_wait_dscnt 0x0
	s_barrier_signal -1
	s_barrier_wait -1
	ds_load_b128 v[56:59], v53
	ds_load_2addr_b64 v[60:63], v52 offset1:16
	ds_load_b128 v[64:67], v53 offset:512
	ds_load_2addr_b64 v[68:71], v52 offset0:32 offset1:48
	ds_load_b128 v[72:75], v53 offset:1024
	ds_load_b128 v[76:79], v53 offset:1536
	ds_load_2addr_b64 v[80:83], v52 offset0:64 offset1:80
	ds_load_b128 v[84:87], v53 offset:16
	ds_load_b128 v[88:91], v53 offset:528
	;; [unrolled: 1-line block ×4, first 2 shown]
	s_wait_dscnt 0x9
	v_fmac_f64_e32 v[44:45], v[60:61], v[56:57]
	v_fmac_f64_e32 v[42:43], v[62:63], v[56:57]
	s_wait_dscnt 0x8
	v_fmac_f64_e32 v[36:37], v[60:61], v[64:65]
	v_fmac_f64_e32 v[34:35], v[62:63], v[64:65]
	s_wait_dscnt 0x7
	v_fmac_f64_e32 v[40:41], v[68:69], v[56:57]
	v_fmac_f64_e32 v[38:39], v[70:71], v[56:57]
	s_wait_dscnt 0x6
	v_fmac_f64_e32 v[26:27], v[60:61], v[72:73]
	v_fmac_f64_e32 v[24:25], v[62:63], v[72:73]
	v_fmac_f64_e32 v[32:33], v[68:69], v[64:65]
	v_fmac_f64_e32 v[28:29], v[70:71], v[64:65]
	s_wait_dscnt 0x5
	v_fmac_f64_e32 v[18:19], v[60:61], v[76:77]
	v_fmac_f64_e32 v[16:17], v[62:63], v[76:77]
	;; [unrolled: 1-line block ×6, first 2 shown]
	ds_load_2addr_b64 v[60:63], v52 offset0:96 offset1:112
	ds_load_2addr_b64 v[68:71], v52 offset0:128 offset1:144
	s_wait_dscnt 0x6
	v_fmac_f64_e32 v[44:45], v[80:81], v[58:59]
	v_fmac_f64_e32 v[42:43], v[82:83], v[58:59]
	v_fmac_f64_e32 v[36:37], v[80:81], v[66:67]
	v_fmac_f64_e32 v[34:35], v[82:83], v[66:67]
	s_wait_dscnt 0x1
	v_fmac_f64_e32 v[40:41], v[60:61], v[58:59]
	v_fmac_f64_e32 v[38:39], v[62:63], v[58:59]
	;; [unrolled: 1-line block ×12, first 2 shown]
	ds_load_2addr_b64 v[56:59], v52 offset0:160 offset1:176
	ds_load_2addr_b64 v[60:63], v52 offset0:192 offset1:208
	s_wait_dscnt 0x2
	v_fmac_f64_e32 v[44:45], v[68:69], v[84:85]
	v_fmac_f64_e32 v[42:43], v[70:71], v[84:85]
	;; [unrolled: 1-line block ×4, first 2 shown]
	s_wait_dscnt 0x1
	v_fmac_f64_e32 v[40:41], v[56:57], v[84:85]
	v_fmac_f64_e32 v[38:39], v[58:59], v[84:85]
	;; [unrolled: 1-line block ×12, first 2 shown]
	ds_load_2addr_b64 v[56:59], v52 offset0:224 offset1:240
	s_wait_dscnt 0x0
	s_barrier_signal -1
	s_barrier_wait -1
	v_fmac_f64_e32 v[44:45], v[60:61], v[86:87]
	v_fmac_f64_e32 v[42:43], v[62:63], v[86:87]
	v_fmac_f64_e32 v[36:37], v[60:61], v[90:91]
	v_fmac_f64_e32 v[34:35], v[62:63], v[90:91]
	v_fmac_f64_e32 v[40:41], v[56:57], v[86:87]
	v_fmac_f64_e32 v[38:39], v[58:59], v[86:87]
	v_fmac_f64_e32 v[26:27], v[60:61], v[94:95]
	v_fmac_f64_e32 v[24:25], v[62:63], v[94:95]
	v_fmac_f64_e32 v[32:33], v[56:57], v[90:91]
	v_fmac_f64_e32 v[28:29], v[58:59], v[90:91]
	v_fmac_f64_e32 v[18:19], v[60:61], v[98:99]
	v_fmac_f64_e32 v[16:17], v[62:63], v[98:99]
	v_fmac_f64_e32 v[22:23], v[56:57], v[94:95]
	v_fmac_f64_e32 v[20:21], v[58:59], v[94:95]
	v_fmac_f64_e32 v[14:15], v[56:57], v[98:99]
	v_fmac_f64_e32 v[12:13], v[58:59], v[98:99]
	s_cbranch_vccnz .LBB5_5
	s_branch .LBB5_7
.LBB5_6:                                ;   in Loop: Header=BB5_3 Depth=1
	v_mov_b64_e32 v[44:45], 0
	v_mov_b64_e32 v[42:43], 0
	;; [unrolled: 1-line block ×10, first 2 shown]
	s_wait_xcnt 0x6
	v_mov_b64_e32 v[22:23], 0
	s_wait_xcnt 0x3
	v_mov_b64_e32 v[20:21], 0
	s_wait_xcnt 0x2
	v_mov_b64_e32 v[18:19], 0
	v_mov_b64_e32 v[16:17], 0
	v_mov_b64_e32 v[14:15], 0
	;; [unrolled: 1-line block ×3, first 2 shown]
.LBB5_7:                                ;   in Loop: Header=BB5_3 Depth=1
	s_wait_loadcnt 0x0
	v_add_nc_u64_e32 v[46:47], s[12:13], v[46:47]
	s_and_not1_b32 vcc_lo, exec_lo, s1
	s_delay_alu instid0(VALU_DEP_1) | instskip(NEXT) | instid1(VALU_DEP_1)
	v_lshl_add_u64 v[46:47], v[0:1], 3, v[46:47]
	v_add_nc_u64_e32 v[48:49], v[46:47], v[10:11]
	v_add_nc_u64_e32 v[46:47], s[22:23], v[46:47]
	s_cbranch_vccnz .LBB5_9
; %bb.8:                                ;   in Loop: Header=BB5_3 Depth=1
	v_mul_f64_e32 v[50:51], s[6:7], v[44:45]
	v_mul_f64_e32 v[78:79], s[6:7], v[18:19]
	;; [unrolled: 1-line block ×16, first 2 shown]
	v_add_nc_u64_e32 v[86:87], s[22:23], v[46:47]
	v_add_nc_u64_e32 v[90:91], v[46:47], v[10:11]
	s_delay_alu instid0(VALU_DEP_2)
	v_add_nc_u64_e32 v[88:89], s[22:23], v[86:87]
	v_add_nc_u64_e32 v[86:87], v[86:87], v[10:11]
	s_clause 0xb
	flat_store_b64 v[48:49], v[50:51]
	flat_store_b64 v[48:49], v[56:57] offset:128
	flat_store_b64 v[48:49], v[58:59] offset:256
	flat_store_b64 v[48:49], v[60:61] offset:384
	flat_store_b64 v[90:91], v[62:63]
	flat_store_b64 v[90:91], v[64:65] offset:128
	flat_store_b64 v[90:91], v[66:67] offset:256
	flat_store_b64 v[90:91], v[68:69] offset:384
	;; [unrolled: 4-line block ×3, first 2 shown]
	v_add_nc_u64_e32 v[88:89], v[88:89], v[10:11]
	s_clause 0x3
	flat_store_b64 v[88:89], v[78:79]
	flat_store_b64 v[88:89], v[80:81] offset:128
	flat_store_b64 v[88:89], v[82:83] offset:256
	;; [unrolled: 1-line block ×3, first 2 shown]
	s_cbranch_execnz .LBB5_2
	s_branch .LBB5_10
.LBB5_9:                                ;   in Loop: Header=BB5_3 Depth=1
.LBB5_10:                               ;   in Loop: Header=BB5_3 Depth=1
	v_add_nc_u64_e32 v[30:31], s[16:17], v[30:31]
	s_delay_alu instid0(VALU_DEP_1) | instskip(SKIP_1) | instid1(VALU_DEP_1)
	v_lshl_add_u64 v[30:31], v[4:5], 3, v[30:31]
	s_wait_xcnt 0xf
	v_add_nc_u64_e32 v[50:51], v[30:31], v[10:11]
	v_add_nc_u64_e32 v[30:31], s[18:19], v[30:31]
	flat_load_b64 v[56:57], v[50:51]
	s_wait_loadcnt_dscnt 0x0
	v_mul_f64_e32 v[56:57], s[36:37], v[56:57]
	s_delay_alu instid0(VALU_DEP_1) | instskip(SKIP_4) | instid1(VALU_DEP_1)
	v_fmac_f64_e32 v[56:57], s[6:7], v[44:45]
	flat_store_b64 v[48:49], v[56:57]
	flat_load_b64 v[44:45], v[50:51] offset:128
	s_wait_loadcnt_dscnt 0x0
	v_mul_f64_e32 v[44:45], s[36:37], v[44:45]
	v_fmac_f64_e32 v[44:45], s[6:7], v[42:43]
	flat_store_b64 v[48:49], v[44:45] offset:128
	flat_load_b64 v[42:43], v[50:51] offset:256
	s_wait_loadcnt_dscnt 0x0
	v_mul_f64_e32 v[42:43], s[36:37], v[42:43]
	s_delay_alu instid0(VALU_DEP_1) | instskip(SKIP_4) | instid1(VALU_DEP_1)
	v_fmac_f64_e32 v[42:43], s[6:7], v[40:41]
	flat_store_b64 v[48:49], v[42:43] offset:256
	flat_load_b64 v[40:41], v[50:51] offset:384
	s_wait_loadcnt_dscnt 0x0
	v_mul_f64_e32 v[40:41], s[36:37], v[40:41]
	v_fmac_f64_e32 v[40:41], s[6:7], v[38:39]
	v_add_nc_u64_e32 v[38:39], v[30:31], v[10:11]
	flat_store_b64 v[48:49], v[40:41] offset:384
	flat_load_b64 v[40:41], v[38:39]
	s_wait_loadcnt_dscnt 0x0
	v_mul_f64_e32 v[40:41], s[36:37], v[40:41]
	s_delay_alu instid0(VALU_DEP_1)
	v_fmac_f64_e32 v[40:41], s[6:7], v[36:37]
	v_add_nc_u64_e32 v[36:37], v[46:47], v[10:11]
	flat_store_b64 v[36:37], v[40:41]
	flat_load_b64 v[40:41], v[38:39] offset:128
	s_wait_loadcnt_dscnt 0x0
	v_mul_f64_e32 v[40:41], s[36:37], v[40:41]
	s_delay_alu instid0(VALU_DEP_1) | instskip(SKIP_4) | instid1(VALU_DEP_1)
	v_fmac_f64_e32 v[40:41], s[6:7], v[34:35]
	flat_store_b64 v[36:37], v[40:41] offset:128
	flat_load_b64 v[34:35], v[38:39] offset:256
	s_wait_loadcnt_dscnt 0x0
	v_mul_f64_e32 v[34:35], s[36:37], v[34:35]
	v_fmac_f64_e32 v[34:35], s[6:7], v[32:33]
	flat_store_b64 v[36:37], v[34:35] offset:256
	flat_load_b64 v[32:33], v[38:39] offset:384
	s_wait_loadcnt_dscnt 0x0
	v_mul_f64_e32 v[32:33], s[36:37], v[32:33]
	s_delay_alu instid0(VALU_DEP_1) | instskip(SKIP_1) | instid1(VALU_DEP_1)
	v_fmac_f64_e32 v[32:33], s[6:7], v[28:29]
	v_add_nc_u64_e32 v[28:29], s[18:19], v[30:31]
	v_add_nc_u64_e32 v[30:31], v[28:29], v[10:11]
	flat_store_b64 v[36:37], v[32:33] offset:384
	flat_load_b64 v[32:33], v[30:31]
	s_wait_loadcnt_dscnt 0x0
	v_mul_f64_e32 v[32:33], s[36:37], v[32:33]
	s_delay_alu instid0(VALU_DEP_1) | instskip(SKIP_1) | instid1(VALU_DEP_1)
	v_fmac_f64_e32 v[32:33], s[6:7], v[26:27]
	v_add_nc_u64_e32 v[26:27], s[22:23], v[46:47]
	v_add_nc_u64_e32 v[34:35], v[26:27], v[10:11]
	flat_store_b64 v[34:35], v[32:33]
	flat_load_b64 v[32:33], v[30:31] offset:128
	s_wait_loadcnt_dscnt 0x0
	v_mul_f64_e32 v[32:33], s[36:37], v[32:33]
	s_delay_alu instid0(VALU_DEP_1) | instskip(SKIP_4) | instid1(VALU_DEP_1)
	v_fmac_f64_e32 v[32:33], s[6:7], v[24:25]
	flat_store_b64 v[34:35], v[32:33] offset:128
	flat_load_b64 v[24:25], v[30:31] offset:256
	s_wait_loadcnt_dscnt 0x0
	v_mul_f64_e32 v[24:25], s[36:37], v[24:25]
	v_fmac_f64_e32 v[24:25], s[6:7], v[22:23]
	flat_store_b64 v[34:35], v[24:25] offset:256
	flat_load_b64 v[22:23], v[30:31] offset:384
	s_wait_loadcnt_dscnt 0x0
	v_mul_f64_e32 v[22:23], s[36:37], v[22:23]
	s_delay_alu instid0(VALU_DEP_1) | instskip(SKIP_1) | instid1(VALU_DEP_1)
	v_fmac_f64_e32 v[22:23], s[6:7], v[20:21]
	v_add_nc_u64_e32 v[20:21], s[18:19], v[28:29]
	v_add_nc_u64_e32 v[20:21], v[20:21], v[10:11]
	flat_store_b64 v[34:35], v[22:23] offset:384
	flat_load_b64 v[22:23], v[20:21]
	s_wait_loadcnt_dscnt 0x0
	v_mul_f64_e32 v[22:23], s[36:37], v[22:23]
	s_delay_alu instid0(VALU_DEP_1) | instskip(SKIP_1) | instid1(VALU_DEP_1)
	v_fmac_f64_e32 v[22:23], s[6:7], v[18:19]
	v_add_nc_u64_e32 v[18:19], s[22:23], v[26:27]
	v_add_nc_u64_e32 v[18:19], v[18:19], v[10:11]
	flat_store_b64 v[18:19], v[22:23]
	flat_load_b64 v[22:23], v[20:21] offset:128
	s_wait_loadcnt_dscnt 0x0
	v_mul_f64_e32 v[22:23], s[36:37], v[22:23]
	s_delay_alu instid0(VALU_DEP_1) | instskip(SKIP_4) | instid1(VALU_DEP_1)
	v_fmac_f64_e32 v[22:23], s[6:7], v[16:17]
	flat_store_b64 v[18:19], v[22:23] offset:128
	flat_load_b64 v[16:17], v[20:21] offset:256
	s_wait_loadcnt_dscnt 0x0
	v_mul_f64_e32 v[16:17], s[36:37], v[16:17]
	v_fmac_f64_e32 v[16:17], s[6:7], v[14:15]
	flat_store_b64 v[18:19], v[16:17] offset:256
	flat_load_b64 v[14:15], v[20:21] offset:384
	s_wait_loadcnt_dscnt 0x0
	v_mul_f64_e32 v[14:15], s[36:37], v[14:15]
	s_delay_alu instid0(VALU_DEP_1)
	v_fmac_f64_e32 v[14:15], s[6:7], v[12:13]
	flat_store_b64 v[18:19], v[14:15] offset:384
	s_branch .LBB5_2
.LBB5_11:
	s_sendmsg sendmsg(MSG_DEALLOC_VGPRS)
	s_endpgm
	.section	.rodata,"a",@progbits
	.p2align	6, 0x0
	.amdhsa_kernel _ZN12_GLOBAL__N_127rocblas_gemm_batched_kernelIdLi16ELi16ELi64ELi64ELi4ELi64ELi4ELi4ELi64ELc67ELc67EKPKdS3_KPdEEvlllT_PT11_llS8_llS6_PT12_llPT13_lli
		.amdhsa_group_segment_fixed_size 4096
		.amdhsa_private_segment_fixed_size 0
		.amdhsa_kernarg_size 140
		.amdhsa_user_sgpr_count 2
		.amdhsa_user_sgpr_dispatch_ptr 0
		.amdhsa_user_sgpr_queue_ptr 0
		.amdhsa_user_sgpr_kernarg_segment_ptr 1
		.amdhsa_user_sgpr_dispatch_id 0
		.amdhsa_user_sgpr_kernarg_preload_length 0
		.amdhsa_user_sgpr_kernarg_preload_offset 0
		.amdhsa_user_sgpr_private_segment_size 0
		.amdhsa_wavefront_size32 1
		.amdhsa_uses_dynamic_stack 0
		.amdhsa_enable_private_segment 0
		.amdhsa_system_sgpr_workgroup_id_x 1
		.amdhsa_system_sgpr_workgroup_id_y 1
		.amdhsa_system_sgpr_workgroup_id_z 1
		.amdhsa_system_sgpr_workgroup_info 0
		.amdhsa_system_vgpr_workitem_id 1
		.amdhsa_next_free_vgpr 100
		.amdhsa_next_free_sgpr 44
		.amdhsa_named_barrier_count 0
		.amdhsa_reserve_vcc 1
		.amdhsa_float_round_mode_32 0
		.amdhsa_float_round_mode_16_64 0
		.amdhsa_float_denorm_mode_32 3
		.amdhsa_float_denorm_mode_16_64 3
		.amdhsa_fp16_overflow 0
		.amdhsa_memory_ordered 1
		.amdhsa_forward_progress 1
		.amdhsa_inst_pref_size 18
		.amdhsa_round_robin_scheduling 0
		.amdhsa_exception_fp_ieee_invalid_op 0
		.amdhsa_exception_fp_denorm_src 0
		.amdhsa_exception_fp_ieee_div_zero 0
		.amdhsa_exception_fp_ieee_overflow 0
		.amdhsa_exception_fp_ieee_underflow 0
		.amdhsa_exception_fp_ieee_inexact 0
		.amdhsa_exception_int_div_zero 0
	.end_amdhsa_kernel
	.section	.text._ZN12_GLOBAL__N_127rocblas_gemm_batched_kernelIdLi16ELi16ELi64ELi64ELi4ELi64ELi4ELi4ELi64ELc67ELc67EKPKdS3_KPdEEvlllT_PT11_llS8_llS6_PT12_llPT13_lli,"axG",@progbits,_ZN12_GLOBAL__N_127rocblas_gemm_batched_kernelIdLi16ELi16ELi64ELi64ELi4ELi64ELi4ELi4ELi64ELc67ELc67EKPKdS3_KPdEEvlllT_PT11_llS8_llS6_PT12_llPT13_lli,comdat
.Lfunc_end5:
	.size	_ZN12_GLOBAL__N_127rocblas_gemm_batched_kernelIdLi16ELi16ELi64ELi64ELi4ELi64ELi4ELi4ELi64ELc67ELc67EKPKdS3_KPdEEvlllT_PT11_llS8_llS6_PT12_llPT13_lli, .Lfunc_end5-_ZN12_GLOBAL__N_127rocblas_gemm_batched_kernelIdLi16ELi16ELi64ELi64ELi4ELi64ELi4ELi4ELi64ELc67ELc67EKPKdS3_KPdEEvlllT_PT11_llS8_llS6_PT12_llPT13_lli
                                        ; -- End function
	.set _ZN12_GLOBAL__N_127rocblas_gemm_batched_kernelIdLi16ELi16ELi64ELi64ELi4ELi64ELi4ELi4ELi64ELc67ELc67EKPKdS3_KPdEEvlllT_PT11_llS8_llS6_PT12_llPT13_lli.num_vgpr, 100
	.set _ZN12_GLOBAL__N_127rocblas_gemm_batched_kernelIdLi16ELi16ELi64ELi64ELi4ELi64ELi4ELi4ELi64ELc67ELc67EKPKdS3_KPdEEvlllT_PT11_llS8_llS6_PT12_llPT13_lli.num_agpr, 0
	.set _ZN12_GLOBAL__N_127rocblas_gemm_batched_kernelIdLi16ELi16ELi64ELi64ELi4ELi64ELi4ELi4ELi64ELc67ELc67EKPKdS3_KPdEEvlllT_PT11_llS8_llS6_PT12_llPT13_lli.numbered_sgpr, 44
	.set _ZN12_GLOBAL__N_127rocblas_gemm_batched_kernelIdLi16ELi16ELi64ELi64ELi4ELi64ELi4ELi4ELi64ELc67ELc67EKPKdS3_KPdEEvlllT_PT11_llS8_llS6_PT12_llPT13_lli.num_named_barrier, 0
	.set _ZN12_GLOBAL__N_127rocblas_gemm_batched_kernelIdLi16ELi16ELi64ELi64ELi4ELi64ELi4ELi4ELi64ELc67ELc67EKPKdS3_KPdEEvlllT_PT11_llS8_llS6_PT12_llPT13_lli.private_seg_size, 0
	.set _ZN12_GLOBAL__N_127rocblas_gemm_batched_kernelIdLi16ELi16ELi64ELi64ELi4ELi64ELi4ELi4ELi64ELc67ELc67EKPKdS3_KPdEEvlllT_PT11_llS8_llS6_PT12_llPT13_lli.uses_vcc, 1
	.set _ZN12_GLOBAL__N_127rocblas_gemm_batched_kernelIdLi16ELi16ELi64ELi64ELi4ELi64ELi4ELi4ELi64ELc67ELc67EKPKdS3_KPdEEvlllT_PT11_llS8_llS6_PT12_llPT13_lli.uses_flat_scratch, 1
	.set _ZN12_GLOBAL__N_127rocblas_gemm_batched_kernelIdLi16ELi16ELi64ELi64ELi4ELi64ELi4ELi4ELi64ELc67ELc67EKPKdS3_KPdEEvlllT_PT11_llS8_llS6_PT12_llPT13_lli.has_dyn_sized_stack, 0
	.set _ZN12_GLOBAL__N_127rocblas_gemm_batched_kernelIdLi16ELi16ELi64ELi64ELi4ELi64ELi4ELi4ELi64ELc67ELc67EKPKdS3_KPdEEvlllT_PT11_llS8_llS6_PT12_llPT13_lli.has_recursion, 0
	.set _ZN12_GLOBAL__N_127rocblas_gemm_batched_kernelIdLi16ELi16ELi64ELi64ELi4ELi64ELi4ELi4ELi64ELc67ELc67EKPKdS3_KPdEEvlllT_PT11_llS8_llS6_PT12_llPT13_lli.has_indirect_call, 0
	.section	.AMDGPU.csdata,"",@progbits
; Kernel info:
; codeLenInByte = 2300
; TotalNumSgprs: 46
; NumVgprs: 100
; ScratchSize: 0
; MemoryBound: 0
; FloatMode: 240
; IeeeMode: 1
; LDSByteSize: 4096 bytes/workgroup (compile time only)
; SGPRBlocks: 0
; VGPRBlocks: 6
; NumSGPRsForWavesPerEU: 46
; NumVGPRsForWavesPerEU: 100
; NamedBarCnt: 0
; Occupancy: 9
; WaveLimiterHint : 1
; COMPUTE_PGM_RSRC2:SCRATCH_EN: 0
; COMPUTE_PGM_RSRC2:USER_SGPR: 2
; COMPUTE_PGM_RSRC2:TRAP_HANDLER: 0
; COMPUTE_PGM_RSRC2:TGID_X_EN: 1
; COMPUTE_PGM_RSRC2:TGID_Y_EN: 1
; COMPUTE_PGM_RSRC2:TGID_Z_EN: 1
; COMPUTE_PGM_RSRC2:TIDIG_COMP_CNT: 1
	.section	.text._ZN12_GLOBAL__N_127rocblas_gemm_batched_kernelIdLi16ELi16ELi64ELi64ELi4ELi64ELi4ELi4ELi64ELc67ELc78EKPKdS3_KPdEEvlllT_PT11_llS8_llS6_PT12_llPT13_lli,"axG",@progbits,_ZN12_GLOBAL__N_127rocblas_gemm_batched_kernelIdLi16ELi16ELi64ELi64ELi4ELi64ELi4ELi4ELi64ELc67ELc78EKPKdS3_KPdEEvlllT_PT11_llS8_llS6_PT12_llPT13_lli,comdat
	.globl	_ZN12_GLOBAL__N_127rocblas_gemm_batched_kernelIdLi16ELi16ELi64ELi64ELi4ELi64ELi4ELi4ELi64ELc67ELc78EKPKdS3_KPdEEvlllT_PT11_llS8_llS6_PT12_llPT13_lli ; -- Begin function _ZN12_GLOBAL__N_127rocblas_gemm_batched_kernelIdLi16ELi16ELi64ELi64ELi4ELi64ELi4ELi4ELi64ELc67ELc78EKPKdS3_KPdEEvlllT_PT11_llS8_llS6_PT12_llPT13_lli
	.p2align	8
	.type	_ZN12_GLOBAL__N_127rocblas_gemm_batched_kernelIdLi16ELi16ELi64ELi64ELi4ELi64ELi4ELi4ELi64ELc67ELc78EKPKdS3_KPdEEvlllT_PT11_llS8_llS6_PT12_llPT13_lli,@function
_ZN12_GLOBAL__N_127rocblas_gemm_batched_kernelIdLi16ELi16ELi64ELi64ELi4ELi64ELi4ELi4ELi64ELc67ELc78EKPKdS3_KPdEEvlllT_PT11_llS8_llS6_PT12_llPT13_lli: ; @_ZN12_GLOBAL__N_127rocblas_gemm_batched_kernelIdLi16ELi16ELi64ELi64ELi4ELi64ELi4ELi4ELi64ELc67ELc78EKPKdS3_KPdEEvlllT_PT11_llS8_llS6_PT12_llPT13_lli
; %bb.0:
	s_load_b32 s28, s[0:1], 0x88
	s_bfe_u32 s2, ttmp6, 0x40014
	s_lshr_b32 s3, ttmp7, 16
	s_add_co_i32 s2, s2, 1
	s_bfe_u32 s4, ttmp6, 0x40008
	s_mul_i32 s2, s3, s2
	s_getreg_b32 s29, hwreg(HW_REG_IB_STS2, 6, 4)
	s_add_co_i32 s4, s4, s2
	s_cmp_eq_u32 s29, 0
	s_cselect_b32 s2, s3, s4
	s_mov_b32 s3, 0
	s_wait_kmcnt 0x0
	s_cmp_ge_i32 s2, s28
	s_cbranch_scc1 .LBB6_11
; %bb.1:
	v_bfe_u32 v2, v0, 10, 10
	v_and_b32_e32 v6, 0x3ff, v0
	s_clause 0x2
	s_load_b512 s[4:19], s[0:1], 0x10
	s_load_b256 s[20:27], s[0:1], 0x70
	s_load_b256 s[36:43], s[0:1], 0x50
	s_wait_xcnt 0x0
	s_bfe_u32 s1, ttmp6, 0x4000c
	s_wait_kmcnt 0x0
	s_bfe_u32 s26, ttmp6, 0x40010
	s_add_co_i32 s1, s1, 1
	s_and_b32 s27, ttmp7, 0xffff
	s_add_co_i32 s26, s26, 1
	v_lshl_add_u32 v15, v2, 4, v6
	v_mov_b32_e32 v3, 0
	s_and_b32 s0, ttmp6, 15
	s_mul_i32 s1, ttmp9, s1
	s_mul_i32 s26, s27, s26
	s_bfe_u32 s30, ttmp6, 0x40004
	s_add_co_i32 s0, s0, s1
	s_add_co_i32 s30, s30, s26
	s_cmp_eq_u32 s29, 0
	v_dual_lshrrev_b32 v8, 2, v15 :: v_dual_bitop2_b32 v16, 63, v15 bitop3:0x40
	v_mov_b32_e32 v9, v3
	s_cselect_b32 s0, ttmp9, s0
	s_cselect_b32 s26, s27, s30
	s_ashr_i32 s1, s0, 31
	s_lshl_b32 s26, s26, 6
	s_mov_b32 s27, s3
	s_lshl_b64 s[30:31], s[0:1], 6
	v_add_nc_u64_e32 v[4:5], s[26:27], v[8:9]
	v_dual_mov_b32 v11, s31 :: v_dual_bitop2_b32 v10, s30, v16 bitop3:0x54
	v_dual_lshlrev_b32 v9, 3, v0 :: v_dual_mov_b32 v7, v3
	v_cmp_eq_f64_e64 s1, s[36:37], 0
	v_lshlrev_b32_e32 v52, 3, v6
	s_delay_alu instid0(VALU_DEP_4)
	v_mul_u64_e32 v[10:11], s[10:11], v[10:11]
	v_mul_u64_e32 v[12:13], s[16:17], v[4:5]
	v_add_nc_u64_e32 v[4:5], s[26:27], v[2:3]
	v_dual_lshrrev_b32 v9, 6, v15 :: v_dual_bitop2_b32 v14, 24, v9 bitop3:0x40
	v_lshlrev_b32_e32 v18, 3, v16
	v_cmp_gt_i64_e64 s0, s[4:5], 0
	v_add_nc_u64_e32 v[16:17], s[30:31], v[6:7]
	s_delay_alu instid0(VALU_DEP_4)
	v_lshl_or_b32 v8, v8, 5, v14
	v_mul_u64_e32 v[0:1], s[22:23], v[4:5]
	v_mul_u64_e32 v[4:5], s[40:41], v[4:5]
	s_lshl_b64 s[10:11], s[12:13], 3
	s_lshl_b64 s[12:13], s[18:19], 3
	v_lshl_add_u32 v53, v2, 5, 0x800
	v_dual_mov_b32 v15, v3 :: v_dual_lshlrev_b32 v2, 3, v9
	v_lshl_or_b32 v54, v9, 9, v18
	v_add_nc_u32_e32 v55, 0x800, v8
	s_lshl_b64 s[22:23], s[22:23], 4
	s_lshl_b64 s[16:17], s[40:41], 4
	;; [unrolled: 1-line block ×4, first 2 shown]
	v_lshl_add_u64 v[6:7], v[10:11], 3, s[10:11]
	v_lshl_add_u64 v[8:9], v[12:13], 3, s[12:13]
	v_cndmask_b32_e64 v12, 0, 1, s0
	v_lshlrev_b64_e32 v[10:11], 3, v[16:17]
	s_lshl_b64 s[10:11], s[24:25], 3
	v_add_nc_u64_e32 v[6:7], v[6:7], v[2:3]
	v_add_nc_u64_e32 v[8:9], v[8:9], v[14:15]
	v_cmp_ne_u32_e64 s0, 1, v12
	s_lshl_b64 s[12:13], s[42:43], 3
	s_branch .LBB6_3
.LBB6_2:                                ;   in Loop: Header=BB6_3 Depth=1
	s_add_co_i32 s2, s2, 0x10000
	s_delay_alu instid0(SALU_CYCLE_1)
	s_cmp_lt_i32 s2, s28
	s_cbranch_scc0 .LBB6_11
.LBB6_3:                                ; =>This Loop Header: Depth=1
                                        ;     Child Loop BB6_5 Depth 2
	s_wait_xcnt 0x0
	v_mov_b32_e32 v2, s2
	s_and_b32 vcc_lo, exec_lo, s0
	s_clause 0x1
	global_load_b64 v[30:31], v2, s[38:39] scale_offset
	global_load_b64 v[46:47], v2, s[20:21] scale_offset
	s_cbranch_vccnz .LBB6_6
; %bb.4:                                ;   in Loop: Header=BB6_3 Depth=1
	s_lshl_b64 s[22:23], s[2:3], 3
	v_mov_b64_e32 v[12:13], 0
	s_add_nc_u64 s[24:25], s[14:15], s[22:23]
	s_add_nc_u64 s[22:23], s[8:9], s[22:23]
	s_clause 0x1
	global_load_b64 v[44:45], v3, s[24:25]
	global_load_b64 v[50:51], v3, s[22:23]
	s_wait_xcnt 0x4
	v_mov_b64_e32 v[14:15], 0
	v_mov_b64_e32 v[16:17], 0
	;; [unrolled: 1-line block ×14, first 2 shown]
	s_wait_xcnt 0x0
	s_mov_b64 s[22:23], 0
	s_wait_loadcnt 0x1
	v_add_nc_u64_e32 v[48:49], v[44:45], v[8:9]
	s_wait_loadcnt 0x0
	v_add_nc_u64_e32 v[50:51], v[50:51], v[6:7]
	v_mov_b64_e32 v[44:45], 0
.LBB6_5:                                ;   Parent Loop BB6_3 Depth=1
                                        ; =>  This Inner Loop Header: Depth=2
	flat_load_b64 v[56:57], v[50:51]
	s_add_nc_u64 s[22:23], s[22:23], 4
	s_wait_xcnt 0x0
	v_add_nc_u64_e32 v[50:51], 32, v[50:51]
	v_cmp_lt_i64_e64 s24, s[22:23], s[4:5]
	s_and_b32 vcc_lo, exec_lo, s24
	s_wait_loadcnt_dscnt 0x0
	ds_store_b64 v54, v[56:57]
	flat_load_b64 v[56:57], v[48:49]
	s_wait_xcnt 0x0
	v_add_nc_u64_e32 v[48:49], 32, v[48:49]
	s_wait_loadcnt_dscnt 0x0
	ds_store_b64 v55, v[56:57]
	s_wait_dscnt 0x0
	s_barrier_signal -1
	s_barrier_wait -1
	ds_load_b128 v[56:59], v53
	ds_load_2addr_b64 v[60:63], v52 offset1:16
	ds_load_b128 v[64:67], v53 offset:512
	ds_load_2addr_b64 v[68:71], v52 offset0:32 offset1:48
	ds_load_b128 v[72:75], v53 offset:1024
	ds_load_b128 v[76:79], v53 offset:1536
	ds_load_2addr_b64 v[80:83], v52 offset0:64 offset1:80
	ds_load_b128 v[84:87], v53 offset:16
	ds_load_b128 v[88:91], v53 offset:528
	;; [unrolled: 1-line block ×4, first 2 shown]
	s_wait_dscnt 0x9
	v_fmac_f64_e32 v[44:45], v[60:61], v[56:57]
	v_fmac_f64_e32 v[42:43], v[62:63], v[56:57]
	s_wait_dscnt 0x8
	v_fmac_f64_e32 v[36:37], v[60:61], v[64:65]
	v_fmac_f64_e32 v[34:35], v[62:63], v[64:65]
	s_wait_dscnt 0x7
	v_fmac_f64_e32 v[40:41], v[68:69], v[56:57]
	v_fmac_f64_e32 v[38:39], v[70:71], v[56:57]
	s_wait_dscnt 0x6
	v_fmac_f64_e32 v[26:27], v[60:61], v[72:73]
	v_fmac_f64_e32 v[24:25], v[62:63], v[72:73]
	v_fmac_f64_e32 v[32:33], v[68:69], v[64:65]
	v_fmac_f64_e32 v[28:29], v[70:71], v[64:65]
	s_wait_dscnt 0x5
	v_fmac_f64_e32 v[18:19], v[60:61], v[76:77]
	v_fmac_f64_e32 v[16:17], v[62:63], v[76:77]
	;; [unrolled: 1-line block ×6, first 2 shown]
	ds_load_2addr_b64 v[60:63], v52 offset0:96 offset1:112
	ds_load_2addr_b64 v[68:71], v52 offset0:128 offset1:144
	s_wait_dscnt 0x6
	v_fmac_f64_e32 v[44:45], v[80:81], v[58:59]
	v_fmac_f64_e32 v[42:43], v[82:83], v[58:59]
	;; [unrolled: 1-line block ×4, first 2 shown]
	s_wait_dscnt 0x1
	v_fmac_f64_e32 v[40:41], v[60:61], v[58:59]
	v_fmac_f64_e32 v[38:39], v[62:63], v[58:59]
	;; [unrolled: 1-line block ×12, first 2 shown]
	ds_load_2addr_b64 v[56:59], v52 offset0:160 offset1:176
	ds_load_2addr_b64 v[60:63], v52 offset0:192 offset1:208
	s_wait_dscnt 0x2
	v_fmac_f64_e32 v[44:45], v[68:69], v[84:85]
	v_fmac_f64_e32 v[42:43], v[70:71], v[84:85]
	;; [unrolled: 1-line block ×4, first 2 shown]
	s_wait_dscnt 0x1
	v_fmac_f64_e32 v[40:41], v[56:57], v[84:85]
	v_fmac_f64_e32 v[38:39], v[58:59], v[84:85]
	;; [unrolled: 1-line block ×12, first 2 shown]
	ds_load_2addr_b64 v[56:59], v52 offset0:224 offset1:240
	s_wait_dscnt 0x0
	s_barrier_signal -1
	s_barrier_wait -1
	v_fmac_f64_e32 v[44:45], v[60:61], v[86:87]
	v_fmac_f64_e32 v[42:43], v[62:63], v[86:87]
	;; [unrolled: 1-line block ×16, first 2 shown]
	s_cbranch_vccnz .LBB6_5
	s_branch .LBB6_7
.LBB6_6:                                ;   in Loop: Header=BB6_3 Depth=1
	v_mov_b64_e32 v[44:45], 0
	v_mov_b64_e32 v[42:43], 0
	;; [unrolled: 1-line block ×10, first 2 shown]
	s_wait_xcnt 0x6
	v_mov_b64_e32 v[22:23], 0
	s_wait_xcnt 0x3
	v_mov_b64_e32 v[20:21], 0
	s_wait_xcnt 0x2
	v_mov_b64_e32 v[18:19], 0
	v_mov_b64_e32 v[16:17], 0
	v_mov_b64_e32 v[14:15], 0
	;; [unrolled: 1-line block ×3, first 2 shown]
.LBB6_7:                                ;   in Loop: Header=BB6_3 Depth=1
	s_wait_loadcnt 0x0
	v_add_nc_u64_e32 v[46:47], s[10:11], v[46:47]
	s_and_not1_b32 vcc_lo, exec_lo, s1
	s_delay_alu instid0(VALU_DEP_1) | instskip(NEXT) | instid1(VALU_DEP_1)
	v_lshl_add_u64 v[46:47], v[0:1], 3, v[46:47]
	v_add_nc_u64_e32 v[48:49], v[46:47], v[10:11]
	v_add_nc_u64_e32 v[46:47], s[18:19], v[46:47]
	s_cbranch_vccnz .LBB6_9
; %bb.8:                                ;   in Loop: Header=BB6_3 Depth=1
	v_mul_f64_e32 v[50:51], s[6:7], v[44:45]
	v_mul_f64_e32 v[78:79], s[6:7], v[18:19]
	;; [unrolled: 1-line block ×16, first 2 shown]
	v_add_nc_u64_e32 v[86:87], s[18:19], v[46:47]
	v_add_nc_u64_e32 v[90:91], v[46:47], v[10:11]
	s_delay_alu instid0(VALU_DEP_2)
	v_add_nc_u64_e32 v[88:89], s[18:19], v[86:87]
	v_add_nc_u64_e32 v[86:87], v[86:87], v[10:11]
	s_clause 0xb
	flat_store_b64 v[48:49], v[50:51]
	flat_store_b64 v[48:49], v[56:57] offset:128
	flat_store_b64 v[48:49], v[58:59] offset:256
	flat_store_b64 v[48:49], v[60:61] offset:384
	flat_store_b64 v[90:91], v[62:63]
	flat_store_b64 v[90:91], v[64:65] offset:128
	flat_store_b64 v[90:91], v[66:67] offset:256
	flat_store_b64 v[90:91], v[68:69] offset:384
	;; [unrolled: 4-line block ×3, first 2 shown]
	v_add_nc_u64_e32 v[88:89], v[88:89], v[10:11]
	s_clause 0x3
	flat_store_b64 v[88:89], v[78:79]
	flat_store_b64 v[88:89], v[80:81] offset:128
	flat_store_b64 v[88:89], v[82:83] offset:256
	flat_store_b64 v[88:89], v[84:85] offset:384
	s_cbranch_execnz .LBB6_2
	s_branch .LBB6_10
.LBB6_9:                                ;   in Loop: Header=BB6_3 Depth=1
.LBB6_10:                               ;   in Loop: Header=BB6_3 Depth=1
	v_add_nc_u64_e32 v[30:31], s[12:13], v[30:31]
	s_delay_alu instid0(VALU_DEP_1) | instskip(SKIP_1) | instid1(VALU_DEP_1)
	v_lshl_add_u64 v[30:31], v[4:5], 3, v[30:31]
	s_wait_xcnt 0xf
	v_add_nc_u64_e32 v[50:51], v[30:31], v[10:11]
	v_add_nc_u64_e32 v[30:31], s[16:17], v[30:31]
	flat_load_b64 v[56:57], v[50:51]
	s_wait_loadcnt_dscnt 0x0
	v_mul_f64_e32 v[56:57], s[36:37], v[56:57]
	s_delay_alu instid0(VALU_DEP_1) | instskip(SKIP_4) | instid1(VALU_DEP_1)
	v_fmac_f64_e32 v[56:57], s[6:7], v[44:45]
	flat_store_b64 v[48:49], v[56:57]
	flat_load_b64 v[44:45], v[50:51] offset:128
	s_wait_loadcnt_dscnt 0x0
	v_mul_f64_e32 v[44:45], s[36:37], v[44:45]
	v_fmac_f64_e32 v[44:45], s[6:7], v[42:43]
	flat_store_b64 v[48:49], v[44:45] offset:128
	flat_load_b64 v[42:43], v[50:51] offset:256
	s_wait_loadcnt_dscnt 0x0
	v_mul_f64_e32 v[42:43], s[36:37], v[42:43]
	s_delay_alu instid0(VALU_DEP_1) | instskip(SKIP_4) | instid1(VALU_DEP_1)
	v_fmac_f64_e32 v[42:43], s[6:7], v[40:41]
	flat_store_b64 v[48:49], v[42:43] offset:256
	flat_load_b64 v[40:41], v[50:51] offset:384
	s_wait_loadcnt_dscnt 0x0
	v_mul_f64_e32 v[40:41], s[36:37], v[40:41]
	v_fmac_f64_e32 v[40:41], s[6:7], v[38:39]
	v_add_nc_u64_e32 v[38:39], v[30:31], v[10:11]
	flat_store_b64 v[48:49], v[40:41] offset:384
	flat_load_b64 v[40:41], v[38:39]
	s_wait_loadcnt_dscnt 0x0
	v_mul_f64_e32 v[40:41], s[36:37], v[40:41]
	s_delay_alu instid0(VALU_DEP_1)
	v_fmac_f64_e32 v[40:41], s[6:7], v[36:37]
	v_add_nc_u64_e32 v[36:37], v[46:47], v[10:11]
	flat_store_b64 v[36:37], v[40:41]
	flat_load_b64 v[40:41], v[38:39] offset:128
	s_wait_loadcnt_dscnt 0x0
	v_mul_f64_e32 v[40:41], s[36:37], v[40:41]
	s_delay_alu instid0(VALU_DEP_1) | instskip(SKIP_4) | instid1(VALU_DEP_1)
	v_fmac_f64_e32 v[40:41], s[6:7], v[34:35]
	flat_store_b64 v[36:37], v[40:41] offset:128
	flat_load_b64 v[34:35], v[38:39] offset:256
	s_wait_loadcnt_dscnt 0x0
	v_mul_f64_e32 v[34:35], s[36:37], v[34:35]
	v_fmac_f64_e32 v[34:35], s[6:7], v[32:33]
	flat_store_b64 v[36:37], v[34:35] offset:256
	flat_load_b64 v[32:33], v[38:39] offset:384
	s_wait_loadcnt_dscnt 0x0
	v_mul_f64_e32 v[32:33], s[36:37], v[32:33]
	s_delay_alu instid0(VALU_DEP_1) | instskip(SKIP_1) | instid1(VALU_DEP_1)
	v_fmac_f64_e32 v[32:33], s[6:7], v[28:29]
	v_add_nc_u64_e32 v[28:29], s[16:17], v[30:31]
	v_add_nc_u64_e32 v[30:31], v[28:29], v[10:11]
	flat_store_b64 v[36:37], v[32:33] offset:384
	flat_load_b64 v[32:33], v[30:31]
	s_wait_loadcnt_dscnt 0x0
	v_mul_f64_e32 v[32:33], s[36:37], v[32:33]
	s_delay_alu instid0(VALU_DEP_1) | instskip(SKIP_1) | instid1(VALU_DEP_1)
	v_fmac_f64_e32 v[32:33], s[6:7], v[26:27]
	v_add_nc_u64_e32 v[26:27], s[18:19], v[46:47]
	v_add_nc_u64_e32 v[34:35], v[26:27], v[10:11]
	flat_store_b64 v[34:35], v[32:33]
	flat_load_b64 v[32:33], v[30:31] offset:128
	s_wait_loadcnt_dscnt 0x0
	v_mul_f64_e32 v[32:33], s[36:37], v[32:33]
	s_delay_alu instid0(VALU_DEP_1) | instskip(SKIP_4) | instid1(VALU_DEP_1)
	v_fmac_f64_e32 v[32:33], s[6:7], v[24:25]
	flat_store_b64 v[34:35], v[32:33] offset:128
	flat_load_b64 v[24:25], v[30:31] offset:256
	s_wait_loadcnt_dscnt 0x0
	v_mul_f64_e32 v[24:25], s[36:37], v[24:25]
	v_fmac_f64_e32 v[24:25], s[6:7], v[22:23]
	flat_store_b64 v[34:35], v[24:25] offset:256
	flat_load_b64 v[22:23], v[30:31] offset:384
	s_wait_loadcnt_dscnt 0x0
	v_mul_f64_e32 v[22:23], s[36:37], v[22:23]
	s_delay_alu instid0(VALU_DEP_1) | instskip(SKIP_1) | instid1(VALU_DEP_1)
	v_fmac_f64_e32 v[22:23], s[6:7], v[20:21]
	v_add_nc_u64_e32 v[20:21], s[16:17], v[28:29]
	v_add_nc_u64_e32 v[20:21], v[20:21], v[10:11]
	flat_store_b64 v[34:35], v[22:23] offset:384
	flat_load_b64 v[22:23], v[20:21]
	s_wait_loadcnt_dscnt 0x0
	v_mul_f64_e32 v[22:23], s[36:37], v[22:23]
	s_delay_alu instid0(VALU_DEP_1) | instskip(SKIP_1) | instid1(VALU_DEP_1)
	v_fmac_f64_e32 v[22:23], s[6:7], v[18:19]
	v_add_nc_u64_e32 v[18:19], s[18:19], v[26:27]
	v_add_nc_u64_e32 v[18:19], v[18:19], v[10:11]
	flat_store_b64 v[18:19], v[22:23]
	flat_load_b64 v[22:23], v[20:21] offset:128
	s_wait_loadcnt_dscnt 0x0
	v_mul_f64_e32 v[22:23], s[36:37], v[22:23]
	s_delay_alu instid0(VALU_DEP_1) | instskip(SKIP_4) | instid1(VALU_DEP_1)
	v_fmac_f64_e32 v[22:23], s[6:7], v[16:17]
	flat_store_b64 v[18:19], v[22:23] offset:128
	flat_load_b64 v[16:17], v[20:21] offset:256
	s_wait_loadcnt_dscnt 0x0
	v_mul_f64_e32 v[16:17], s[36:37], v[16:17]
	v_fmac_f64_e32 v[16:17], s[6:7], v[14:15]
	flat_store_b64 v[18:19], v[16:17] offset:256
	flat_load_b64 v[14:15], v[20:21] offset:384
	s_wait_loadcnt_dscnt 0x0
	v_mul_f64_e32 v[14:15], s[36:37], v[14:15]
	s_delay_alu instid0(VALU_DEP_1)
	v_fmac_f64_e32 v[14:15], s[6:7], v[12:13]
	flat_store_b64 v[18:19], v[14:15] offset:384
	s_branch .LBB6_2
.LBB6_11:
	s_sendmsg sendmsg(MSG_DEALLOC_VGPRS)
	s_endpgm
	.section	.rodata,"a",@progbits
	.p2align	6, 0x0
	.amdhsa_kernel _ZN12_GLOBAL__N_127rocblas_gemm_batched_kernelIdLi16ELi16ELi64ELi64ELi4ELi64ELi4ELi4ELi64ELc67ELc78EKPKdS3_KPdEEvlllT_PT11_llS8_llS6_PT12_llPT13_lli
		.amdhsa_group_segment_fixed_size 4096
		.amdhsa_private_segment_fixed_size 0
		.amdhsa_kernarg_size 140
		.amdhsa_user_sgpr_count 2
		.amdhsa_user_sgpr_dispatch_ptr 0
		.amdhsa_user_sgpr_queue_ptr 0
		.amdhsa_user_sgpr_kernarg_segment_ptr 1
		.amdhsa_user_sgpr_dispatch_id 0
		.amdhsa_user_sgpr_kernarg_preload_length 0
		.amdhsa_user_sgpr_kernarg_preload_offset 0
		.amdhsa_user_sgpr_private_segment_size 0
		.amdhsa_wavefront_size32 1
		.amdhsa_uses_dynamic_stack 0
		.amdhsa_enable_private_segment 0
		.amdhsa_system_sgpr_workgroup_id_x 1
		.amdhsa_system_sgpr_workgroup_id_y 1
		.amdhsa_system_sgpr_workgroup_id_z 1
		.amdhsa_system_sgpr_workgroup_info 0
		.amdhsa_system_vgpr_workitem_id 1
		.amdhsa_next_free_vgpr 100
		.amdhsa_next_free_sgpr 44
		.amdhsa_named_barrier_count 0
		.amdhsa_reserve_vcc 1
		.amdhsa_float_round_mode_32 0
		.amdhsa_float_round_mode_16_64 0
		.amdhsa_float_denorm_mode_32 3
		.amdhsa_float_denorm_mode_16_64 3
		.amdhsa_fp16_overflow 0
		.amdhsa_memory_ordered 1
		.amdhsa_forward_progress 1
		.amdhsa_inst_pref_size 18
		.amdhsa_round_robin_scheduling 0
		.amdhsa_exception_fp_ieee_invalid_op 0
		.amdhsa_exception_fp_denorm_src 0
		.amdhsa_exception_fp_ieee_div_zero 0
		.amdhsa_exception_fp_ieee_overflow 0
		.amdhsa_exception_fp_ieee_underflow 0
		.amdhsa_exception_fp_ieee_inexact 0
		.amdhsa_exception_int_div_zero 0
	.end_amdhsa_kernel
	.section	.text._ZN12_GLOBAL__N_127rocblas_gemm_batched_kernelIdLi16ELi16ELi64ELi64ELi4ELi64ELi4ELi4ELi64ELc67ELc78EKPKdS3_KPdEEvlllT_PT11_llS8_llS6_PT12_llPT13_lli,"axG",@progbits,_ZN12_GLOBAL__N_127rocblas_gemm_batched_kernelIdLi16ELi16ELi64ELi64ELi4ELi64ELi4ELi4ELi64ELc67ELc78EKPKdS3_KPdEEvlllT_PT11_llS8_llS6_PT12_llPT13_lli,comdat
.Lfunc_end6:
	.size	_ZN12_GLOBAL__N_127rocblas_gemm_batched_kernelIdLi16ELi16ELi64ELi64ELi4ELi64ELi4ELi4ELi64ELc67ELc78EKPKdS3_KPdEEvlllT_PT11_llS8_llS6_PT12_llPT13_lli, .Lfunc_end6-_ZN12_GLOBAL__N_127rocblas_gemm_batched_kernelIdLi16ELi16ELi64ELi64ELi4ELi64ELi4ELi4ELi64ELc67ELc78EKPKdS3_KPdEEvlllT_PT11_llS8_llS6_PT12_llPT13_lli
                                        ; -- End function
	.set _ZN12_GLOBAL__N_127rocblas_gemm_batched_kernelIdLi16ELi16ELi64ELi64ELi4ELi64ELi4ELi4ELi64ELc67ELc78EKPKdS3_KPdEEvlllT_PT11_llS8_llS6_PT12_llPT13_lli.num_vgpr, 100
	.set _ZN12_GLOBAL__N_127rocblas_gemm_batched_kernelIdLi16ELi16ELi64ELi64ELi4ELi64ELi4ELi4ELi64ELc67ELc78EKPKdS3_KPdEEvlllT_PT11_llS8_llS6_PT12_llPT13_lli.num_agpr, 0
	.set _ZN12_GLOBAL__N_127rocblas_gemm_batched_kernelIdLi16ELi16ELi64ELi64ELi4ELi64ELi4ELi4ELi64ELc67ELc78EKPKdS3_KPdEEvlllT_PT11_llS8_llS6_PT12_llPT13_lli.numbered_sgpr, 44
	.set _ZN12_GLOBAL__N_127rocblas_gemm_batched_kernelIdLi16ELi16ELi64ELi64ELi4ELi64ELi4ELi4ELi64ELc67ELc78EKPKdS3_KPdEEvlllT_PT11_llS8_llS6_PT12_llPT13_lli.num_named_barrier, 0
	.set _ZN12_GLOBAL__N_127rocblas_gemm_batched_kernelIdLi16ELi16ELi64ELi64ELi4ELi64ELi4ELi4ELi64ELc67ELc78EKPKdS3_KPdEEvlllT_PT11_llS8_llS6_PT12_llPT13_lli.private_seg_size, 0
	.set _ZN12_GLOBAL__N_127rocblas_gemm_batched_kernelIdLi16ELi16ELi64ELi64ELi4ELi64ELi4ELi4ELi64ELc67ELc78EKPKdS3_KPdEEvlllT_PT11_llS8_llS6_PT12_llPT13_lli.uses_vcc, 1
	.set _ZN12_GLOBAL__N_127rocblas_gemm_batched_kernelIdLi16ELi16ELi64ELi64ELi4ELi64ELi4ELi4ELi64ELc67ELc78EKPKdS3_KPdEEvlllT_PT11_llS8_llS6_PT12_llPT13_lli.uses_flat_scratch, 1
	.set _ZN12_GLOBAL__N_127rocblas_gemm_batched_kernelIdLi16ELi16ELi64ELi64ELi4ELi64ELi4ELi4ELi64ELc67ELc78EKPKdS3_KPdEEvlllT_PT11_llS8_llS6_PT12_llPT13_lli.has_dyn_sized_stack, 0
	.set _ZN12_GLOBAL__N_127rocblas_gemm_batched_kernelIdLi16ELi16ELi64ELi64ELi4ELi64ELi4ELi4ELi64ELc67ELc78EKPKdS3_KPdEEvlllT_PT11_llS8_llS6_PT12_llPT13_lli.has_recursion, 0
	.set _ZN12_GLOBAL__N_127rocblas_gemm_batched_kernelIdLi16ELi16ELi64ELi64ELi4ELi64ELi4ELi4ELi64ELc67ELc78EKPKdS3_KPdEEvlllT_PT11_llS8_llS6_PT12_llPT13_lli.has_indirect_call, 0
	.section	.AMDGPU.csdata,"",@progbits
; Kernel info:
; codeLenInByte = 2292
; TotalNumSgprs: 46
; NumVgprs: 100
; ScratchSize: 0
; MemoryBound: 0
; FloatMode: 240
; IeeeMode: 1
; LDSByteSize: 4096 bytes/workgroup (compile time only)
; SGPRBlocks: 0
; VGPRBlocks: 6
; NumSGPRsForWavesPerEU: 46
; NumVGPRsForWavesPerEU: 100
; NamedBarCnt: 0
; Occupancy: 9
; WaveLimiterHint : 1
; COMPUTE_PGM_RSRC2:SCRATCH_EN: 0
; COMPUTE_PGM_RSRC2:USER_SGPR: 2
; COMPUTE_PGM_RSRC2:TRAP_HANDLER: 0
; COMPUTE_PGM_RSRC2:TGID_X_EN: 1
; COMPUTE_PGM_RSRC2:TGID_Y_EN: 1
; COMPUTE_PGM_RSRC2:TGID_Z_EN: 1
; COMPUTE_PGM_RSRC2:TIDIG_COMP_CNT: 1
	.section	.text._ZN12_GLOBAL__N_127rocblas_gemm_batched_kernelIdLi16ELi16ELi64ELi64ELi4ELi64ELi4ELi4ELi64ELc67ELc84EKPKdS3_KPdEEvlllT_PT11_llS8_llS6_PT12_llPT13_lli,"axG",@progbits,_ZN12_GLOBAL__N_127rocblas_gemm_batched_kernelIdLi16ELi16ELi64ELi64ELi4ELi64ELi4ELi4ELi64ELc67ELc84EKPKdS3_KPdEEvlllT_PT11_llS8_llS6_PT12_llPT13_lli,comdat
	.globl	_ZN12_GLOBAL__N_127rocblas_gemm_batched_kernelIdLi16ELi16ELi64ELi64ELi4ELi64ELi4ELi4ELi64ELc67ELc84EKPKdS3_KPdEEvlllT_PT11_llS8_llS6_PT12_llPT13_lli ; -- Begin function _ZN12_GLOBAL__N_127rocblas_gemm_batched_kernelIdLi16ELi16ELi64ELi64ELi4ELi64ELi4ELi4ELi64ELc67ELc84EKPKdS3_KPdEEvlllT_PT11_llS8_llS6_PT12_llPT13_lli
	.p2align	8
	.type	_ZN12_GLOBAL__N_127rocblas_gemm_batched_kernelIdLi16ELi16ELi64ELi64ELi4ELi64ELi4ELi4ELi64ELc67ELc84EKPKdS3_KPdEEvlllT_PT11_llS8_llS6_PT12_llPT13_lli,@function
_ZN12_GLOBAL__N_127rocblas_gemm_batched_kernelIdLi16ELi16ELi64ELi64ELi4ELi64ELi4ELi4ELi64ELc67ELc84EKPKdS3_KPdEEvlllT_PT11_llS8_llS6_PT12_llPT13_lli: ; @_ZN12_GLOBAL__N_127rocblas_gemm_batched_kernelIdLi16ELi16ELi64ELi64ELi4ELi64ELi4ELi4ELi64ELc67ELc84EKPKdS3_KPdEEvlllT_PT11_llS8_llS6_PT12_llPT13_lli
; %bb.0:
	s_load_b32 s28, s[0:1], 0x88
	s_bfe_u32 s2, ttmp6, 0x40014
	s_lshr_b32 s3, ttmp7, 16
	s_add_co_i32 s2, s2, 1
	s_bfe_u32 s4, ttmp6, 0x40008
	s_mul_i32 s2, s3, s2
	s_getreg_b32 s29, hwreg(HW_REG_IB_STS2, 6, 4)
	s_add_co_i32 s4, s4, s2
	s_cmp_eq_u32 s29, 0
	s_cselect_b32 s2, s3, s4
	s_mov_b32 s3, 0
	s_wait_kmcnt 0x0
	s_cmp_ge_i32 s2, s28
	s_cbranch_scc1 .LBB7_11
; %bb.1:
	s_clause 0x2
	s_load_b512 s[4:19], s[0:1], 0x10
	s_load_b256 s[20:27], s[0:1], 0x70
	s_load_b256 s[36:43], s[0:1], 0x50
	v_bfe_u32 v2, v0, 10, 10
	v_and_b32_e32 v6, 0x3ff, v0
	s_wait_xcnt 0x0
	s_bfe_u32 s1, ttmp6, 0x4000c
	s_wait_kmcnt 0x0
	s_bfe_u32 s26, ttmp6, 0x40010
	s_add_co_i32 s1, s1, 1
	s_and_b32 s27, ttmp7, 0xffff
	s_add_co_i32 s26, s26, 1
	s_and_b32 s0, ttmp6, 15
	s_mul_i32 s1, ttmp9, s1
	s_mul_i32 s26, s27, s26
	s_bfe_u32 s30, ttmp6, 0x40004
	v_lshl_add_u32 v14, v2, 4, v6
	s_add_co_i32 s0, s0, s1
	s_add_co_i32 s30, s30, s26
	s_cmp_eq_u32 s29, 0
	v_dual_mov_b32 v3, 0 :: v_dual_bitop2_b32 v15, 3, v0 bitop3:0x40
	s_cselect_b32 s0, ttmp9, s0
	v_dual_lshrrev_b32 v8, 2, v14 :: v_dual_bitop2_b32 v16, 63, v14 bitop3:0x40
	s_cselect_b32 s29, s27, s30
	s_ashr_i32 s1, s0, 31
	v_mov_b32_e32 v7, v3
	s_lshl_b64 s[26:27], s[0:1], 6
	s_delay_alu instid0(SALU_CYCLE_1) | instskip(SKIP_3) | instid1(VALU_DEP_4)
	v_dual_mov_b32 v9, v3 :: v_dual_bitop2_b32 v0, s26, v16 bitop3:0x54
	v_mov_b32_e32 v1, s27
	v_cmp_eq_f64_e64 s1, s[36:37], 0
	v_lshlrev_b32_e32 v52, 3, v6
	v_mad_nc_u64_u32 v[10:11], s16, v15, v[8:9]
	v_lshlrev_b32_e32 v9, 3, v15
	v_mul_u64_e32 v[12:13], s[10:11], v[0:1]
	s_lshl_b32 s10, s29, 6
	s_mov_b32 s11, s3
	v_dual_lshrrev_b32 v17, 6, v14 :: v_dual_lshlrev_b32 v16, 3, v16
	v_add_nc_u64_e32 v[4:5], s[10:11], v[2:3]
	v_lshl_or_b32 v8, v8, 5, v9
	v_cmp_gt_i64_e64 s0, s[4:5], 0
	v_lshl_add_u32 v53, v2, 5, 0x800
	v_mad_u32 v11, s17, v15, v11
	v_add_nc_u64_e32 v[14:15], s[26:27], v[6:7]
	v_lshlrev_b32_e32 v2, 3, v17
	v_mul_u64_e32 v[0:1], s[22:23], v[4:5]
	v_mul_u64_e32 v[4:5], s[40:41], v[4:5]
	v_add_nc_u32_e32 v55, 0x800, v8
	v_lshl_or_b32 v54, v17, 9, v16
	s_lshl_b64 s[22:23], s[22:23], 4
	s_lshl_b64 s[26:27], s[40:41], 4
	;; [unrolled: 1-line block ×3, first 2 shown]
	v_add_nc_u64_e32 v[10:11], s[10:11], v[10:11]
	s_lshl_b64 s[10:11], s[12:13], 3
	s_lshl_b64 s[12:13], s[24:25], 3
	s_delay_alu instid0(VALU_DEP_1) | instskip(SKIP_3) | instid1(VALU_DEP_4)
	v_lshlrev_b64_e32 v[6:7], 3, v[10:11]
	v_lshlrev_b64_e32 v[10:11], 3, v[14:15]
	v_lshl_add_u64 v[8:9], v[12:13], 3, s[10:11]
	v_cndmask_b32_e64 v12, 0, 1, s0
	v_lshl_add_u64 v[6:7], s[18:19], 3, v[6:7]
	s_lshl_b64 s[10:11], s[16:17], 5
	s_lshl_b64 s[16:17], s[42:43], 3
	v_add_nc_u64_e32 v[8:9], v[8:9], v[2:3]
	v_cmp_ne_u32_e64 s0, 1, v12
	s_lshl_b64 s[18:19], s[26:27], 3
	s_branch .LBB7_3
.LBB7_2:                                ;   in Loop: Header=BB7_3 Depth=1
	s_add_co_i32 s2, s2, 0x10000
	s_delay_alu instid0(SALU_CYCLE_1)
	s_cmp_lt_i32 s2, s28
	s_cbranch_scc0 .LBB7_11
.LBB7_3:                                ; =>This Loop Header: Depth=1
                                        ;     Child Loop BB7_5 Depth 2
	s_wait_xcnt 0x0
	v_mov_b32_e32 v2, s2
	s_and_b32 vcc_lo, exec_lo, s0
	s_clause 0x1
	global_load_b64 v[30:31], v2, s[38:39] scale_offset
	global_load_b64 v[46:47], v2, s[20:21] scale_offset
	s_cbranch_vccnz .LBB7_6
; %bb.4:                                ;   in Loop: Header=BB7_3 Depth=1
	s_lshl_b64 s[24:25], s[2:3], 3
	v_mov_b64_e32 v[12:13], 0
	s_add_nc_u64 s[26:27], s[14:15], s[24:25]
	s_add_nc_u64 s[24:25], s[8:9], s[24:25]
	s_clause 0x1
	global_load_b64 v[44:45], v3, s[26:27]
	global_load_b64 v[50:51], v3, s[24:25]
	s_wait_xcnt 0x4
	v_mov_b64_e32 v[14:15], 0
	v_mov_b64_e32 v[16:17], 0
	;; [unrolled: 1-line block ×14, first 2 shown]
	s_wait_xcnt 0x0
	s_mov_b64 s[24:25], 0
	s_wait_loadcnt 0x1
	v_add_nc_u64_e32 v[48:49], v[44:45], v[6:7]
	s_wait_loadcnt 0x0
	v_add_nc_u64_e32 v[50:51], v[50:51], v[8:9]
	v_mov_b64_e32 v[44:45], 0
.LBB7_5:                                ;   Parent Loop BB7_3 Depth=1
                                        ; =>  This Inner Loop Header: Depth=2
	flat_load_b64 v[56:57], v[50:51]
	s_add_nc_u64 s[24:25], s[24:25], 4
	s_wait_xcnt 0x0
	v_add_nc_u64_e32 v[50:51], 32, v[50:51]
	v_cmp_lt_i64_e64 s26, s[24:25], s[4:5]
	s_and_b32 vcc_lo, exec_lo, s26
	s_wait_loadcnt_dscnt 0x0
	ds_store_b64 v54, v[56:57]
	flat_load_b64 v[56:57], v[48:49]
	s_wait_xcnt 0x0
	v_add_nc_u64_e32 v[48:49], s[10:11], v[48:49]
	s_wait_loadcnt_dscnt 0x0
	ds_store_b64 v55, v[56:57]
	s_wait_dscnt 0x0
	s_barrier_signal -1
	s_barrier_wait -1
	ds_load_b128 v[56:59], v53
	ds_load_2addr_b64 v[60:63], v52 offset1:16
	ds_load_b128 v[64:67], v53 offset:512
	ds_load_2addr_b64 v[68:71], v52 offset0:32 offset1:48
	ds_load_b128 v[72:75], v53 offset:1024
	ds_load_b128 v[76:79], v53 offset:1536
	ds_load_2addr_b64 v[80:83], v52 offset0:64 offset1:80
	ds_load_b128 v[84:87], v53 offset:16
	ds_load_b128 v[88:91], v53 offset:528
	;; [unrolled: 1-line block ×4, first 2 shown]
	s_wait_dscnt 0x9
	v_fmac_f64_e32 v[44:45], v[60:61], v[56:57]
	v_fmac_f64_e32 v[42:43], v[62:63], v[56:57]
	s_wait_dscnt 0x8
	v_fmac_f64_e32 v[36:37], v[60:61], v[64:65]
	v_fmac_f64_e32 v[34:35], v[62:63], v[64:65]
	;; [unrolled: 3-line block ×4, first 2 shown]
	v_fmac_f64_e32 v[32:33], v[68:69], v[64:65]
	v_fmac_f64_e32 v[28:29], v[70:71], v[64:65]
	s_wait_dscnt 0x5
	v_fmac_f64_e32 v[18:19], v[60:61], v[76:77]
	v_fmac_f64_e32 v[16:17], v[62:63], v[76:77]
	;; [unrolled: 1-line block ×6, first 2 shown]
	ds_load_2addr_b64 v[60:63], v52 offset0:96 offset1:112
	ds_load_2addr_b64 v[68:71], v52 offset0:128 offset1:144
	s_wait_dscnt 0x6
	v_fmac_f64_e32 v[44:45], v[80:81], v[58:59]
	v_fmac_f64_e32 v[42:43], v[82:83], v[58:59]
	;; [unrolled: 1-line block ×4, first 2 shown]
	s_wait_dscnt 0x1
	v_fmac_f64_e32 v[40:41], v[60:61], v[58:59]
	v_fmac_f64_e32 v[38:39], v[62:63], v[58:59]
	;; [unrolled: 1-line block ×12, first 2 shown]
	ds_load_2addr_b64 v[56:59], v52 offset0:160 offset1:176
	ds_load_2addr_b64 v[60:63], v52 offset0:192 offset1:208
	s_wait_dscnt 0x2
	v_fmac_f64_e32 v[44:45], v[68:69], v[84:85]
	v_fmac_f64_e32 v[42:43], v[70:71], v[84:85]
	;; [unrolled: 1-line block ×4, first 2 shown]
	s_wait_dscnt 0x1
	v_fmac_f64_e32 v[40:41], v[56:57], v[84:85]
	v_fmac_f64_e32 v[38:39], v[58:59], v[84:85]
	;; [unrolled: 1-line block ×12, first 2 shown]
	ds_load_2addr_b64 v[56:59], v52 offset0:224 offset1:240
	s_wait_dscnt 0x0
	s_barrier_signal -1
	s_barrier_wait -1
	v_fmac_f64_e32 v[44:45], v[60:61], v[86:87]
	v_fmac_f64_e32 v[42:43], v[62:63], v[86:87]
	;; [unrolled: 1-line block ×16, first 2 shown]
	s_cbranch_vccnz .LBB7_5
	s_branch .LBB7_7
.LBB7_6:                                ;   in Loop: Header=BB7_3 Depth=1
	v_mov_b64_e32 v[44:45], 0
	v_mov_b64_e32 v[42:43], 0
	;; [unrolled: 1-line block ×10, first 2 shown]
	s_wait_xcnt 0x6
	v_mov_b64_e32 v[22:23], 0
	s_wait_xcnt 0x3
	v_mov_b64_e32 v[20:21], 0
	;; [unrolled: 2-line block ×3, first 2 shown]
	v_mov_b64_e32 v[16:17], 0
	v_mov_b64_e32 v[14:15], 0
	;; [unrolled: 1-line block ×3, first 2 shown]
.LBB7_7:                                ;   in Loop: Header=BB7_3 Depth=1
	s_wait_loadcnt 0x0
	v_add_nc_u64_e32 v[46:47], s[12:13], v[46:47]
	s_and_not1_b32 vcc_lo, exec_lo, s1
	s_delay_alu instid0(VALU_DEP_1) | instskip(NEXT) | instid1(VALU_DEP_1)
	v_lshl_add_u64 v[46:47], v[0:1], 3, v[46:47]
	v_add_nc_u64_e32 v[48:49], v[46:47], v[10:11]
	v_add_nc_u64_e32 v[46:47], s[22:23], v[46:47]
	s_cbranch_vccnz .LBB7_9
; %bb.8:                                ;   in Loop: Header=BB7_3 Depth=1
	v_mul_f64_e32 v[50:51], s[6:7], v[44:45]
	v_mul_f64_e32 v[78:79], s[6:7], v[18:19]
	;; [unrolled: 1-line block ×16, first 2 shown]
	v_add_nc_u64_e32 v[86:87], s[22:23], v[46:47]
	v_add_nc_u64_e32 v[90:91], v[46:47], v[10:11]
	s_delay_alu instid0(VALU_DEP_2)
	v_add_nc_u64_e32 v[88:89], s[22:23], v[86:87]
	v_add_nc_u64_e32 v[86:87], v[86:87], v[10:11]
	s_clause 0xb
	flat_store_b64 v[48:49], v[50:51]
	flat_store_b64 v[48:49], v[56:57] offset:128
	flat_store_b64 v[48:49], v[58:59] offset:256
	flat_store_b64 v[48:49], v[60:61] offset:384
	flat_store_b64 v[90:91], v[62:63]
	flat_store_b64 v[90:91], v[64:65] offset:128
	flat_store_b64 v[90:91], v[66:67] offset:256
	flat_store_b64 v[90:91], v[68:69] offset:384
	;; [unrolled: 4-line block ×3, first 2 shown]
	v_add_nc_u64_e32 v[88:89], v[88:89], v[10:11]
	s_clause 0x3
	flat_store_b64 v[88:89], v[78:79]
	flat_store_b64 v[88:89], v[80:81] offset:128
	flat_store_b64 v[88:89], v[82:83] offset:256
	flat_store_b64 v[88:89], v[84:85] offset:384
	s_cbranch_execnz .LBB7_2
	s_branch .LBB7_10
.LBB7_9:                                ;   in Loop: Header=BB7_3 Depth=1
.LBB7_10:                               ;   in Loop: Header=BB7_3 Depth=1
	v_add_nc_u64_e32 v[30:31], s[16:17], v[30:31]
	s_delay_alu instid0(VALU_DEP_1) | instskip(SKIP_1) | instid1(VALU_DEP_1)
	v_lshl_add_u64 v[30:31], v[4:5], 3, v[30:31]
	s_wait_xcnt 0xf
	v_add_nc_u64_e32 v[50:51], v[30:31], v[10:11]
	v_add_nc_u64_e32 v[30:31], s[18:19], v[30:31]
	flat_load_b64 v[56:57], v[50:51]
	s_wait_loadcnt_dscnt 0x0
	v_mul_f64_e32 v[56:57], s[36:37], v[56:57]
	s_delay_alu instid0(VALU_DEP_1) | instskip(SKIP_4) | instid1(VALU_DEP_1)
	v_fmac_f64_e32 v[56:57], s[6:7], v[44:45]
	flat_store_b64 v[48:49], v[56:57]
	flat_load_b64 v[44:45], v[50:51] offset:128
	s_wait_loadcnt_dscnt 0x0
	v_mul_f64_e32 v[44:45], s[36:37], v[44:45]
	v_fmac_f64_e32 v[44:45], s[6:7], v[42:43]
	flat_store_b64 v[48:49], v[44:45] offset:128
	flat_load_b64 v[42:43], v[50:51] offset:256
	s_wait_loadcnt_dscnt 0x0
	v_mul_f64_e32 v[42:43], s[36:37], v[42:43]
	s_delay_alu instid0(VALU_DEP_1) | instskip(SKIP_4) | instid1(VALU_DEP_1)
	v_fmac_f64_e32 v[42:43], s[6:7], v[40:41]
	flat_store_b64 v[48:49], v[42:43] offset:256
	flat_load_b64 v[40:41], v[50:51] offset:384
	s_wait_loadcnt_dscnt 0x0
	v_mul_f64_e32 v[40:41], s[36:37], v[40:41]
	v_fmac_f64_e32 v[40:41], s[6:7], v[38:39]
	v_add_nc_u64_e32 v[38:39], v[30:31], v[10:11]
	flat_store_b64 v[48:49], v[40:41] offset:384
	flat_load_b64 v[40:41], v[38:39]
	s_wait_loadcnt_dscnt 0x0
	v_mul_f64_e32 v[40:41], s[36:37], v[40:41]
	s_delay_alu instid0(VALU_DEP_1)
	v_fmac_f64_e32 v[40:41], s[6:7], v[36:37]
	v_add_nc_u64_e32 v[36:37], v[46:47], v[10:11]
	flat_store_b64 v[36:37], v[40:41]
	flat_load_b64 v[40:41], v[38:39] offset:128
	s_wait_loadcnt_dscnt 0x0
	v_mul_f64_e32 v[40:41], s[36:37], v[40:41]
	s_delay_alu instid0(VALU_DEP_1) | instskip(SKIP_4) | instid1(VALU_DEP_1)
	v_fmac_f64_e32 v[40:41], s[6:7], v[34:35]
	flat_store_b64 v[36:37], v[40:41] offset:128
	flat_load_b64 v[34:35], v[38:39] offset:256
	s_wait_loadcnt_dscnt 0x0
	v_mul_f64_e32 v[34:35], s[36:37], v[34:35]
	v_fmac_f64_e32 v[34:35], s[6:7], v[32:33]
	flat_store_b64 v[36:37], v[34:35] offset:256
	flat_load_b64 v[32:33], v[38:39] offset:384
	s_wait_loadcnt_dscnt 0x0
	v_mul_f64_e32 v[32:33], s[36:37], v[32:33]
	s_delay_alu instid0(VALU_DEP_1) | instskip(SKIP_1) | instid1(VALU_DEP_1)
	v_fmac_f64_e32 v[32:33], s[6:7], v[28:29]
	v_add_nc_u64_e32 v[28:29], s[18:19], v[30:31]
	v_add_nc_u64_e32 v[30:31], v[28:29], v[10:11]
	flat_store_b64 v[36:37], v[32:33] offset:384
	flat_load_b64 v[32:33], v[30:31]
	s_wait_loadcnt_dscnt 0x0
	v_mul_f64_e32 v[32:33], s[36:37], v[32:33]
	s_delay_alu instid0(VALU_DEP_1) | instskip(SKIP_1) | instid1(VALU_DEP_1)
	v_fmac_f64_e32 v[32:33], s[6:7], v[26:27]
	v_add_nc_u64_e32 v[26:27], s[22:23], v[46:47]
	v_add_nc_u64_e32 v[34:35], v[26:27], v[10:11]
	flat_store_b64 v[34:35], v[32:33]
	flat_load_b64 v[32:33], v[30:31] offset:128
	s_wait_loadcnt_dscnt 0x0
	v_mul_f64_e32 v[32:33], s[36:37], v[32:33]
	s_delay_alu instid0(VALU_DEP_1) | instskip(SKIP_4) | instid1(VALU_DEP_1)
	v_fmac_f64_e32 v[32:33], s[6:7], v[24:25]
	flat_store_b64 v[34:35], v[32:33] offset:128
	flat_load_b64 v[24:25], v[30:31] offset:256
	s_wait_loadcnt_dscnt 0x0
	v_mul_f64_e32 v[24:25], s[36:37], v[24:25]
	v_fmac_f64_e32 v[24:25], s[6:7], v[22:23]
	flat_store_b64 v[34:35], v[24:25] offset:256
	flat_load_b64 v[22:23], v[30:31] offset:384
	s_wait_loadcnt_dscnt 0x0
	v_mul_f64_e32 v[22:23], s[36:37], v[22:23]
	s_delay_alu instid0(VALU_DEP_1) | instskip(SKIP_1) | instid1(VALU_DEP_1)
	v_fmac_f64_e32 v[22:23], s[6:7], v[20:21]
	v_add_nc_u64_e32 v[20:21], s[18:19], v[28:29]
	v_add_nc_u64_e32 v[20:21], v[20:21], v[10:11]
	flat_store_b64 v[34:35], v[22:23] offset:384
	flat_load_b64 v[22:23], v[20:21]
	s_wait_loadcnt_dscnt 0x0
	v_mul_f64_e32 v[22:23], s[36:37], v[22:23]
	s_delay_alu instid0(VALU_DEP_1) | instskip(SKIP_1) | instid1(VALU_DEP_1)
	v_fmac_f64_e32 v[22:23], s[6:7], v[18:19]
	v_add_nc_u64_e32 v[18:19], s[22:23], v[26:27]
	v_add_nc_u64_e32 v[18:19], v[18:19], v[10:11]
	flat_store_b64 v[18:19], v[22:23]
	flat_load_b64 v[22:23], v[20:21] offset:128
	s_wait_loadcnt_dscnt 0x0
	v_mul_f64_e32 v[22:23], s[36:37], v[22:23]
	s_delay_alu instid0(VALU_DEP_1) | instskip(SKIP_4) | instid1(VALU_DEP_1)
	v_fmac_f64_e32 v[22:23], s[6:7], v[16:17]
	flat_store_b64 v[18:19], v[22:23] offset:128
	flat_load_b64 v[16:17], v[20:21] offset:256
	s_wait_loadcnt_dscnt 0x0
	v_mul_f64_e32 v[16:17], s[36:37], v[16:17]
	v_fmac_f64_e32 v[16:17], s[6:7], v[14:15]
	flat_store_b64 v[18:19], v[16:17] offset:256
	flat_load_b64 v[14:15], v[20:21] offset:384
	s_wait_loadcnt_dscnt 0x0
	v_mul_f64_e32 v[14:15], s[36:37], v[14:15]
	s_delay_alu instid0(VALU_DEP_1)
	v_fmac_f64_e32 v[14:15], s[6:7], v[12:13]
	flat_store_b64 v[18:19], v[14:15] offset:384
	s_branch .LBB7_2
.LBB7_11:
	s_sendmsg sendmsg(MSG_DEALLOC_VGPRS)
	s_endpgm
	.section	.rodata,"a",@progbits
	.p2align	6, 0x0
	.amdhsa_kernel _ZN12_GLOBAL__N_127rocblas_gemm_batched_kernelIdLi16ELi16ELi64ELi64ELi4ELi64ELi4ELi4ELi64ELc67ELc84EKPKdS3_KPdEEvlllT_PT11_llS8_llS6_PT12_llPT13_lli
		.amdhsa_group_segment_fixed_size 4096
		.amdhsa_private_segment_fixed_size 0
		.amdhsa_kernarg_size 140
		.amdhsa_user_sgpr_count 2
		.amdhsa_user_sgpr_dispatch_ptr 0
		.amdhsa_user_sgpr_queue_ptr 0
		.amdhsa_user_sgpr_kernarg_segment_ptr 1
		.amdhsa_user_sgpr_dispatch_id 0
		.amdhsa_user_sgpr_kernarg_preload_length 0
		.amdhsa_user_sgpr_kernarg_preload_offset 0
		.amdhsa_user_sgpr_private_segment_size 0
		.amdhsa_wavefront_size32 1
		.amdhsa_uses_dynamic_stack 0
		.amdhsa_enable_private_segment 0
		.amdhsa_system_sgpr_workgroup_id_x 1
		.amdhsa_system_sgpr_workgroup_id_y 1
		.amdhsa_system_sgpr_workgroup_id_z 1
		.amdhsa_system_sgpr_workgroup_info 0
		.amdhsa_system_vgpr_workitem_id 1
		.amdhsa_next_free_vgpr 100
		.amdhsa_next_free_sgpr 44
		.amdhsa_named_barrier_count 0
		.amdhsa_reserve_vcc 1
		.amdhsa_float_round_mode_32 0
		.amdhsa_float_round_mode_16_64 0
		.amdhsa_float_denorm_mode_32 3
		.amdhsa_float_denorm_mode_16_64 3
		.amdhsa_fp16_overflow 0
		.amdhsa_memory_ordered 1
		.amdhsa_forward_progress 1
		.amdhsa_inst_pref_size 18
		.amdhsa_round_robin_scheduling 0
		.amdhsa_exception_fp_ieee_invalid_op 0
		.amdhsa_exception_fp_denorm_src 0
		.amdhsa_exception_fp_ieee_div_zero 0
		.amdhsa_exception_fp_ieee_overflow 0
		.amdhsa_exception_fp_ieee_underflow 0
		.amdhsa_exception_fp_ieee_inexact 0
		.amdhsa_exception_int_div_zero 0
	.end_amdhsa_kernel
	.section	.text._ZN12_GLOBAL__N_127rocblas_gemm_batched_kernelIdLi16ELi16ELi64ELi64ELi4ELi64ELi4ELi4ELi64ELc67ELc84EKPKdS3_KPdEEvlllT_PT11_llS8_llS6_PT12_llPT13_lli,"axG",@progbits,_ZN12_GLOBAL__N_127rocblas_gemm_batched_kernelIdLi16ELi16ELi64ELi64ELi4ELi64ELi4ELi4ELi64ELc67ELc84EKPKdS3_KPdEEvlllT_PT11_llS8_llS6_PT12_llPT13_lli,comdat
.Lfunc_end7:
	.size	_ZN12_GLOBAL__N_127rocblas_gemm_batched_kernelIdLi16ELi16ELi64ELi64ELi4ELi64ELi4ELi4ELi64ELc67ELc84EKPKdS3_KPdEEvlllT_PT11_llS8_llS6_PT12_llPT13_lli, .Lfunc_end7-_ZN12_GLOBAL__N_127rocblas_gemm_batched_kernelIdLi16ELi16ELi64ELi64ELi4ELi64ELi4ELi4ELi64ELc67ELc84EKPKdS3_KPdEEvlllT_PT11_llS8_llS6_PT12_llPT13_lli
                                        ; -- End function
	.set _ZN12_GLOBAL__N_127rocblas_gemm_batched_kernelIdLi16ELi16ELi64ELi64ELi4ELi64ELi4ELi4ELi64ELc67ELc84EKPKdS3_KPdEEvlllT_PT11_llS8_llS6_PT12_llPT13_lli.num_vgpr, 100
	.set _ZN12_GLOBAL__N_127rocblas_gemm_batched_kernelIdLi16ELi16ELi64ELi64ELi4ELi64ELi4ELi4ELi64ELc67ELc84EKPKdS3_KPdEEvlllT_PT11_llS8_llS6_PT12_llPT13_lli.num_agpr, 0
	.set _ZN12_GLOBAL__N_127rocblas_gemm_batched_kernelIdLi16ELi16ELi64ELi64ELi4ELi64ELi4ELi4ELi64ELc67ELc84EKPKdS3_KPdEEvlllT_PT11_llS8_llS6_PT12_llPT13_lli.numbered_sgpr, 44
	.set _ZN12_GLOBAL__N_127rocblas_gemm_batched_kernelIdLi16ELi16ELi64ELi64ELi4ELi64ELi4ELi4ELi64ELc67ELc84EKPKdS3_KPdEEvlllT_PT11_llS8_llS6_PT12_llPT13_lli.num_named_barrier, 0
	.set _ZN12_GLOBAL__N_127rocblas_gemm_batched_kernelIdLi16ELi16ELi64ELi64ELi4ELi64ELi4ELi4ELi64ELc67ELc84EKPKdS3_KPdEEvlllT_PT11_llS8_llS6_PT12_llPT13_lli.private_seg_size, 0
	.set _ZN12_GLOBAL__N_127rocblas_gemm_batched_kernelIdLi16ELi16ELi64ELi64ELi4ELi64ELi4ELi4ELi64ELc67ELc84EKPKdS3_KPdEEvlllT_PT11_llS8_llS6_PT12_llPT13_lli.uses_vcc, 1
	.set _ZN12_GLOBAL__N_127rocblas_gemm_batched_kernelIdLi16ELi16ELi64ELi64ELi4ELi64ELi4ELi4ELi64ELc67ELc84EKPKdS3_KPdEEvlllT_PT11_llS8_llS6_PT12_llPT13_lli.uses_flat_scratch, 1
	.set _ZN12_GLOBAL__N_127rocblas_gemm_batched_kernelIdLi16ELi16ELi64ELi64ELi4ELi64ELi4ELi4ELi64ELc67ELc84EKPKdS3_KPdEEvlllT_PT11_llS8_llS6_PT12_llPT13_lli.has_dyn_sized_stack, 0
	.set _ZN12_GLOBAL__N_127rocblas_gemm_batched_kernelIdLi16ELi16ELi64ELi64ELi4ELi64ELi4ELi4ELi64ELc67ELc84EKPKdS3_KPdEEvlllT_PT11_llS8_llS6_PT12_llPT13_lli.has_recursion, 0
	.set _ZN12_GLOBAL__N_127rocblas_gemm_batched_kernelIdLi16ELi16ELi64ELi64ELi4ELi64ELi4ELi4ELi64ELc67ELc84EKPKdS3_KPdEEvlllT_PT11_llS8_llS6_PT12_llPT13_lli.has_indirect_call, 0
	.section	.AMDGPU.csdata,"",@progbits
; Kernel info:
; codeLenInByte = 2300
; TotalNumSgprs: 46
; NumVgprs: 100
; ScratchSize: 0
; MemoryBound: 0
; FloatMode: 240
; IeeeMode: 1
; LDSByteSize: 4096 bytes/workgroup (compile time only)
; SGPRBlocks: 0
; VGPRBlocks: 6
; NumSGPRsForWavesPerEU: 46
; NumVGPRsForWavesPerEU: 100
; NamedBarCnt: 0
; Occupancy: 9
; WaveLimiterHint : 1
; COMPUTE_PGM_RSRC2:SCRATCH_EN: 0
; COMPUTE_PGM_RSRC2:USER_SGPR: 2
; COMPUTE_PGM_RSRC2:TRAP_HANDLER: 0
; COMPUTE_PGM_RSRC2:TGID_X_EN: 1
; COMPUTE_PGM_RSRC2:TGID_Y_EN: 1
; COMPUTE_PGM_RSRC2:TGID_Z_EN: 1
; COMPUTE_PGM_RSRC2:TIDIG_COMP_CNT: 1
	.section	.text._ZN12_GLOBAL__N_127rocblas_gemm_batched_kernelIdLi16ELi16ELi64ELi64ELi4ELi64ELi4ELi4ELi64ELc78ELc67EKPKdS3_KPdEEvlllT_PT11_llS8_llS6_PT12_llPT13_lli,"axG",@progbits,_ZN12_GLOBAL__N_127rocblas_gemm_batched_kernelIdLi16ELi16ELi64ELi64ELi4ELi64ELi4ELi4ELi64ELc78ELc67EKPKdS3_KPdEEvlllT_PT11_llS8_llS6_PT12_llPT13_lli,comdat
	.globl	_ZN12_GLOBAL__N_127rocblas_gemm_batched_kernelIdLi16ELi16ELi64ELi64ELi4ELi64ELi4ELi4ELi64ELc78ELc67EKPKdS3_KPdEEvlllT_PT11_llS8_llS6_PT12_llPT13_lli ; -- Begin function _ZN12_GLOBAL__N_127rocblas_gemm_batched_kernelIdLi16ELi16ELi64ELi64ELi4ELi64ELi4ELi4ELi64ELc78ELc67EKPKdS3_KPdEEvlllT_PT11_llS8_llS6_PT12_llPT13_lli
	.p2align	8
	.type	_ZN12_GLOBAL__N_127rocblas_gemm_batched_kernelIdLi16ELi16ELi64ELi64ELi4ELi64ELi4ELi4ELi64ELc78ELc67EKPKdS3_KPdEEvlllT_PT11_llS8_llS6_PT12_llPT13_lli,@function
_ZN12_GLOBAL__N_127rocblas_gemm_batched_kernelIdLi16ELi16ELi64ELi64ELi4ELi64ELi4ELi4ELi64ELc78ELc67EKPKdS3_KPdEEvlllT_PT11_llS8_llS6_PT12_llPT13_lli: ; @_ZN12_GLOBAL__N_127rocblas_gemm_batched_kernelIdLi16ELi16ELi64ELi64ELi4ELi64ELi4ELi4ELi64ELc78ELc67EKPKdS3_KPdEEvlllT_PT11_llS8_llS6_PT12_llPT13_lli
; %bb.0:
	s_load_b32 s28, s[0:1], 0x88
	s_bfe_u32 s2, ttmp6, 0x40014
	s_lshr_b32 s3, ttmp7, 16
	s_add_co_i32 s2, s2, 1
	s_bfe_u32 s4, ttmp6, 0x40008
	s_mul_i32 s2, s3, s2
	s_getreg_b32 s29, hwreg(HW_REG_IB_STS2, 6, 4)
	s_add_co_i32 s4, s4, s2
	s_cmp_eq_u32 s29, 0
	s_cselect_b32 s2, s3, s4
	s_mov_b32 s3, 0
	s_wait_kmcnt 0x0
	s_cmp_ge_i32 s2, s28
	s_cbranch_scc1 .LBB8_11
; %bb.1:
	s_clause 0x1
	s_load_b512 s[4:19], s[0:1], 0x10
	s_load_b256 s[20:27], s[0:1], 0x70
	v_bfe_u32 v2, v0, 10, 10
	v_and_b32_e32 v6, 0x3ff, v0
	s_load_b256 s[36:43], s[0:1], 0x50
	s_wait_xcnt 0x0
	s_bfe_u32 s0, ttmp6, 0x4000c
	s_wait_kmcnt 0x0
	s_bfe_u32 s26, ttmp6, 0x40010
	s_add_co_i32 s0, s0, 1
	s_and_b32 s27, ttmp7, 0xffff
	s_add_co_i32 s26, s26, 1
	s_and_b32 s1, ttmp6, 15
	s_mul_i32 s0, ttmp9, s0
	s_mul_i32 s26, s27, s26
	s_bfe_u32 s30, ttmp6, 0x40004
	v_dual_mov_b32 v3, 0 :: v_dual_bitop2_b32 v16, 3, v0 bitop3:0x40
	v_lshl_add_u32 v14, v2, 4, v6
	s_add_co_i32 s1, s1, s0
	s_add_co_i32 s30, s30, s26
	s_cmp_eq_u32 s29, 0
	s_delay_alu instid0(VALU_DEP_1)
	v_dual_mov_b32 v9, v3 :: v_dual_lshrrev_b32 v8, 2, v14
	s_cselect_b32 s0, ttmp9, s1
	v_dual_lshrrev_b32 v17, 6, v14 :: v_dual_mov_b32 v7, v3
	s_cselect_b32 s29, s27, s30
	s_ashr_i32 s1, s0, 31
	v_mad_nc_u64_u32 v[10:11], s16, v16, v[8:9]
	s_lshl_b64 s[26:27], s[0:1], 6
	s_lshl_b32 s30, s29, 6
	v_mad_nc_u64_u32 v[12:13], s10, v17, s[26:27]
	s_mov_b32 s31, s3
	v_cmp_eq_f64_e64 s1, s[36:37], 0
	v_add_nc_u64_e32 v[4:5], s[30:31], v[2:3]
	v_dual_mov_b32 v15, v3 :: v_dual_bitop2_b32 v14, 63, v14 bitop3:0x40
	v_dual_lshlrev_b32 v9, 3, v16 :: v_dual_lshlrev_b32 v52, 3, v6
	v_mad_u32 v11, s17, v16, v11
	v_cmp_gt_i64_e64 s0, s[4:5], 0
	v_mul_u64_e32 v[0:1], s[22:23], v[4:5]
	v_mul_u64_e32 v[4:5], s[40:41], v[4:5]
	v_mad_u32 v13, s11, v17, v13
	v_lshl_or_b32 v8, v8, 5, v9
	v_lshlrev_b32_e32 v16, 3, v14
	v_lshl_add_u32 v2, v2, 5, 0x800
	s_lshl_b64 s[16:17], s[16:17], 5
	s_lshl_b64 s[10:11], s[10:11], 5
	v_add_nc_u32_e32 v54, 0x800, v8
	v_add_nc_u64_e32 v[10:11], s[30:31], v[10:11]
	v_lshl_or_b32 v53, v17, 9, v16
	v_add_nc_u64_e32 v[12:13], v[12:13], v[14:15]
	v_add_nc_u64_e32 v[14:15], s[26:27], v[6:7]
	s_lshl_b64 s[26:27], s[22:23], 4
	s_delay_alu instid0(VALU_DEP_4) | instskip(SKIP_1) | instid1(SALU_CYCLE_1)
	v_lshlrev_b64_e32 v[6:7], 3, v[10:11]
	s_lshl_b64 s[22:23], s[40:41], 4
	s_lshl_b64 s[22:23], s[22:23], 3
	s_delay_alu instid0(VALU_DEP_3) | instskip(SKIP_2) | instid1(VALU_DEP_4)
	v_lshlrev_b64_e32 v[8:9], 3, v[12:13]
	v_cndmask_b32_e64 v12, 0, 1, s0
	v_lshlrev_b64_e32 v[10:11], 3, v[14:15]
	v_lshl_add_u64 v[6:7], s[18:19], 3, v[6:7]
	s_lshl_b64 s[18:19], s[42:43], 3
	s_delay_alu instid0(VALU_DEP_3)
	v_cmp_ne_u32_e64 s0, 1, v12
	v_lshl_add_u64 v[8:9], s[12:13], 3, v[8:9]
	s_lshl_b64 s[12:13], s[24:25], 3
	s_lshl_b64 s[24:25], s[26:27], 3
	s_branch .LBB8_3
.LBB8_2:                                ;   in Loop: Header=BB8_3 Depth=1
	s_add_co_i32 s2, s2, 0x10000
	s_delay_alu instid0(SALU_CYCLE_1)
	s_cmp_lt_i32 s2, s28
	s_cbranch_scc0 .LBB8_11
.LBB8_3:                                ; =>This Loop Header: Depth=1
                                        ;     Child Loop BB8_5 Depth 2
	v_mov_b32_e32 v12, s2
	s_and_b32 vcc_lo, exec_lo, s0
	s_clause 0x1
	global_load_b64 v[30:31], v12, s[38:39] scale_offset
	global_load_b64 v[46:47], v12, s[20:21] scale_offset
	s_cbranch_vccnz .LBB8_6
; %bb.4:                                ;   in Loop: Header=BB8_3 Depth=1
	s_lshl_b64 s[26:27], s[2:3], 3
	s_wait_xcnt 0x0
	v_mov_b64_e32 v[12:13], 0
	s_add_nc_u64 s[30:31], s[14:15], s[26:27]
	s_add_nc_u64 s[26:27], s[8:9], s[26:27]
	s_clause 0x1
	global_load_b64 v[44:45], v3, s[30:31]
	global_load_b64 v[50:51], v3, s[26:27]
	v_mov_b64_e32 v[14:15], 0
	v_mov_b64_e32 v[16:17], 0
	;; [unrolled: 1-line block ×14, first 2 shown]
	s_wait_xcnt 0x0
	s_mov_b64 s[26:27], 0
	s_wait_loadcnt 0x1
	v_add_nc_u64_e32 v[48:49], v[44:45], v[6:7]
	s_wait_loadcnt 0x0
	v_add_nc_u64_e32 v[50:51], v[50:51], v[8:9]
	v_mov_b64_e32 v[44:45], 0
.LBB8_5:                                ;   Parent Loop BB8_3 Depth=1
                                        ; =>  This Inner Loop Header: Depth=2
	flat_load_b64 v[56:57], v[50:51]
	s_add_nc_u64 s[26:27], s[26:27], 4
	s_wait_xcnt 0x0
	v_add_nc_u64_e32 v[50:51], s[10:11], v[50:51]
	v_cmp_lt_i64_e64 s29, s[26:27], s[4:5]
	s_and_b32 vcc_lo, exec_lo, s29
	s_wait_loadcnt_dscnt 0x0
	ds_store_b64 v53, v[56:57]
	flat_load_b64 v[56:57], v[48:49]
	s_wait_xcnt 0x0
	v_add_nc_u64_e32 v[48:49], s[16:17], v[48:49]
	s_wait_loadcnt_dscnt 0x0
	ds_store_b64 v54, v[56:57]
	s_wait_dscnt 0x0
	s_barrier_signal -1
	s_barrier_wait -1
	ds_load_b128 v[56:59], v2
	ds_load_2addr_b64 v[60:63], v52 offset1:16
	ds_load_b128 v[64:67], v2 offset:512
	ds_load_2addr_b64 v[68:71], v52 offset0:32 offset1:48
	ds_load_b128 v[72:75], v2 offset:1024
	ds_load_b128 v[76:79], v2 offset:1536
	ds_load_2addr_b64 v[80:83], v52 offset0:64 offset1:80
	ds_load_b128 v[84:87], v2 offset:16
	ds_load_b128 v[88:91], v2 offset:528
	;; [unrolled: 1-line block ×4, first 2 shown]
	s_wait_dscnt 0x9
	v_fmac_f64_e32 v[44:45], v[60:61], v[56:57]
	v_fmac_f64_e32 v[42:43], v[62:63], v[56:57]
	s_wait_dscnt 0x8
	v_fmac_f64_e32 v[36:37], v[60:61], v[64:65]
	v_fmac_f64_e32 v[34:35], v[62:63], v[64:65]
	;; [unrolled: 3-line block ×4, first 2 shown]
	v_fmac_f64_e32 v[32:33], v[68:69], v[64:65]
	v_fmac_f64_e32 v[28:29], v[70:71], v[64:65]
	s_wait_dscnt 0x5
	v_fmac_f64_e32 v[18:19], v[60:61], v[76:77]
	v_fmac_f64_e32 v[16:17], v[62:63], v[76:77]
	;; [unrolled: 1-line block ×6, first 2 shown]
	ds_load_2addr_b64 v[60:63], v52 offset0:96 offset1:112
	ds_load_2addr_b64 v[68:71], v52 offset0:128 offset1:144
	s_wait_dscnt 0x6
	v_fmac_f64_e32 v[44:45], v[80:81], v[58:59]
	v_fmac_f64_e32 v[42:43], v[82:83], v[58:59]
	;; [unrolled: 1-line block ×4, first 2 shown]
	s_wait_dscnt 0x1
	v_fmac_f64_e32 v[40:41], v[60:61], v[58:59]
	v_fmac_f64_e32 v[38:39], v[62:63], v[58:59]
	;; [unrolled: 1-line block ×12, first 2 shown]
	ds_load_2addr_b64 v[56:59], v52 offset0:160 offset1:176
	ds_load_2addr_b64 v[60:63], v52 offset0:192 offset1:208
	s_wait_dscnt 0x2
	v_fmac_f64_e32 v[44:45], v[68:69], v[84:85]
	v_fmac_f64_e32 v[42:43], v[70:71], v[84:85]
	;; [unrolled: 1-line block ×4, first 2 shown]
	s_wait_dscnt 0x1
	v_fmac_f64_e32 v[40:41], v[56:57], v[84:85]
	v_fmac_f64_e32 v[38:39], v[58:59], v[84:85]
	;; [unrolled: 1-line block ×12, first 2 shown]
	ds_load_2addr_b64 v[56:59], v52 offset0:224 offset1:240
	s_wait_dscnt 0x0
	s_barrier_signal -1
	s_barrier_wait -1
	v_fmac_f64_e32 v[44:45], v[60:61], v[86:87]
	v_fmac_f64_e32 v[42:43], v[62:63], v[86:87]
	;; [unrolled: 1-line block ×16, first 2 shown]
	s_cbranch_vccnz .LBB8_5
	s_branch .LBB8_7
.LBB8_6:                                ;   in Loop: Header=BB8_3 Depth=1
	v_mov_b64_e32 v[44:45], 0
	v_mov_b64_e32 v[42:43], 0
	v_mov_b64_e32 v[40:41], 0
	v_mov_b64_e32 v[38:39], 0
	v_mov_b64_e32 v[36:37], 0
	v_mov_b64_e32 v[34:35], 0
	v_mov_b64_e32 v[32:33], 0
	v_mov_b64_e32 v[28:29], 0
	v_mov_b64_e32 v[26:27], 0
	v_mov_b64_e32 v[24:25], 0
	s_wait_xcnt 0x6
	v_mov_b64_e32 v[22:23], 0
	s_wait_xcnt 0x3
	v_mov_b64_e32 v[20:21], 0
	;; [unrolled: 2-line block ×3, first 2 shown]
	v_mov_b64_e32 v[16:17], 0
	v_mov_b64_e32 v[14:15], 0
	s_wait_xcnt 0x0
	v_mov_b64_e32 v[12:13], 0
.LBB8_7:                                ;   in Loop: Header=BB8_3 Depth=1
	s_wait_loadcnt 0x0
	v_add_nc_u64_e32 v[46:47], s[12:13], v[46:47]
	s_and_not1_b32 vcc_lo, exec_lo, s1
	s_delay_alu instid0(VALU_DEP_1) | instskip(NEXT) | instid1(VALU_DEP_1)
	v_lshl_add_u64 v[46:47], v[0:1], 3, v[46:47]
	v_add_nc_u64_e32 v[48:49], v[46:47], v[10:11]
	v_add_nc_u64_e32 v[46:47], s[24:25], v[46:47]
	s_cbranch_vccnz .LBB8_9
; %bb.8:                                ;   in Loop: Header=BB8_3 Depth=1
	v_mul_f64_e32 v[50:51], s[6:7], v[44:45]
	v_mul_f64_e32 v[78:79], s[6:7], v[18:19]
	;; [unrolled: 1-line block ×16, first 2 shown]
	v_add_nc_u64_e32 v[86:87], s[24:25], v[46:47]
	v_add_nc_u64_e32 v[90:91], v[46:47], v[10:11]
	s_delay_alu instid0(VALU_DEP_2)
	v_add_nc_u64_e32 v[88:89], s[24:25], v[86:87]
	v_add_nc_u64_e32 v[86:87], v[86:87], v[10:11]
	s_clause 0xb
	flat_store_b64 v[48:49], v[50:51]
	flat_store_b64 v[48:49], v[56:57] offset:128
	flat_store_b64 v[48:49], v[58:59] offset:256
	flat_store_b64 v[48:49], v[60:61] offset:384
	flat_store_b64 v[90:91], v[62:63]
	flat_store_b64 v[90:91], v[64:65] offset:128
	flat_store_b64 v[90:91], v[66:67] offset:256
	flat_store_b64 v[90:91], v[68:69] offset:384
	;; [unrolled: 4-line block ×3, first 2 shown]
	v_add_nc_u64_e32 v[88:89], v[88:89], v[10:11]
	s_clause 0x3
	flat_store_b64 v[88:89], v[78:79]
	flat_store_b64 v[88:89], v[80:81] offset:128
	flat_store_b64 v[88:89], v[82:83] offset:256
	;; [unrolled: 1-line block ×3, first 2 shown]
	s_cbranch_execnz .LBB8_2
	s_branch .LBB8_10
.LBB8_9:                                ;   in Loop: Header=BB8_3 Depth=1
.LBB8_10:                               ;   in Loop: Header=BB8_3 Depth=1
	v_add_nc_u64_e32 v[30:31], s[18:19], v[30:31]
	s_delay_alu instid0(VALU_DEP_1) | instskip(SKIP_1) | instid1(VALU_DEP_1)
	v_lshl_add_u64 v[30:31], v[4:5], 3, v[30:31]
	s_wait_xcnt 0xf
	v_add_nc_u64_e32 v[50:51], v[30:31], v[10:11]
	v_add_nc_u64_e32 v[30:31], s[22:23], v[30:31]
	flat_load_b64 v[56:57], v[50:51]
	s_wait_loadcnt_dscnt 0x0
	v_mul_f64_e32 v[56:57], s[36:37], v[56:57]
	s_delay_alu instid0(VALU_DEP_1) | instskip(SKIP_4) | instid1(VALU_DEP_1)
	v_fmac_f64_e32 v[56:57], s[6:7], v[44:45]
	flat_store_b64 v[48:49], v[56:57]
	flat_load_b64 v[44:45], v[50:51] offset:128
	s_wait_loadcnt_dscnt 0x0
	v_mul_f64_e32 v[44:45], s[36:37], v[44:45]
	v_fmac_f64_e32 v[44:45], s[6:7], v[42:43]
	flat_store_b64 v[48:49], v[44:45] offset:128
	flat_load_b64 v[42:43], v[50:51] offset:256
	s_wait_loadcnt_dscnt 0x0
	v_mul_f64_e32 v[42:43], s[36:37], v[42:43]
	s_delay_alu instid0(VALU_DEP_1) | instskip(SKIP_4) | instid1(VALU_DEP_1)
	v_fmac_f64_e32 v[42:43], s[6:7], v[40:41]
	flat_store_b64 v[48:49], v[42:43] offset:256
	flat_load_b64 v[40:41], v[50:51] offset:384
	s_wait_loadcnt_dscnt 0x0
	v_mul_f64_e32 v[40:41], s[36:37], v[40:41]
	v_fmac_f64_e32 v[40:41], s[6:7], v[38:39]
	v_add_nc_u64_e32 v[38:39], v[30:31], v[10:11]
	flat_store_b64 v[48:49], v[40:41] offset:384
	flat_load_b64 v[40:41], v[38:39]
	s_wait_loadcnt_dscnt 0x0
	v_mul_f64_e32 v[40:41], s[36:37], v[40:41]
	s_delay_alu instid0(VALU_DEP_1)
	v_fmac_f64_e32 v[40:41], s[6:7], v[36:37]
	v_add_nc_u64_e32 v[36:37], v[46:47], v[10:11]
	flat_store_b64 v[36:37], v[40:41]
	flat_load_b64 v[40:41], v[38:39] offset:128
	s_wait_loadcnt_dscnt 0x0
	v_mul_f64_e32 v[40:41], s[36:37], v[40:41]
	s_delay_alu instid0(VALU_DEP_1) | instskip(SKIP_4) | instid1(VALU_DEP_1)
	v_fmac_f64_e32 v[40:41], s[6:7], v[34:35]
	flat_store_b64 v[36:37], v[40:41] offset:128
	flat_load_b64 v[34:35], v[38:39] offset:256
	s_wait_loadcnt_dscnt 0x0
	v_mul_f64_e32 v[34:35], s[36:37], v[34:35]
	v_fmac_f64_e32 v[34:35], s[6:7], v[32:33]
	flat_store_b64 v[36:37], v[34:35] offset:256
	flat_load_b64 v[32:33], v[38:39] offset:384
	s_wait_loadcnt_dscnt 0x0
	v_mul_f64_e32 v[32:33], s[36:37], v[32:33]
	s_delay_alu instid0(VALU_DEP_1) | instskip(SKIP_1) | instid1(VALU_DEP_1)
	v_fmac_f64_e32 v[32:33], s[6:7], v[28:29]
	v_add_nc_u64_e32 v[28:29], s[22:23], v[30:31]
	v_add_nc_u64_e32 v[30:31], v[28:29], v[10:11]
	flat_store_b64 v[36:37], v[32:33] offset:384
	flat_load_b64 v[32:33], v[30:31]
	s_wait_loadcnt_dscnt 0x0
	v_mul_f64_e32 v[32:33], s[36:37], v[32:33]
	s_delay_alu instid0(VALU_DEP_1) | instskip(SKIP_1) | instid1(VALU_DEP_1)
	v_fmac_f64_e32 v[32:33], s[6:7], v[26:27]
	v_add_nc_u64_e32 v[26:27], s[24:25], v[46:47]
	v_add_nc_u64_e32 v[34:35], v[26:27], v[10:11]
	flat_store_b64 v[34:35], v[32:33]
	flat_load_b64 v[32:33], v[30:31] offset:128
	s_wait_loadcnt_dscnt 0x0
	v_mul_f64_e32 v[32:33], s[36:37], v[32:33]
	s_delay_alu instid0(VALU_DEP_1) | instskip(SKIP_4) | instid1(VALU_DEP_1)
	v_fmac_f64_e32 v[32:33], s[6:7], v[24:25]
	flat_store_b64 v[34:35], v[32:33] offset:128
	flat_load_b64 v[24:25], v[30:31] offset:256
	s_wait_loadcnt_dscnt 0x0
	v_mul_f64_e32 v[24:25], s[36:37], v[24:25]
	v_fmac_f64_e32 v[24:25], s[6:7], v[22:23]
	flat_store_b64 v[34:35], v[24:25] offset:256
	flat_load_b64 v[22:23], v[30:31] offset:384
	s_wait_loadcnt_dscnt 0x0
	v_mul_f64_e32 v[22:23], s[36:37], v[22:23]
	s_delay_alu instid0(VALU_DEP_1) | instskip(SKIP_1) | instid1(VALU_DEP_1)
	v_fmac_f64_e32 v[22:23], s[6:7], v[20:21]
	v_add_nc_u64_e32 v[20:21], s[22:23], v[28:29]
	v_add_nc_u64_e32 v[20:21], v[20:21], v[10:11]
	flat_store_b64 v[34:35], v[22:23] offset:384
	flat_load_b64 v[22:23], v[20:21]
	s_wait_loadcnt_dscnt 0x0
	v_mul_f64_e32 v[22:23], s[36:37], v[22:23]
	s_delay_alu instid0(VALU_DEP_1) | instskip(SKIP_1) | instid1(VALU_DEP_1)
	v_fmac_f64_e32 v[22:23], s[6:7], v[18:19]
	v_add_nc_u64_e32 v[18:19], s[24:25], v[26:27]
	v_add_nc_u64_e32 v[18:19], v[18:19], v[10:11]
	flat_store_b64 v[18:19], v[22:23]
	flat_load_b64 v[22:23], v[20:21] offset:128
	s_wait_loadcnt_dscnt 0x0
	v_mul_f64_e32 v[22:23], s[36:37], v[22:23]
	s_delay_alu instid0(VALU_DEP_1) | instskip(SKIP_4) | instid1(VALU_DEP_1)
	v_fmac_f64_e32 v[22:23], s[6:7], v[16:17]
	flat_store_b64 v[18:19], v[22:23] offset:128
	flat_load_b64 v[16:17], v[20:21] offset:256
	s_wait_loadcnt_dscnt 0x0
	v_mul_f64_e32 v[16:17], s[36:37], v[16:17]
	v_fmac_f64_e32 v[16:17], s[6:7], v[14:15]
	flat_store_b64 v[18:19], v[16:17] offset:256
	flat_load_b64 v[14:15], v[20:21] offset:384
	s_wait_loadcnt_dscnt 0x0
	v_mul_f64_e32 v[14:15], s[36:37], v[14:15]
	s_delay_alu instid0(VALU_DEP_1)
	v_fmac_f64_e32 v[14:15], s[6:7], v[12:13]
	flat_store_b64 v[18:19], v[14:15] offset:384
	s_branch .LBB8_2
.LBB8_11:
	s_sendmsg sendmsg(MSG_DEALLOC_VGPRS)
	s_endpgm
	.section	.rodata,"a",@progbits
	.p2align	6, 0x0
	.amdhsa_kernel _ZN12_GLOBAL__N_127rocblas_gemm_batched_kernelIdLi16ELi16ELi64ELi64ELi4ELi64ELi4ELi4ELi64ELc78ELc67EKPKdS3_KPdEEvlllT_PT11_llS8_llS6_PT12_llPT13_lli
		.amdhsa_group_segment_fixed_size 4096
		.amdhsa_private_segment_fixed_size 0
		.amdhsa_kernarg_size 140
		.amdhsa_user_sgpr_count 2
		.amdhsa_user_sgpr_dispatch_ptr 0
		.amdhsa_user_sgpr_queue_ptr 0
		.amdhsa_user_sgpr_kernarg_segment_ptr 1
		.amdhsa_user_sgpr_dispatch_id 0
		.amdhsa_user_sgpr_kernarg_preload_length 0
		.amdhsa_user_sgpr_kernarg_preload_offset 0
		.amdhsa_user_sgpr_private_segment_size 0
		.amdhsa_wavefront_size32 1
		.amdhsa_uses_dynamic_stack 0
		.amdhsa_enable_private_segment 0
		.amdhsa_system_sgpr_workgroup_id_x 1
		.amdhsa_system_sgpr_workgroup_id_y 1
		.amdhsa_system_sgpr_workgroup_id_z 1
		.amdhsa_system_sgpr_workgroup_info 0
		.amdhsa_system_vgpr_workitem_id 1
		.amdhsa_next_free_vgpr 100
		.amdhsa_next_free_sgpr 44
		.amdhsa_named_barrier_count 0
		.amdhsa_reserve_vcc 1
		.amdhsa_float_round_mode_32 0
		.amdhsa_float_round_mode_16_64 0
		.amdhsa_float_denorm_mode_32 3
		.amdhsa_float_denorm_mode_16_64 3
		.amdhsa_fp16_overflow 0
		.amdhsa_memory_ordered 1
		.amdhsa_forward_progress 1
		.amdhsa_inst_pref_size 19
		.amdhsa_round_robin_scheduling 0
		.amdhsa_exception_fp_ieee_invalid_op 0
		.amdhsa_exception_fp_denorm_src 0
		.amdhsa_exception_fp_ieee_div_zero 0
		.amdhsa_exception_fp_ieee_overflow 0
		.amdhsa_exception_fp_ieee_underflow 0
		.amdhsa_exception_fp_ieee_inexact 0
		.amdhsa_exception_int_div_zero 0
	.end_amdhsa_kernel
	.section	.text._ZN12_GLOBAL__N_127rocblas_gemm_batched_kernelIdLi16ELi16ELi64ELi64ELi4ELi64ELi4ELi4ELi64ELc78ELc67EKPKdS3_KPdEEvlllT_PT11_llS8_llS6_PT12_llPT13_lli,"axG",@progbits,_ZN12_GLOBAL__N_127rocblas_gemm_batched_kernelIdLi16ELi16ELi64ELi64ELi4ELi64ELi4ELi4ELi64ELc78ELc67EKPKdS3_KPdEEvlllT_PT11_llS8_llS6_PT12_llPT13_lli,comdat
.Lfunc_end8:
	.size	_ZN12_GLOBAL__N_127rocblas_gemm_batched_kernelIdLi16ELi16ELi64ELi64ELi4ELi64ELi4ELi4ELi64ELc78ELc67EKPKdS3_KPdEEvlllT_PT11_llS8_llS6_PT12_llPT13_lli, .Lfunc_end8-_ZN12_GLOBAL__N_127rocblas_gemm_batched_kernelIdLi16ELi16ELi64ELi64ELi4ELi64ELi4ELi4ELi64ELc78ELc67EKPKdS3_KPdEEvlllT_PT11_llS8_llS6_PT12_llPT13_lli
                                        ; -- End function
	.set _ZN12_GLOBAL__N_127rocblas_gemm_batched_kernelIdLi16ELi16ELi64ELi64ELi4ELi64ELi4ELi4ELi64ELc78ELc67EKPKdS3_KPdEEvlllT_PT11_llS8_llS6_PT12_llPT13_lli.num_vgpr, 100
	.set _ZN12_GLOBAL__N_127rocblas_gemm_batched_kernelIdLi16ELi16ELi64ELi64ELi4ELi64ELi4ELi4ELi64ELc78ELc67EKPKdS3_KPdEEvlllT_PT11_llS8_llS6_PT12_llPT13_lli.num_agpr, 0
	.set _ZN12_GLOBAL__N_127rocblas_gemm_batched_kernelIdLi16ELi16ELi64ELi64ELi4ELi64ELi4ELi4ELi64ELc78ELc67EKPKdS3_KPdEEvlllT_PT11_llS8_llS6_PT12_llPT13_lli.numbered_sgpr, 44
	.set _ZN12_GLOBAL__N_127rocblas_gemm_batched_kernelIdLi16ELi16ELi64ELi64ELi4ELi64ELi4ELi4ELi64ELc78ELc67EKPKdS3_KPdEEvlllT_PT11_llS8_llS6_PT12_llPT13_lli.num_named_barrier, 0
	.set _ZN12_GLOBAL__N_127rocblas_gemm_batched_kernelIdLi16ELi16ELi64ELi64ELi4ELi64ELi4ELi4ELi64ELc78ELc67EKPKdS3_KPdEEvlllT_PT11_llS8_llS6_PT12_llPT13_lli.private_seg_size, 0
	.set _ZN12_GLOBAL__N_127rocblas_gemm_batched_kernelIdLi16ELi16ELi64ELi64ELi4ELi64ELi4ELi4ELi64ELc78ELc67EKPKdS3_KPdEEvlllT_PT11_llS8_llS6_PT12_llPT13_lli.uses_vcc, 1
	.set _ZN12_GLOBAL__N_127rocblas_gemm_batched_kernelIdLi16ELi16ELi64ELi64ELi4ELi64ELi4ELi4ELi64ELc78ELc67EKPKdS3_KPdEEvlllT_PT11_llS8_llS6_PT12_llPT13_lli.uses_flat_scratch, 1
	.set _ZN12_GLOBAL__N_127rocblas_gemm_batched_kernelIdLi16ELi16ELi64ELi64ELi4ELi64ELi4ELi4ELi64ELc78ELc67EKPKdS3_KPdEEvlllT_PT11_llS8_llS6_PT12_llPT13_lli.has_dyn_sized_stack, 0
	.set _ZN12_GLOBAL__N_127rocblas_gemm_batched_kernelIdLi16ELi16ELi64ELi64ELi4ELi64ELi4ELi4ELi64ELc78ELc67EKPKdS3_KPdEEvlllT_PT11_llS8_llS6_PT12_llPT13_lli.has_recursion, 0
	.set _ZN12_GLOBAL__N_127rocblas_gemm_batched_kernelIdLi16ELi16ELi64ELi64ELi4ELi64ELi4ELi4ELi64ELc78ELc67EKPKdS3_KPdEEvlllT_PT11_llS8_llS6_PT12_llPT13_lli.has_indirect_call, 0
	.section	.AMDGPU.csdata,"",@progbits
; Kernel info:
; codeLenInByte = 2316
; TotalNumSgprs: 46
; NumVgprs: 100
; ScratchSize: 0
; MemoryBound: 0
; FloatMode: 240
; IeeeMode: 1
; LDSByteSize: 4096 bytes/workgroup (compile time only)
; SGPRBlocks: 0
; VGPRBlocks: 6
; NumSGPRsForWavesPerEU: 46
; NumVGPRsForWavesPerEU: 100
; NamedBarCnt: 0
; Occupancy: 9
; WaveLimiterHint : 1
; COMPUTE_PGM_RSRC2:SCRATCH_EN: 0
; COMPUTE_PGM_RSRC2:USER_SGPR: 2
; COMPUTE_PGM_RSRC2:TRAP_HANDLER: 0
; COMPUTE_PGM_RSRC2:TGID_X_EN: 1
; COMPUTE_PGM_RSRC2:TGID_Y_EN: 1
; COMPUTE_PGM_RSRC2:TGID_Z_EN: 1
; COMPUTE_PGM_RSRC2:TIDIG_COMP_CNT: 1
	.section	.text._ZN12_GLOBAL__N_127rocblas_gemm_batched_kernelIdLi16ELi16ELi64ELi64ELi4ELi64ELi4ELi4ELi64ELc84ELc67EKPKdS3_KPdEEvlllT_PT11_llS8_llS6_PT12_llPT13_lli,"axG",@progbits,_ZN12_GLOBAL__N_127rocblas_gemm_batched_kernelIdLi16ELi16ELi64ELi64ELi4ELi64ELi4ELi4ELi64ELc84ELc67EKPKdS3_KPdEEvlllT_PT11_llS8_llS6_PT12_llPT13_lli,comdat
	.globl	_ZN12_GLOBAL__N_127rocblas_gemm_batched_kernelIdLi16ELi16ELi64ELi64ELi4ELi64ELi4ELi4ELi64ELc84ELc67EKPKdS3_KPdEEvlllT_PT11_llS8_llS6_PT12_llPT13_lli ; -- Begin function _ZN12_GLOBAL__N_127rocblas_gemm_batched_kernelIdLi16ELi16ELi64ELi64ELi4ELi64ELi4ELi4ELi64ELc84ELc67EKPKdS3_KPdEEvlllT_PT11_llS8_llS6_PT12_llPT13_lli
	.p2align	8
	.type	_ZN12_GLOBAL__N_127rocblas_gemm_batched_kernelIdLi16ELi16ELi64ELi64ELi4ELi64ELi4ELi4ELi64ELc84ELc67EKPKdS3_KPdEEvlllT_PT11_llS8_llS6_PT12_llPT13_lli,@function
_ZN12_GLOBAL__N_127rocblas_gemm_batched_kernelIdLi16ELi16ELi64ELi64ELi4ELi64ELi4ELi4ELi64ELc84ELc67EKPKdS3_KPdEEvlllT_PT11_llS8_llS6_PT12_llPT13_lli: ; @_ZN12_GLOBAL__N_127rocblas_gemm_batched_kernelIdLi16ELi16ELi64ELi64ELi4ELi64ELi4ELi4ELi64ELc84ELc67EKPKdS3_KPdEEvlllT_PT11_llS8_llS6_PT12_llPT13_lli
; %bb.0:
	s_load_b32 s28, s[0:1], 0x88
	s_bfe_u32 s2, ttmp6, 0x40014
	s_lshr_b32 s3, ttmp7, 16
	s_add_co_i32 s2, s2, 1
	s_bfe_u32 s4, ttmp6, 0x40008
	s_mul_i32 s2, s3, s2
	s_getreg_b32 s29, hwreg(HW_REG_IB_STS2, 6, 4)
	s_add_co_i32 s4, s4, s2
	s_cmp_eq_u32 s29, 0
	s_cselect_b32 s2, s3, s4
	s_mov_b32 s3, 0
	s_wait_kmcnt 0x0
	s_cmp_ge_i32 s2, s28
	s_cbranch_scc1 .LBB9_11
; %bb.1:
	s_clause 0x2
	s_load_b512 s[4:19], s[0:1], 0x10
	s_load_b256 s[20:27], s[0:1], 0x70
	s_load_b256 s[36:43], s[0:1], 0x50
	v_bfe_u32 v2, v0, 10, 10
	v_and_b32_e32 v6, 0x3ff, v0
	s_wait_xcnt 0x0
	s_bfe_u32 s1, ttmp6, 0x4000c
	s_wait_kmcnt 0x0
	s_bfe_u32 s26, ttmp6, 0x40010
	s_add_co_i32 s1, s1, 1
	s_and_b32 s27, ttmp7, 0xffff
	s_add_co_i32 s26, s26, 1
	s_and_b32 s0, ttmp6, 15
	s_mul_i32 s1, ttmp9, s1
	s_mul_i32 s26, s27, s26
	s_bfe_u32 s30, ttmp6, 0x40004
	v_lshl_add_u32 v14, v2, 4, v6
	s_add_co_i32 s0, s0, s1
	s_add_co_i32 s30, s30, s26
	s_cmp_eq_u32 s29, 0
	v_dual_mov_b32 v3, 0 :: v_dual_bitop2_b32 v15, 3, v0 bitop3:0x40
	s_cselect_b32 s0, ttmp9, s0
	v_dual_lshrrev_b32 v8, 2, v14 :: v_dual_bitop2_b32 v16, 63, v14 bitop3:0x40
	s_cselect_b32 s29, s27, s30
	s_ashr_i32 s1, s0, 31
	v_mov_b32_e32 v7, v3
	s_lshl_b64 s[26:27], s[0:1], 6
	s_delay_alu instid0(SALU_CYCLE_1) | instskip(SKIP_3) | instid1(VALU_DEP_4)
	v_dual_mov_b32 v9, v3 :: v_dual_bitop2_b32 v0, s26, v16 bitop3:0x54
	v_mov_b32_e32 v1, s27
	v_cmp_eq_f64_e64 s1, s[36:37], 0
	v_lshlrev_b32_e32 v52, 3, v6
	v_mad_nc_u64_u32 v[10:11], s16, v15, v[8:9]
	v_lshlrev_b32_e32 v9, 3, v15
	v_mul_u64_e32 v[12:13], s[10:11], v[0:1]
	s_lshl_b32 s10, s29, 6
	s_mov_b32 s11, s3
	v_dual_lshrrev_b32 v17, 6, v14 :: v_dual_lshlrev_b32 v16, 3, v16
	v_add_nc_u64_e32 v[4:5], s[10:11], v[2:3]
	v_lshl_or_b32 v8, v8, 5, v9
	v_cmp_gt_i64_e64 s0, s[4:5], 0
	v_lshl_add_u32 v53, v2, 5, 0x800
	v_mad_u32 v11, s17, v15, v11
	v_add_nc_u64_e32 v[14:15], s[26:27], v[6:7]
	v_lshlrev_b32_e32 v2, 3, v17
	v_mul_u64_e32 v[0:1], s[22:23], v[4:5]
	v_mul_u64_e32 v[4:5], s[40:41], v[4:5]
	v_add_nc_u32_e32 v55, 0x800, v8
	v_lshl_or_b32 v54, v17, 9, v16
	s_lshl_b64 s[22:23], s[22:23], 4
	s_lshl_b64 s[26:27], s[40:41], 4
	;; [unrolled: 1-line block ×3, first 2 shown]
	v_add_nc_u64_e32 v[10:11], s[10:11], v[10:11]
	s_lshl_b64 s[10:11], s[12:13], 3
	s_lshl_b64 s[12:13], s[24:25], 3
	s_delay_alu instid0(VALU_DEP_1) | instskip(SKIP_3) | instid1(VALU_DEP_4)
	v_lshlrev_b64_e32 v[6:7], 3, v[10:11]
	v_lshlrev_b64_e32 v[10:11], 3, v[14:15]
	v_lshl_add_u64 v[8:9], v[12:13], 3, s[10:11]
	v_cndmask_b32_e64 v12, 0, 1, s0
	v_lshl_add_u64 v[6:7], s[18:19], 3, v[6:7]
	s_lshl_b64 s[10:11], s[16:17], 5
	s_lshl_b64 s[16:17], s[42:43], 3
	v_add_nc_u64_e32 v[8:9], v[8:9], v[2:3]
	v_cmp_ne_u32_e64 s0, 1, v12
	s_lshl_b64 s[18:19], s[26:27], 3
	s_branch .LBB9_3
.LBB9_2:                                ;   in Loop: Header=BB9_3 Depth=1
	s_add_co_i32 s2, s2, 0x10000
	s_delay_alu instid0(SALU_CYCLE_1)
	s_cmp_lt_i32 s2, s28
	s_cbranch_scc0 .LBB9_11
.LBB9_3:                                ; =>This Loop Header: Depth=1
                                        ;     Child Loop BB9_5 Depth 2
	s_wait_xcnt 0x0
	v_mov_b32_e32 v2, s2
	s_and_b32 vcc_lo, exec_lo, s0
	s_clause 0x1
	global_load_b64 v[30:31], v2, s[38:39] scale_offset
	global_load_b64 v[46:47], v2, s[20:21] scale_offset
	s_cbranch_vccnz .LBB9_6
; %bb.4:                                ;   in Loop: Header=BB9_3 Depth=1
	s_lshl_b64 s[24:25], s[2:3], 3
	v_mov_b64_e32 v[12:13], 0
	s_add_nc_u64 s[26:27], s[14:15], s[24:25]
	s_add_nc_u64 s[24:25], s[8:9], s[24:25]
	s_clause 0x1
	global_load_b64 v[44:45], v3, s[26:27]
	global_load_b64 v[50:51], v3, s[24:25]
	s_wait_xcnt 0x4
	v_mov_b64_e32 v[14:15], 0
	v_mov_b64_e32 v[16:17], 0
	v_mov_b64_e32 v[18:19], 0
	v_mov_b64_e32 v[20:21], 0
	v_mov_b64_e32 v[22:23], 0
	v_mov_b64_e32 v[24:25], 0
	v_mov_b64_e32 v[26:27], 0
	v_mov_b64_e32 v[28:29], 0
	v_mov_b64_e32 v[32:33], 0
	v_mov_b64_e32 v[34:35], 0
	v_mov_b64_e32 v[36:37], 0
	v_mov_b64_e32 v[38:39], 0
	v_mov_b64_e32 v[40:41], 0
	v_mov_b64_e32 v[42:43], 0
	s_wait_xcnt 0x0
	s_mov_b64 s[24:25], 0
	s_wait_loadcnt 0x1
	v_add_nc_u64_e32 v[48:49], v[44:45], v[6:7]
	s_wait_loadcnt 0x0
	v_add_nc_u64_e32 v[50:51], v[50:51], v[8:9]
	v_mov_b64_e32 v[44:45], 0
.LBB9_5:                                ;   Parent Loop BB9_3 Depth=1
                                        ; =>  This Inner Loop Header: Depth=2
	flat_load_b64 v[56:57], v[50:51]
	s_add_nc_u64 s[24:25], s[24:25], 4
	s_wait_xcnt 0x0
	v_add_nc_u64_e32 v[50:51], 32, v[50:51]
	v_cmp_lt_i64_e64 s26, s[24:25], s[4:5]
	s_and_b32 vcc_lo, exec_lo, s26
	s_wait_loadcnt_dscnt 0x0
	ds_store_b64 v54, v[56:57]
	flat_load_b64 v[56:57], v[48:49]
	s_wait_xcnt 0x0
	v_add_nc_u64_e32 v[48:49], s[10:11], v[48:49]
	s_wait_loadcnt_dscnt 0x0
	ds_store_b64 v55, v[56:57]
	s_wait_dscnt 0x0
	s_barrier_signal -1
	s_barrier_wait -1
	ds_load_b128 v[56:59], v53
	ds_load_2addr_b64 v[60:63], v52 offset1:16
	ds_load_b128 v[64:67], v53 offset:512
	ds_load_2addr_b64 v[68:71], v52 offset0:32 offset1:48
	ds_load_b128 v[72:75], v53 offset:1024
	ds_load_b128 v[76:79], v53 offset:1536
	ds_load_2addr_b64 v[80:83], v52 offset0:64 offset1:80
	ds_load_b128 v[84:87], v53 offset:16
	ds_load_b128 v[88:91], v53 offset:528
	ds_load_b128 v[92:95], v53 offset:1040
	ds_load_b128 v[96:99], v53 offset:1552
	s_wait_dscnt 0x9
	v_fmac_f64_e32 v[44:45], v[60:61], v[56:57]
	v_fmac_f64_e32 v[42:43], v[62:63], v[56:57]
	s_wait_dscnt 0x8
	v_fmac_f64_e32 v[36:37], v[60:61], v[64:65]
	v_fmac_f64_e32 v[34:35], v[62:63], v[64:65]
	;; [unrolled: 3-line block ×4, first 2 shown]
	v_fmac_f64_e32 v[32:33], v[68:69], v[64:65]
	v_fmac_f64_e32 v[28:29], v[70:71], v[64:65]
	s_wait_dscnt 0x5
	v_fmac_f64_e32 v[18:19], v[60:61], v[76:77]
	v_fmac_f64_e32 v[16:17], v[62:63], v[76:77]
	v_fmac_f64_e32 v[22:23], v[68:69], v[72:73]
	v_fmac_f64_e32 v[20:21], v[70:71], v[72:73]
	v_fmac_f64_e32 v[14:15], v[68:69], v[76:77]
	v_fmac_f64_e32 v[12:13], v[70:71], v[76:77]
	ds_load_2addr_b64 v[60:63], v52 offset0:96 offset1:112
	ds_load_2addr_b64 v[68:71], v52 offset0:128 offset1:144
	s_wait_dscnt 0x6
	v_fmac_f64_e32 v[44:45], v[80:81], v[58:59]
	v_fmac_f64_e32 v[42:43], v[82:83], v[58:59]
	;; [unrolled: 1-line block ×4, first 2 shown]
	s_wait_dscnt 0x1
	v_fmac_f64_e32 v[40:41], v[60:61], v[58:59]
	v_fmac_f64_e32 v[38:39], v[62:63], v[58:59]
	v_fmac_f64_e32 v[26:27], v[80:81], v[74:75]
	v_fmac_f64_e32 v[24:25], v[82:83], v[74:75]
	v_fmac_f64_e32 v[32:33], v[60:61], v[66:67]
	v_fmac_f64_e32 v[28:29], v[62:63], v[66:67]
	v_fmac_f64_e32 v[18:19], v[80:81], v[78:79]
	v_fmac_f64_e32 v[16:17], v[82:83], v[78:79]
	v_fmac_f64_e32 v[22:23], v[60:61], v[74:75]
	v_fmac_f64_e32 v[20:21], v[62:63], v[74:75]
	v_fmac_f64_e32 v[14:15], v[60:61], v[78:79]
	v_fmac_f64_e32 v[12:13], v[62:63], v[78:79]
	ds_load_2addr_b64 v[56:59], v52 offset0:160 offset1:176
	ds_load_2addr_b64 v[60:63], v52 offset0:192 offset1:208
	s_wait_dscnt 0x2
	v_fmac_f64_e32 v[44:45], v[68:69], v[84:85]
	v_fmac_f64_e32 v[42:43], v[70:71], v[84:85]
	;; [unrolled: 1-line block ×4, first 2 shown]
	s_wait_dscnt 0x1
	v_fmac_f64_e32 v[40:41], v[56:57], v[84:85]
	v_fmac_f64_e32 v[38:39], v[58:59], v[84:85]
	;; [unrolled: 1-line block ×12, first 2 shown]
	ds_load_2addr_b64 v[56:59], v52 offset0:224 offset1:240
	s_wait_dscnt 0x0
	s_barrier_signal -1
	s_barrier_wait -1
	v_fmac_f64_e32 v[44:45], v[60:61], v[86:87]
	v_fmac_f64_e32 v[42:43], v[62:63], v[86:87]
	;; [unrolled: 1-line block ×16, first 2 shown]
	s_cbranch_vccnz .LBB9_5
	s_branch .LBB9_7
.LBB9_6:                                ;   in Loop: Header=BB9_3 Depth=1
	v_mov_b64_e32 v[44:45], 0
	v_mov_b64_e32 v[42:43], 0
	;; [unrolled: 1-line block ×10, first 2 shown]
	s_wait_xcnt 0x6
	v_mov_b64_e32 v[22:23], 0
	s_wait_xcnt 0x3
	v_mov_b64_e32 v[20:21], 0
	;; [unrolled: 2-line block ×3, first 2 shown]
	v_mov_b64_e32 v[16:17], 0
	v_mov_b64_e32 v[14:15], 0
	;; [unrolled: 1-line block ×3, first 2 shown]
.LBB9_7:                                ;   in Loop: Header=BB9_3 Depth=1
	s_wait_loadcnt 0x0
	v_add_nc_u64_e32 v[46:47], s[12:13], v[46:47]
	s_and_not1_b32 vcc_lo, exec_lo, s1
	s_delay_alu instid0(VALU_DEP_1) | instskip(NEXT) | instid1(VALU_DEP_1)
	v_lshl_add_u64 v[46:47], v[0:1], 3, v[46:47]
	v_add_nc_u64_e32 v[48:49], v[46:47], v[10:11]
	v_add_nc_u64_e32 v[46:47], s[22:23], v[46:47]
	s_cbranch_vccnz .LBB9_9
; %bb.8:                                ;   in Loop: Header=BB9_3 Depth=1
	v_mul_f64_e32 v[50:51], s[6:7], v[44:45]
	v_mul_f64_e32 v[78:79], s[6:7], v[18:19]
	;; [unrolled: 1-line block ×16, first 2 shown]
	v_add_nc_u64_e32 v[86:87], s[22:23], v[46:47]
	v_add_nc_u64_e32 v[90:91], v[46:47], v[10:11]
	s_delay_alu instid0(VALU_DEP_2)
	v_add_nc_u64_e32 v[88:89], s[22:23], v[86:87]
	v_add_nc_u64_e32 v[86:87], v[86:87], v[10:11]
	s_clause 0xb
	flat_store_b64 v[48:49], v[50:51]
	flat_store_b64 v[48:49], v[56:57] offset:128
	flat_store_b64 v[48:49], v[58:59] offset:256
	flat_store_b64 v[48:49], v[60:61] offset:384
	flat_store_b64 v[90:91], v[62:63]
	flat_store_b64 v[90:91], v[64:65] offset:128
	flat_store_b64 v[90:91], v[66:67] offset:256
	flat_store_b64 v[90:91], v[68:69] offset:384
	;; [unrolled: 4-line block ×3, first 2 shown]
	v_add_nc_u64_e32 v[88:89], v[88:89], v[10:11]
	s_clause 0x3
	flat_store_b64 v[88:89], v[78:79]
	flat_store_b64 v[88:89], v[80:81] offset:128
	flat_store_b64 v[88:89], v[82:83] offset:256
	;; [unrolled: 1-line block ×3, first 2 shown]
	s_cbranch_execnz .LBB9_2
	s_branch .LBB9_10
.LBB9_9:                                ;   in Loop: Header=BB9_3 Depth=1
.LBB9_10:                               ;   in Loop: Header=BB9_3 Depth=1
	v_add_nc_u64_e32 v[30:31], s[16:17], v[30:31]
	s_delay_alu instid0(VALU_DEP_1) | instskip(SKIP_1) | instid1(VALU_DEP_1)
	v_lshl_add_u64 v[30:31], v[4:5], 3, v[30:31]
	s_wait_xcnt 0xf
	v_add_nc_u64_e32 v[50:51], v[30:31], v[10:11]
	v_add_nc_u64_e32 v[30:31], s[18:19], v[30:31]
	flat_load_b64 v[56:57], v[50:51]
	s_wait_loadcnt_dscnt 0x0
	v_mul_f64_e32 v[56:57], s[36:37], v[56:57]
	s_delay_alu instid0(VALU_DEP_1) | instskip(SKIP_4) | instid1(VALU_DEP_1)
	v_fmac_f64_e32 v[56:57], s[6:7], v[44:45]
	flat_store_b64 v[48:49], v[56:57]
	flat_load_b64 v[44:45], v[50:51] offset:128
	s_wait_loadcnt_dscnt 0x0
	v_mul_f64_e32 v[44:45], s[36:37], v[44:45]
	v_fmac_f64_e32 v[44:45], s[6:7], v[42:43]
	flat_store_b64 v[48:49], v[44:45] offset:128
	flat_load_b64 v[42:43], v[50:51] offset:256
	s_wait_loadcnt_dscnt 0x0
	v_mul_f64_e32 v[42:43], s[36:37], v[42:43]
	s_delay_alu instid0(VALU_DEP_1) | instskip(SKIP_4) | instid1(VALU_DEP_1)
	v_fmac_f64_e32 v[42:43], s[6:7], v[40:41]
	flat_store_b64 v[48:49], v[42:43] offset:256
	flat_load_b64 v[40:41], v[50:51] offset:384
	s_wait_loadcnt_dscnt 0x0
	v_mul_f64_e32 v[40:41], s[36:37], v[40:41]
	v_fmac_f64_e32 v[40:41], s[6:7], v[38:39]
	v_add_nc_u64_e32 v[38:39], v[30:31], v[10:11]
	flat_store_b64 v[48:49], v[40:41] offset:384
	flat_load_b64 v[40:41], v[38:39]
	s_wait_loadcnt_dscnt 0x0
	v_mul_f64_e32 v[40:41], s[36:37], v[40:41]
	s_delay_alu instid0(VALU_DEP_1)
	v_fmac_f64_e32 v[40:41], s[6:7], v[36:37]
	v_add_nc_u64_e32 v[36:37], v[46:47], v[10:11]
	flat_store_b64 v[36:37], v[40:41]
	flat_load_b64 v[40:41], v[38:39] offset:128
	s_wait_loadcnt_dscnt 0x0
	v_mul_f64_e32 v[40:41], s[36:37], v[40:41]
	s_delay_alu instid0(VALU_DEP_1) | instskip(SKIP_4) | instid1(VALU_DEP_1)
	v_fmac_f64_e32 v[40:41], s[6:7], v[34:35]
	flat_store_b64 v[36:37], v[40:41] offset:128
	flat_load_b64 v[34:35], v[38:39] offset:256
	s_wait_loadcnt_dscnt 0x0
	v_mul_f64_e32 v[34:35], s[36:37], v[34:35]
	v_fmac_f64_e32 v[34:35], s[6:7], v[32:33]
	flat_store_b64 v[36:37], v[34:35] offset:256
	flat_load_b64 v[32:33], v[38:39] offset:384
	s_wait_loadcnt_dscnt 0x0
	v_mul_f64_e32 v[32:33], s[36:37], v[32:33]
	s_delay_alu instid0(VALU_DEP_1) | instskip(SKIP_1) | instid1(VALU_DEP_1)
	v_fmac_f64_e32 v[32:33], s[6:7], v[28:29]
	v_add_nc_u64_e32 v[28:29], s[18:19], v[30:31]
	v_add_nc_u64_e32 v[30:31], v[28:29], v[10:11]
	flat_store_b64 v[36:37], v[32:33] offset:384
	flat_load_b64 v[32:33], v[30:31]
	s_wait_loadcnt_dscnt 0x0
	v_mul_f64_e32 v[32:33], s[36:37], v[32:33]
	s_delay_alu instid0(VALU_DEP_1) | instskip(SKIP_1) | instid1(VALU_DEP_1)
	v_fmac_f64_e32 v[32:33], s[6:7], v[26:27]
	v_add_nc_u64_e32 v[26:27], s[22:23], v[46:47]
	v_add_nc_u64_e32 v[34:35], v[26:27], v[10:11]
	flat_store_b64 v[34:35], v[32:33]
	flat_load_b64 v[32:33], v[30:31] offset:128
	s_wait_loadcnt_dscnt 0x0
	v_mul_f64_e32 v[32:33], s[36:37], v[32:33]
	s_delay_alu instid0(VALU_DEP_1) | instskip(SKIP_4) | instid1(VALU_DEP_1)
	v_fmac_f64_e32 v[32:33], s[6:7], v[24:25]
	flat_store_b64 v[34:35], v[32:33] offset:128
	flat_load_b64 v[24:25], v[30:31] offset:256
	s_wait_loadcnt_dscnt 0x0
	v_mul_f64_e32 v[24:25], s[36:37], v[24:25]
	v_fmac_f64_e32 v[24:25], s[6:7], v[22:23]
	flat_store_b64 v[34:35], v[24:25] offset:256
	flat_load_b64 v[22:23], v[30:31] offset:384
	s_wait_loadcnt_dscnt 0x0
	v_mul_f64_e32 v[22:23], s[36:37], v[22:23]
	s_delay_alu instid0(VALU_DEP_1) | instskip(SKIP_1) | instid1(VALU_DEP_1)
	v_fmac_f64_e32 v[22:23], s[6:7], v[20:21]
	v_add_nc_u64_e32 v[20:21], s[18:19], v[28:29]
	v_add_nc_u64_e32 v[20:21], v[20:21], v[10:11]
	flat_store_b64 v[34:35], v[22:23] offset:384
	flat_load_b64 v[22:23], v[20:21]
	s_wait_loadcnt_dscnt 0x0
	v_mul_f64_e32 v[22:23], s[36:37], v[22:23]
	s_delay_alu instid0(VALU_DEP_1) | instskip(SKIP_1) | instid1(VALU_DEP_1)
	v_fmac_f64_e32 v[22:23], s[6:7], v[18:19]
	v_add_nc_u64_e32 v[18:19], s[22:23], v[26:27]
	v_add_nc_u64_e32 v[18:19], v[18:19], v[10:11]
	flat_store_b64 v[18:19], v[22:23]
	flat_load_b64 v[22:23], v[20:21] offset:128
	s_wait_loadcnt_dscnt 0x0
	v_mul_f64_e32 v[22:23], s[36:37], v[22:23]
	s_delay_alu instid0(VALU_DEP_1) | instskip(SKIP_4) | instid1(VALU_DEP_1)
	v_fmac_f64_e32 v[22:23], s[6:7], v[16:17]
	flat_store_b64 v[18:19], v[22:23] offset:128
	flat_load_b64 v[16:17], v[20:21] offset:256
	s_wait_loadcnt_dscnt 0x0
	v_mul_f64_e32 v[16:17], s[36:37], v[16:17]
	v_fmac_f64_e32 v[16:17], s[6:7], v[14:15]
	flat_store_b64 v[18:19], v[16:17] offset:256
	flat_load_b64 v[14:15], v[20:21] offset:384
	s_wait_loadcnt_dscnt 0x0
	v_mul_f64_e32 v[14:15], s[36:37], v[14:15]
	s_delay_alu instid0(VALU_DEP_1)
	v_fmac_f64_e32 v[14:15], s[6:7], v[12:13]
	flat_store_b64 v[18:19], v[14:15] offset:384
	s_branch .LBB9_2
.LBB9_11:
	s_sendmsg sendmsg(MSG_DEALLOC_VGPRS)
	s_endpgm
	.section	.rodata,"a",@progbits
	.p2align	6, 0x0
	.amdhsa_kernel _ZN12_GLOBAL__N_127rocblas_gemm_batched_kernelIdLi16ELi16ELi64ELi64ELi4ELi64ELi4ELi4ELi64ELc84ELc67EKPKdS3_KPdEEvlllT_PT11_llS8_llS6_PT12_llPT13_lli
		.amdhsa_group_segment_fixed_size 4096
		.amdhsa_private_segment_fixed_size 0
		.amdhsa_kernarg_size 140
		.amdhsa_user_sgpr_count 2
		.amdhsa_user_sgpr_dispatch_ptr 0
		.amdhsa_user_sgpr_queue_ptr 0
		.amdhsa_user_sgpr_kernarg_segment_ptr 1
		.amdhsa_user_sgpr_dispatch_id 0
		.amdhsa_user_sgpr_kernarg_preload_length 0
		.amdhsa_user_sgpr_kernarg_preload_offset 0
		.amdhsa_user_sgpr_private_segment_size 0
		.amdhsa_wavefront_size32 1
		.amdhsa_uses_dynamic_stack 0
		.amdhsa_enable_private_segment 0
		.amdhsa_system_sgpr_workgroup_id_x 1
		.amdhsa_system_sgpr_workgroup_id_y 1
		.amdhsa_system_sgpr_workgroup_id_z 1
		.amdhsa_system_sgpr_workgroup_info 0
		.amdhsa_system_vgpr_workitem_id 1
		.amdhsa_next_free_vgpr 100
		.amdhsa_next_free_sgpr 44
		.amdhsa_named_barrier_count 0
		.amdhsa_reserve_vcc 1
		.amdhsa_float_round_mode_32 0
		.amdhsa_float_round_mode_16_64 0
		.amdhsa_float_denorm_mode_32 3
		.amdhsa_float_denorm_mode_16_64 3
		.amdhsa_fp16_overflow 0
		.amdhsa_memory_ordered 1
		.amdhsa_forward_progress 1
		.amdhsa_inst_pref_size 18
		.amdhsa_round_robin_scheduling 0
		.amdhsa_exception_fp_ieee_invalid_op 0
		.amdhsa_exception_fp_denorm_src 0
		.amdhsa_exception_fp_ieee_div_zero 0
		.amdhsa_exception_fp_ieee_overflow 0
		.amdhsa_exception_fp_ieee_underflow 0
		.amdhsa_exception_fp_ieee_inexact 0
		.amdhsa_exception_int_div_zero 0
	.end_amdhsa_kernel
	.section	.text._ZN12_GLOBAL__N_127rocblas_gemm_batched_kernelIdLi16ELi16ELi64ELi64ELi4ELi64ELi4ELi4ELi64ELc84ELc67EKPKdS3_KPdEEvlllT_PT11_llS8_llS6_PT12_llPT13_lli,"axG",@progbits,_ZN12_GLOBAL__N_127rocblas_gemm_batched_kernelIdLi16ELi16ELi64ELi64ELi4ELi64ELi4ELi4ELi64ELc84ELc67EKPKdS3_KPdEEvlllT_PT11_llS8_llS6_PT12_llPT13_lli,comdat
.Lfunc_end9:
	.size	_ZN12_GLOBAL__N_127rocblas_gemm_batched_kernelIdLi16ELi16ELi64ELi64ELi4ELi64ELi4ELi4ELi64ELc84ELc67EKPKdS3_KPdEEvlllT_PT11_llS8_llS6_PT12_llPT13_lli, .Lfunc_end9-_ZN12_GLOBAL__N_127rocblas_gemm_batched_kernelIdLi16ELi16ELi64ELi64ELi4ELi64ELi4ELi4ELi64ELc84ELc67EKPKdS3_KPdEEvlllT_PT11_llS8_llS6_PT12_llPT13_lli
                                        ; -- End function
	.set _ZN12_GLOBAL__N_127rocblas_gemm_batched_kernelIdLi16ELi16ELi64ELi64ELi4ELi64ELi4ELi4ELi64ELc84ELc67EKPKdS3_KPdEEvlllT_PT11_llS8_llS6_PT12_llPT13_lli.num_vgpr, 100
	.set _ZN12_GLOBAL__N_127rocblas_gemm_batched_kernelIdLi16ELi16ELi64ELi64ELi4ELi64ELi4ELi4ELi64ELc84ELc67EKPKdS3_KPdEEvlllT_PT11_llS8_llS6_PT12_llPT13_lli.num_agpr, 0
	.set _ZN12_GLOBAL__N_127rocblas_gemm_batched_kernelIdLi16ELi16ELi64ELi64ELi4ELi64ELi4ELi4ELi64ELc84ELc67EKPKdS3_KPdEEvlllT_PT11_llS8_llS6_PT12_llPT13_lli.numbered_sgpr, 44
	.set _ZN12_GLOBAL__N_127rocblas_gemm_batched_kernelIdLi16ELi16ELi64ELi64ELi4ELi64ELi4ELi4ELi64ELc84ELc67EKPKdS3_KPdEEvlllT_PT11_llS8_llS6_PT12_llPT13_lli.num_named_barrier, 0
	.set _ZN12_GLOBAL__N_127rocblas_gemm_batched_kernelIdLi16ELi16ELi64ELi64ELi4ELi64ELi4ELi4ELi64ELc84ELc67EKPKdS3_KPdEEvlllT_PT11_llS8_llS6_PT12_llPT13_lli.private_seg_size, 0
	.set _ZN12_GLOBAL__N_127rocblas_gemm_batched_kernelIdLi16ELi16ELi64ELi64ELi4ELi64ELi4ELi4ELi64ELc84ELc67EKPKdS3_KPdEEvlllT_PT11_llS8_llS6_PT12_llPT13_lli.uses_vcc, 1
	.set _ZN12_GLOBAL__N_127rocblas_gemm_batched_kernelIdLi16ELi16ELi64ELi64ELi4ELi64ELi4ELi4ELi64ELc84ELc67EKPKdS3_KPdEEvlllT_PT11_llS8_llS6_PT12_llPT13_lli.uses_flat_scratch, 1
	.set _ZN12_GLOBAL__N_127rocblas_gemm_batched_kernelIdLi16ELi16ELi64ELi64ELi4ELi64ELi4ELi4ELi64ELc84ELc67EKPKdS3_KPdEEvlllT_PT11_llS8_llS6_PT12_llPT13_lli.has_dyn_sized_stack, 0
	.set _ZN12_GLOBAL__N_127rocblas_gemm_batched_kernelIdLi16ELi16ELi64ELi64ELi4ELi64ELi4ELi4ELi64ELc84ELc67EKPKdS3_KPdEEvlllT_PT11_llS8_llS6_PT12_llPT13_lli.has_recursion, 0
	.set _ZN12_GLOBAL__N_127rocblas_gemm_batched_kernelIdLi16ELi16ELi64ELi64ELi4ELi64ELi4ELi4ELi64ELc84ELc67EKPKdS3_KPdEEvlllT_PT11_llS8_llS6_PT12_llPT13_lli.has_indirect_call, 0
	.section	.AMDGPU.csdata,"",@progbits
; Kernel info:
; codeLenInByte = 2300
; TotalNumSgprs: 46
; NumVgprs: 100
; ScratchSize: 0
; MemoryBound: 0
; FloatMode: 240
; IeeeMode: 1
; LDSByteSize: 4096 bytes/workgroup (compile time only)
; SGPRBlocks: 0
; VGPRBlocks: 6
; NumSGPRsForWavesPerEU: 46
; NumVGPRsForWavesPerEU: 100
; NamedBarCnt: 0
; Occupancy: 9
; WaveLimiterHint : 1
; COMPUTE_PGM_RSRC2:SCRATCH_EN: 0
; COMPUTE_PGM_RSRC2:USER_SGPR: 2
; COMPUTE_PGM_RSRC2:TRAP_HANDLER: 0
; COMPUTE_PGM_RSRC2:TGID_X_EN: 1
; COMPUTE_PGM_RSRC2:TGID_Y_EN: 1
; COMPUTE_PGM_RSRC2:TGID_Z_EN: 1
; COMPUTE_PGM_RSRC2:TIDIG_COMP_CNT: 1
	.section	.text._ZN12_GLOBAL__N_127rocblas_gemm_batched_kernelIdLi16ELi16ELi32ELi32ELi8ELi32ELi8ELi8ELi32ELc78ELc78EKPKdS3_KPdEEvlllT_PT11_llS8_llS6_PT12_llPT13_lli,"axG",@progbits,_ZN12_GLOBAL__N_127rocblas_gemm_batched_kernelIdLi16ELi16ELi32ELi32ELi8ELi32ELi8ELi8ELi32ELc78ELc78EKPKdS3_KPdEEvlllT_PT11_llS8_llS6_PT12_llPT13_lli,comdat
	.globl	_ZN12_GLOBAL__N_127rocblas_gemm_batched_kernelIdLi16ELi16ELi32ELi32ELi8ELi32ELi8ELi8ELi32ELc78ELc78EKPKdS3_KPdEEvlllT_PT11_llS8_llS6_PT12_llPT13_lli ; -- Begin function _ZN12_GLOBAL__N_127rocblas_gemm_batched_kernelIdLi16ELi16ELi32ELi32ELi8ELi32ELi8ELi8ELi32ELc78ELc78EKPKdS3_KPdEEvlllT_PT11_llS8_llS6_PT12_llPT13_lli
	.p2align	8
	.type	_ZN12_GLOBAL__N_127rocblas_gemm_batched_kernelIdLi16ELi16ELi32ELi32ELi8ELi32ELi8ELi8ELi32ELc78ELc78EKPKdS3_KPdEEvlllT_PT11_llS8_llS6_PT12_llPT13_lli,@function
_ZN12_GLOBAL__N_127rocblas_gemm_batched_kernelIdLi16ELi16ELi32ELi32ELi8ELi32ELi8ELi8ELi32ELc78ELc78EKPKdS3_KPdEEvlllT_PT11_llS8_llS6_PT12_llPT13_lli: ; @_ZN12_GLOBAL__N_127rocblas_gemm_batched_kernelIdLi16ELi16ELi32ELi32ELi8ELi32ELi8ELi8ELi32ELc78ELc78EKPKdS3_KPdEEvlllT_PT11_llS8_llS6_PT12_llPT13_lli
; %bb.0:
	s_load_b32 s28, s[0:1], 0x88
	s_bfe_u32 s2, ttmp6, 0x40014
	s_lshr_b32 s3, ttmp7, 16
	s_add_co_i32 s2, s2, 1
	s_bfe_u32 s4, ttmp6, 0x40008
	s_mul_i32 s2, s3, s2
	s_getreg_b32 s29, hwreg(HW_REG_IB_STS2, 6, 4)
	s_add_co_i32 s4, s4, s2
	s_cmp_eq_u32 s29, 0
	s_cselect_b32 s2, s3, s4
	s_mov_b32 s3, 0
	s_wait_kmcnt 0x0
	s_cmp_ge_i32 s2, s28
	s_cbranch_scc1 .LBB10_11
; %bb.1:
	v_bfe_u32 v2, v0, 10, 10
	v_and_b32_e32 v8, 0x3ff, v0
	s_clause 0x2
	s_load_b512 s[4:19], s[0:1], 0x10
	s_load_b256 s[20:27], s[0:1], 0x70
	s_load_b256 s[36:43], s[0:1], 0x50
	s_wait_xcnt 0x0
	s_bfe_u32 s0, ttmp6, 0x4000c
	s_wait_kmcnt 0x0
	s_bfe_u32 s26, ttmp6, 0x40010
	s_add_co_i32 s0, s0, 1
	s_and_b32 s27, ttmp7, 0xffff
	s_add_co_i32 s26, s26, 1
	v_lshl_add_u32 v1, v2, 4, v8
	v_mov_b32_e32 v3, 0
	s_and_b32 s1, ttmp6, 15
	s_mul_i32 s0, ttmp9, s0
	s_mul_i32 s26, s27, s26
	s_bfe_u32 s30, ttmp6, 0x40004
	s_add_co_i32 s1, s1, s0
	s_add_co_i32 s30, s30, s26
	s_cmp_eq_u32 s29, 0
	v_dual_mov_b32 v11, v3 :: v_dual_lshrrev_b32 v10, 3, v1
	v_lshlrev_b32_e32 v9, 3, v0
	s_cselect_b32 s26, s27, s30
	s_cselect_b32 s0, ttmp9, s1
	s_lshl_b32 s26, s26, 5
	s_mov_b32 s27, s3
	s_ashr_i32 s1, s0, 31
	v_add_nc_u64_e32 v[4:5], s[26:27], v[10:11]
	v_dual_lshrrev_b32 v11, 5, v1 :: v_dual_bitop2_b32 v0, 31, v1 bitop3:0x40
	s_lshl_b64 s[30:31], s[0:1], 5
	v_add_nc_u64_e32 v[6:7], s[26:27], v[2:3]
	v_cmp_eq_f64_e64 s1, s[36:37], 0
	s_delay_alu instid0(VALU_DEP_3)
	v_mad_nc_u64_u32 v[14:15], s10, v11, s[30:31]
	v_mul_u64_e32 v[12:13], s[16:17], v[4:5]
	v_dual_mov_b32 v1, v3 :: v_dual_bitop2_b32 v16, 56, v9 bitop3:0x40
	v_dual_mov_b32 v9, v3 :: v_dual_lshlrev_b32 v28, 3, v8
	v_mul_u64_e32 v[4:5], s[22:23], v[6:7]
	v_mul_u64_e32 v[6:7], s[40:41], v[6:7]
	v_dual_mov_b32 v17, v3 :: v_dual_lshlrev_b32 v18, 3, v0
	v_lshl_or_b32 v10, v10, 6, v16
	v_mad_u32 v15, s11, v11, v15
	v_cmp_gt_i64_e64 s0, s[4:5], 0
	v_add_nc_u64_e32 v[8:9], s[30:31], v[8:9]
	s_lshl_b64 s[16:17], s[18:19], 3
	v_lshl_or_b32 v29, v11, 8, v18
	v_add_nc_u32_e32 v30, 0x800, v10
	v_lshl_add_u32 v2, v2, 6, 0x800
	s_lshl_b64 s[18:19], s[40:41], 4
	s_lshl_b64 s[10:11], s[10:11], 6
	v_lshlrev_b64_e32 v[8:9], 3, v[8:9]
	v_add_nc_u64_e32 v[0:1], v[14:15], v[0:1]
	s_delay_alu instid0(VALU_DEP_1) | instskip(SKIP_3) | instid1(VALU_DEP_3)
	v_lshlrev_b64_e32 v[10:11], 3, v[0:1]
	v_lshl_add_u64 v[0:1], v[12:13], 3, s[16:17]
	v_cndmask_b32_e64 v12, 0, 1, s0
	s_lshl_b64 s[16:17], s[22:23], 4
	v_lshl_add_u64 v[10:11], s[12:13], 3, v[10:11]
	s_lshl_b64 s[12:13], s[24:25], 3
	v_add_nc_u64_e32 v[0:1], v[0:1], v[16:17]
	v_cmp_ne_u32_e64 s0, 1, v12
	s_lshl_b64 s[22:23], s[42:43], 3
	s_branch .LBB10_3
.LBB10_2:                               ;   in Loop: Header=BB10_3 Depth=1
	s_add_co_i32 s2, s2, 0x10000
	s_delay_alu instid0(SALU_CYCLE_1)
	s_cmp_lt_i32 s2, s28
	s_cbranch_scc0 .LBB10_11
.LBB10_3:                               ; =>This Loop Header: Depth=1
                                        ;     Child Loop BB10_5 Depth 2
	v_mov_b32_e32 v14, s2
	s_and_b32 vcc_lo, exec_lo, s0
	s_clause 0x1
	global_load_b64 v[12:13], v14, s[38:39] scale_offset
	global_load_b64 v[22:23], v14, s[20:21] scale_offset
	s_cbranch_vccnz .LBB10_6
; %bb.4:                                ;   in Loop: Header=BB10_3 Depth=1
	s_lshl_b64 s[24:25], s[2:3], 3
	s_wait_xcnt 0x0
	v_mov_b64_e32 v[14:15], 0
	s_add_nc_u64 s[26:27], s[14:15], s[24:25]
	s_add_nc_u64 s[24:25], s[8:9], s[24:25]
	s_clause 0x1
	global_load_b64 v[20:21], v3, s[26:27]
	global_load_b64 v[26:27], v3, s[24:25]
	v_mov_b64_e32 v[16:17], 0
	v_mov_b64_e32 v[18:19], 0
	s_wait_xcnt 0x0
	s_mov_b64 s[24:25], 0
	s_wait_loadcnt 0x1
	v_add_nc_u64_e32 v[24:25], v[20:21], v[0:1]
	s_wait_loadcnt 0x0
	v_add_nc_u64_e32 v[26:27], v[26:27], v[10:11]
	v_mov_b64_e32 v[20:21], 0
.LBB10_5:                               ;   Parent Loop BB10_3 Depth=1
                                        ; =>  This Inner Loop Header: Depth=2
	flat_load_b64 v[32:33], v[26:27]
	s_add_nc_u64 s[24:25], s[24:25], 8
	s_wait_xcnt 0x0
	v_add_nc_u64_e32 v[26:27], s[10:11], v[26:27]
	v_cmp_lt_i64_e64 s26, s[24:25], s[4:5]
	s_and_b32 vcc_lo, exec_lo, s26
	s_wait_loadcnt_dscnt 0x0
	ds_store_b64 v29, v[32:33]
	flat_load_b64 v[32:33], v[24:25]
	s_wait_xcnt 0x0
	v_add_nc_u64_e32 v[24:25], 64, v[24:25]
	s_wait_loadcnt_dscnt 0x0
	ds_store_b64 v30, v[32:33]
	s_wait_dscnt 0x0
	s_barrier_signal -1
	s_barrier_wait -1
	ds_load_b128 v[32:35], v2
	ds_load_2addr_b64 v[36:39], v28 offset1:16
	ds_load_b128 v[40:43], v2 offset:1024
	ds_load_b128 v[44:47], v2 offset:16
	;; [unrolled: 1-line block ×3, first 2 shown]
	s_wait_dscnt 0x3
	v_fmac_f64_e32 v[20:21], v[36:37], v[32:33]
	v_fmac_f64_e32 v[18:19], v[38:39], v[32:33]
	s_wait_dscnt 0x2
	v_fmac_f64_e32 v[16:17], v[36:37], v[40:41]
	v_fmac_f64_e32 v[14:15], v[38:39], v[40:41]
	ds_load_2addr_b64 v[36:39], v28 offset0:32 offset1:48
	s_wait_dscnt 0x0
	v_fmac_f64_e32 v[20:21], v[36:37], v[34:35]
	v_fmac_f64_e32 v[18:19], v[38:39], v[34:35]
	v_fmac_f64_e32 v[16:17], v[36:37], v[42:43]
	v_fmac_f64_e32 v[14:15], v[38:39], v[42:43]
	ds_load_2addr_b64 v[32:35], v28 offset0:64 offset1:80
	s_wait_dscnt 0x0
	v_fmac_f64_e32 v[20:21], v[32:33], v[44:45]
	v_fmac_f64_e32 v[18:19], v[34:35], v[44:45]
	;; [unrolled: 6-line block ×3, first 2 shown]
	v_fmac_f64_e32 v[16:17], v[32:33], v[50:51]
	v_fmac_f64_e32 v[14:15], v[34:35], v[50:51]
	ds_load_b128 v[32:35], v2 offset:32
	ds_load_2addr_b64 v[36:39], v28 offset0:128 offset1:144
	ds_load_b128 v[40:43], v2 offset:1056
	ds_load_b128 v[44:47], v2 offset:48
	;; [unrolled: 1-line block ×3, first 2 shown]
	s_wait_dscnt 0x3
	v_fmac_f64_e32 v[20:21], v[36:37], v[32:33]
	v_fmac_f64_e32 v[18:19], v[38:39], v[32:33]
	s_wait_dscnt 0x2
	v_fmac_f64_e32 v[16:17], v[36:37], v[40:41]
	v_fmac_f64_e32 v[14:15], v[38:39], v[40:41]
	ds_load_2addr_b64 v[36:39], v28 offset0:160 offset1:176
	s_wait_dscnt 0x0
	v_fmac_f64_e32 v[20:21], v[36:37], v[34:35]
	v_fmac_f64_e32 v[18:19], v[38:39], v[34:35]
	;; [unrolled: 1-line block ×4, first 2 shown]
	ds_load_2addr_b64 v[32:35], v28 offset0:192 offset1:208
	s_wait_dscnt 0x0
	v_fmac_f64_e32 v[20:21], v[32:33], v[44:45]
	v_fmac_f64_e32 v[18:19], v[34:35], v[44:45]
	v_fmac_f64_e32 v[16:17], v[32:33], v[48:49]
	v_fmac_f64_e32 v[14:15], v[34:35], v[48:49]
	ds_load_2addr_b64 v[32:35], v28 offset0:224 offset1:240
	s_wait_dscnt 0x0
	s_barrier_signal -1
	s_barrier_wait -1
	v_fmac_f64_e32 v[20:21], v[32:33], v[46:47]
	v_fmac_f64_e32 v[18:19], v[34:35], v[46:47]
	;; [unrolled: 1-line block ×4, first 2 shown]
	s_cbranch_vccnz .LBB10_5
	s_branch .LBB10_7
.LBB10_6:                               ;   in Loop: Header=BB10_3 Depth=1
	v_mov_b64_e32 v[20:21], 0
	v_mov_b64_e32 v[18:19], 0
	;; [unrolled: 1-line block ×3, first 2 shown]
	s_wait_xcnt 0x0
	v_mov_b64_e32 v[14:15], 0
.LBB10_7:                               ;   in Loop: Header=BB10_3 Depth=1
	s_wait_loadcnt 0x0
	v_add_nc_u64_e32 v[22:23], s[12:13], v[22:23]
	s_and_not1_b32 vcc_lo, exec_lo, s1
	s_delay_alu instid0(VALU_DEP_1) | instskip(NEXT) | instid1(VALU_DEP_1)
	v_lshl_add_u64 v[22:23], v[4:5], 3, v[22:23]
	v_add_nc_u64_e32 v[24:25], v[22:23], v[8:9]
	v_lshl_add_u64 v[22:23], s[16:17], 3, v[22:23]
	s_cbranch_vccnz .LBB10_9
; %bb.8:                                ;   in Loop: Header=BB10_3 Depth=1
	v_mul_f64_e32 v[26:27], s[6:7], v[20:21]
	v_mul_f64_e32 v[32:33], s[6:7], v[18:19]
	;; [unrolled: 1-line block ×4, first 2 shown]
	v_add_nc_u64_e32 v[38:39], v[22:23], v[8:9]
	s_clause 0x3
	flat_store_b64 v[24:25], v[26:27]
	flat_store_b64 v[24:25], v[32:33] offset:128
	flat_store_b64 v[38:39], v[34:35]
	flat_store_b64 v[38:39], v[36:37] offset:128
	s_cbranch_execnz .LBB10_2
	s_branch .LBB10_10
.LBB10_9:                               ;   in Loop: Header=BB10_3 Depth=1
.LBB10_10:                              ;   in Loop: Header=BB10_3 Depth=1
	v_add_nc_u64_e32 v[12:13], s[22:23], v[12:13]
	s_delay_alu instid0(VALU_DEP_1) | instskip(SKIP_1) | instid1(VALU_DEP_1)
	v_lshl_add_u64 v[12:13], v[6:7], 3, v[12:13]
	s_wait_xcnt 0x3
	v_add_nc_u64_e32 v[26:27], v[12:13], v[8:9]
	v_lshl_add_u64 v[12:13], s[18:19], 3, v[12:13]
	s_delay_alu instid0(VALU_DEP_1) | instskip(SKIP_3) | instid1(VALU_DEP_1)
	v_add_nc_u64_e32 v[12:13], v[12:13], v[8:9]
	flat_load_b64 v[32:33], v[26:27]
	s_wait_loadcnt_dscnt 0x0
	v_mul_f64_e32 v[32:33], s[36:37], v[32:33]
	v_fmac_f64_e32 v[32:33], s[6:7], v[20:21]
	flat_store_b64 v[24:25], v[32:33]
	flat_load_b64 v[20:21], v[26:27] offset:128
	s_wait_loadcnt_dscnt 0x0
	v_mul_f64_e32 v[20:21], s[36:37], v[20:21]
	s_delay_alu instid0(VALU_DEP_1) | instskip(SKIP_4) | instid1(VALU_DEP_1)
	v_fmac_f64_e32 v[20:21], s[6:7], v[18:19]
	flat_store_b64 v[24:25], v[20:21] offset:128
	flat_load_b64 v[18:19], v[12:13]
	s_wait_loadcnt_dscnt 0x0
	v_mul_f64_e32 v[18:19], s[36:37], v[18:19]
	v_fmac_f64_e32 v[18:19], s[6:7], v[16:17]
	v_add_nc_u64_e32 v[16:17], v[22:23], v[8:9]
	flat_store_b64 v[16:17], v[18:19]
	flat_load_b64 v[12:13], v[12:13] offset:128
	s_wait_loadcnt_dscnt 0x0
	s_wait_xcnt 0x0
	v_mul_f64_e32 v[12:13], s[36:37], v[12:13]
	s_delay_alu instid0(VALU_DEP_1)
	v_fmac_f64_e32 v[12:13], s[6:7], v[14:15]
	flat_store_b64 v[16:17], v[12:13] offset:128
	s_branch .LBB10_2
.LBB10_11:
	s_endpgm
	.section	.rodata,"a",@progbits
	.p2align	6, 0x0
	.amdhsa_kernel _ZN12_GLOBAL__N_127rocblas_gemm_batched_kernelIdLi16ELi16ELi32ELi32ELi8ELi32ELi8ELi8ELi32ELc78ELc78EKPKdS3_KPdEEvlllT_PT11_llS8_llS6_PT12_llPT13_lli
		.amdhsa_group_segment_fixed_size 4096
		.amdhsa_private_segment_fixed_size 0
		.amdhsa_kernarg_size 140
		.amdhsa_user_sgpr_count 2
		.amdhsa_user_sgpr_dispatch_ptr 0
		.amdhsa_user_sgpr_queue_ptr 0
		.amdhsa_user_sgpr_kernarg_segment_ptr 1
		.amdhsa_user_sgpr_dispatch_id 0
		.amdhsa_user_sgpr_kernarg_preload_length 0
		.amdhsa_user_sgpr_kernarg_preload_offset 0
		.amdhsa_user_sgpr_private_segment_size 0
		.amdhsa_wavefront_size32 1
		.amdhsa_uses_dynamic_stack 0
		.amdhsa_enable_private_segment 0
		.amdhsa_system_sgpr_workgroup_id_x 1
		.amdhsa_system_sgpr_workgroup_id_y 1
		.amdhsa_system_sgpr_workgroup_id_z 1
		.amdhsa_system_sgpr_workgroup_info 0
		.amdhsa_system_vgpr_workitem_id 1
		.amdhsa_next_free_vgpr 52
		.amdhsa_next_free_sgpr 44
		.amdhsa_named_barrier_count 0
		.amdhsa_reserve_vcc 1
		.amdhsa_float_round_mode_32 0
		.amdhsa_float_round_mode_16_64 0
		.amdhsa_float_denorm_mode_32 3
		.amdhsa_float_denorm_mode_16_64 3
		.amdhsa_fp16_overflow 0
		.amdhsa_memory_ordered 1
		.amdhsa_forward_progress 1
		.amdhsa_inst_pref_size 11
		.amdhsa_round_robin_scheduling 0
		.amdhsa_exception_fp_ieee_invalid_op 0
		.amdhsa_exception_fp_denorm_src 0
		.amdhsa_exception_fp_ieee_div_zero 0
		.amdhsa_exception_fp_ieee_overflow 0
		.amdhsa_exception_fp_ieee_underflow 0
		.amdhsa_exception_fp_ieee_inexact 0
		.amdhsa_exception_int_div_zero 0
	.end_amdhsa_kernel
	.section	.text._ZN12_GLOBAL__N_127rocblas_gemm_batched_kernelIdLi16ELi16ELi32ELi32ELi8ELi32ELi8ELi8ELi32ELc78ELc78EKPKdS3_KPdEEvlllT_PT11_llS8_llS6_PT12_llPT13_lli,"axG",@progbits,_ZN12_GLOBAL__N_127rocblas_gemm_batched_kernelIdLi16ELi16ELi32ELi32ELi8ELi32ELi8ELi8ELi32ELc78ELc78EKPKdS3_KPdEEvlllT_PT11_llS8_llS6_PT12_llPT13_lli,comdat
.Lfunc_end10:
	.size	_ZN12_GLOBAL__N_127rocblas_gemm_batched_kernelIdLi16ELi16ELi32ELi32ELi8ELi32ELi8ELi8ELi32ELc78ELc78EKPKdS3_KPdEEvlllT_PT11_llS8_llS6_PT12_llPT13_lli, .Lfunc_end10-_ZN12_GLOBAL__N_127rocblas_gemm_batched_kernelIdLi16ELi16ELi32ELi32ELi8ELi32ELi8ELi8ELi32ELc78ELc78EKPKdS3_KPdEEvlllT_PT11_llS8_llS6_PT12_llPT13_lli
                                        ; -- End function
	.set _ZN12_GLOBAL__N_127rocblas_gemm_batched_kernelIdLi16ELi16ELi32ELi32ELi8ELi32ELi8ELi8ELi32ELc78ELc78EKPKdS3_KPdEEvlllT_PT11_llS8_llS6_PT12_llPT13_lli.num_vgpr, 52
	.set _ZN12_GLOBAL__N_127rocblas_gemm_batched_kernelIdLi16ELi16ELi32ELi32ELi8ELi32ELi8ELi8ELi32ELc78ELc78EKPKdS3_KPdEEvlllT_PT11_llS8_llS6_PT12_llPT13_lli.num_agpr, 0
	.set _ZN12_GLOBAL__N_127rocblas_gemm_batched_kernelIdLi16ELi16ELi32ELi32ELi8ELi32ELi8ELi8ELi32ELc78ELc78EKPKdS3_KPdEEvlllT_PT11_llS8_llS6_PT12_llPT13_lli.numbered_sgpr, 44
	.set _ZN12_GLOBAL__N_127rocblas_gemm_batched_kernelIdLi16ELi16ELi32ELi32ELi8ELi32ELi8ELi8ELi32ELc78ELc78EKPKdS3_KPdEEvlllT_PT11_llS8_llS6_PT12_llPT13_lli.num_named_barrier, 0
	.set _ZN12_GLOBAL__N_127rocblas_gemm_batched_kernelIdLi16ELi16ELi32ELi32ELi8ELi32ELi8ELi8ELi32ELc78ELc78EKPKdS3_KPdEEvlllT_PT11_llS8_llS6_PT12_llPT13_lli.private_seg_size, 0
	.set _ZN12_GLOBAL__N_127rocblas_gemm_batched_kernelIdLi16ELi16ELi32ELi32ELi8ELi32ELi8ELi8ELi32ELc78ELc78EKPKdS3_KPdEEvlllT_PT11_llS8_llS6_PT12_llPT13_lli.uses_vcc, 1
	.set _ZN12_GLOBAL__N_127rocblas_gemm_batched_kernelIdLi16ELi16ELi32ELi32ELi8ELi32ELi8ELi8ELi32ELc78ELc78EKPKdS3_KPdEEvlllT_PT11_llS8_llS6_PT12_llPT13_lli.uses_flat_scratch, 1
	.set _ZN12_GLOBAL__N_127rocblas_gemm_batched_kernelIdLi16ELi16ELi32ELi32ELi8ELi32ELi8ELi8ELi32ELc78ELc78EKPKdS3_KPdEEvlllT_PT11_llS8_llS6_PT12_llPT13_lli.has_dyn_sized_stack, 0
	.set _ZN12_GLOBAL__N_127rocblas_gemm_batched_kernelIdLi16ELi16ELi32ELi32ELi8ELi32ELi8ELi8ELi32ELc78ELc78EKPKdS3_KPdEEvlllT_PT11_llS8_llS6_PT12_llPT13_lli.has_recursion, 0
	.set _ZN12_GLOBAL__N_127rocblas_gemm_batched_kernelIdLi16ELi16ELi32ELi32ELi8ELi32ELi8ELi8ELi32ELc78ELc78EKPKdS3_KPdEEvlllT_PT11_llS8_llS6_PT12_llPT13_lli.has_indirect_call, 0
	.section	.AMDGPU.csdata,"",@progbits
; Kernel info:
; codeLenInByte = 1344
; TotalNumSgprs: 46
; NumVgprs: 52
; ScratchSize: 0
; MemoryBound: 0
; FloatMode: 240
; IeeeMode: 1
; LDSByteSize: 4096 bytes/workgroup (compile time only)
; SGPRBlocks: 0
; VGPRBlocks: 3
; NumSGPRsForWavesPerEU: 46
; NumVGPRsForWavesPerEU: 52
; NamedBarCnt: 0
; Occupancy: 16
; WaveLimiterHint : 1
; COMPUTE_PGM_RSRC2:SCRATCH_EN: 0
; COMPUTE_PGM_RSRC2:USER_SGPR: 2
; COMPUTE_PGM_RSRC2:TRAP_HANDLER: 0
; COMPUTE_PGM_RSRC2:TGID_X_EN: 1
; COMPUTE_PGM_RSRC2:TGID_Y_EN: 1
; COMPUTE_PGM_RSRC2:TGID_Z_EN: 1
; COMPUTE_PGM_RSRC2:TIDIG_COMP_CNT: 1
	.section	.text._ZN12_GLOBAL__N_127rocblas_gemm_batched_kernelIdLi16ELi16ELi32ELi32ELi8ELi32ELi8ELi8ELi32ELc84ELc78EKPKdS3_KPdEEvlllT_PT11_llS8_llS6_PT12_llPT13_lli,"axG",@progbits,_ZN12_GLOBAL__N_127rocblas_gemm_batched_kernelIdLi16ELi16ELi32ELi32ELi8ELi32ELi8ELi8ELi32ELc84ELc78EKPKdS3_KPdEEvlllT_PT11_llS8_llS6_PT12_llPT13_lli,comdat
	.globl	_ZN12_GLOBAL__N_127rocblas_gemm_batched_kernelIdLi16ELi16ELi32ELi32ELi8ELi32ELi8ELi8ELi32ELc84ELc78EKPKdS3_KPdEEvlllT_PT11_llS8_llS6_PT12_llPT13_lli ; -- Begin function _ZN12_GLOBAL__N_127rocblas_gemm_batched_kernelIdLi16ELi16ELi32ELi32ELi8ELi32ELi8ELi8ELi32ELc84ELc78EKPKdS3_KPdEEvlllT_PT11_llS8_llS6_PT12_llPT13_lli
	.p2align	8
	.type	_ZN12_GLOBAL__N_127rocblas_gemm_batched_kernelIdLi16ELi16ELi32ELi32ELi8ELi32ELi8ELi8ELi32ELc84ELc78EKPKdS3_KPdEEvlllT_PT11_llS8_llS6_PT12_llPT13_lli,@function
_ZN12_GLOBAL__N_127rocblas_gemm_batched_kernelIdLi16ELi16ELi32ELi32ELi8ELi32ELi8ELi8ELi32ELc84ELc78EKPKdS3_KPdEEvlllT_PT11_llS8_llS6_PT12_llPT13_lli: ; @_ZN12_GLOBAL__N_127rocblas_gemm_batched_kernelIdLi16ELi16ELi32ELi32ELi8ELi32ELi8ELi8ELi32ELc84ELc78EKPKdS3_KPdEEvlllT_PT11_llS8_llS6_PT12_llPT13_lli
; %bb.0:
	s_load_b32 s28, s[0:1], 0x88
	s_bfe_u32 s2, ttmp6, 0x40014
	s_lshr_b32 s3, ttmp7, 16
	s_add_co_i32 s2, s2, 1
	s_bfe_u32 s4, ttmp6, 0x40008
	s_mul_i32 s2, s3, s2
	s_getreg_b32 s29, hwreg(HW_REG_IB_STS2, 6, 4)
	s_add_co_i32 s4, s4, s2
	s_cmp_eq_u32 s29, 0
	s_cselect_b32 s2, s3, s4
	s_mov_b32 s3, 0
	s_wait_kmcnt 0x0
	s_cmp_ge_i32 s2, s28
	s_cbranch_scc1 .LBB11_11
; %bb.1:
	v_bfe_u32 v2, v0, 10, 10
	v_and_b32_e32 v8, 0x3ff, v0
	s_clause 0x2
	s_load_b512 s[4:19], s[0:1], 0x10
	s_load_b256 s[20:27], s[0:1], 0x70
	s_load_b256 s[36:43], s[0:1], 0x50
	s_wait_xcnt 0x0
	s_bfe_u32 s1, ttmp6, 0x4000c
	s_wait_kmcnt 0x0
	s_bfe_u32 s26, ttmp6, 0x40010
	s_add_co_i32 s1, s1, 1
	s_and_b32 s27, ttmp7, 0xffff
	s_add_co_i32 s26, s26, 1
	v_lshl_add_u32 v1, v2, 4, v8
	v_mov_b32_e32 v3, 0
	s_and_b32 s0, ttmp6, 15
	s_mul_i32 s1, ttmp9, s1
	s_mul_i32 s26, s27, s26
	s_bfe_u32 s30, ttmp6, 0x40004
	s_add_co_i32 s0, s0, s1
	s_add_co_i32 s30, s30, s26
	s_cmp_eq_u32 s29, 0
	v_dual_lshrrev_b32 v10, 3, v1 :: v_dual_bitop2_b32 v17, 31, v1 bitop3:0x40
	v_mov_b32_e32 v11, v3
	s_cselect_b32 s0, ttmp9, s0
	s_cselect_b32 s26, s27, s30
	s_ashr_i32 s1, s0, 31
	s_lshl_b32 s26, s26, 5
	s_mov_b32 s27, s3
	s_lshl_b64 s[30:31], s[0:1], 5
	v_add_nc_u64_e32 v[4:5], s[26:27], v[10:11]
	v_dual_mov_b32 v7, s31 :: v_dual_bitop2_b32 v6, s30, v17 bitop3:0x54
	v_cmp_eq_f64_e64 s1, s[36:37], 0
	v_dual_mov_b32 v9, v3 :: v_dual_lshlrev_b32 v0, 3, v0
	v_lshlrev_b32_e32 v28, 3, v8
	s_delay_alu instid0(VALU_DEP_4)
	v_mul_u64_e32 v[12:13], s[10:11], v[6:7]
	v_mul_u64_e32 v[14:15], s[16:17], v[4:5]
	v_add_nc_u64_e32 v[6:7], s[26:27], v[2:3]
	v_dual_lshrrev_b32 v0, 5, v1 :: v_dual_bitop2_b32 v16, 56, v0 bitop3:0x40
	v_lshlrev_b32_e32 v1, 3, v17
	v_cmp_gt_i64_e64 s0, s[4:5], 0
	s_lshl_b64 s[10:11], s[12:13], 3
	v_lshl_or_b32 v18, v10, 6, v16
	v_mul_u64_e32 v[4:5], s[22:23], v[6:7]
	v_mul_u64_e32 v[6:7], s[40:41], v[6:7]
	v_add_nc_u64_e32 v[10:11], s[30:31], v[8:9]
	s_lshl_b64 s[12:13], s[18:19], 3
	v_lshl_add_u32 v29, v2, 6, 0x800
	v_dual_mov_b32 v17, v3 :: v_dual_lshlrev_b32 v2, 3, v0
	v_lshl_or_b32 v30, v0, 8, v1
	v_add_nc_u32_e32 v31, 0x800, v18
	v_lshlrev_b64_e32 v[10:11], 3, v[10:11]
	s_lshl_b64 s[16:17], s[24:25], 3
	s_lshl_b64 s[18:19], s[42:43], 3
	v_lshl_add_u64 v[0:1], v[12:13], 3, s[10:11]
	v_lshl_add_u64 v[8:9], v[14:15], 3, s[12:13]
	v_cndmask_b32_e64 v12, 0, 1, s0
	s_lshl_b64 s[10:11], s[22:23], 4
	s_lshl_b64 s[12:13], s[40:41], 4
	v_add_nc_u64_e32 v[0:1], v[0:1], v[2:3]
	v_add_nc_u64_e32 v[8:9], v[8:9], v[16:17]
	v_cmp_ne_u32_e64 s0, 1, v12
	s_branch .LBB11_3
.LBB11_2:                               ;   in Loop: Header=BB11_3 Depth=1
	s_add_co_i32 s2, s2, 0x10000
	s_delay_alu instid0(SALU_CYCLE_1)
	s_cmp_lt_i32 s2, s28
	s_cbranch_scc0 .LBB11_11
.LBB11_3:                               ; =>This Loop Header: Depth=1
                                        ;     Child Loop BB11_5 Depth 2
	s_wait_xcnt 0x0
	v_mov_b32_e32 v2, s2
	s_delay_alu instid0(VALU_DEP_2)
	s_and_b32 vcc_lo, exec_lo, s0
	s_clause 0x1
	global_load_b64 v[12:13], v2, s[38:39] scale_offset
	global_load_b64 v[22:23], v2, s[20:21] scale_offset
	s_cbranch_vccnz .LBB11_6
; %bb.4:                                ;   in Loop: Header=BB11_3 Depth=1
	s_lshl_b64 s[22:23], s[2:3], 3
	v_mov_b64_e32 v[14:15], 0
	s_add_nc_u64 s[24:25], s[14:15], s[22:23]
	s_add_nc_u64 s[22:23], s[8:9], s[22:23]
	s_clause 0x1
	global_load_b64 v[20:21], v3, s[24:25]
	global_load_b64 v[26:27], v3, s[22:23]
	v_mov_b64_e32 v[16:17], 0
	v_mov_b64_e32 v[18:19], 0
	s_wait_xcnt 0x0
	s_mov_b64 s[22:23], 0
	s_wait_loadcnt 0x1
	v_add_nc_u64_e32 v[24:25], v[20:21], v[8:9]
	s_wait_loadcnt 0x0
	v_add_nc_u64_e32 v[26:27], v[26:27], v[0:1]
	v_mov_b64_e32 v[20:21], 0
.LBB11_5:                               ;   Parent Loop BB11_3 Depth=1
                                        ; =>  This Inner Loop Header: Depth=2
	flat_load_b64 v[32:33], v[26:27]
	s_add_nc_u64 s[22:23], s[22:23], 8
	s_wait_xcnt 0x0
	v_add_nc_u64_e32 v[26:27], 64, v[26:27]
	v_cmp_lt_i64_e64 s24, s[22:23], s[4:5]
	s_and_b32 vcc_lo, exec_lo, s24
	s_wait_loadcnt_dscnt 0x0
	ds_store_b64 v30, v[32:33]
	flat_load_b64 v[32:33], v[24:25]
	s_wait_xcnt 0x0
	v_add_nc_u64_e32 v[24:25], 64, v[24:25]
	s_wait_loadcnt_dscnt 0x0
	ds_store_b64 v31, v[32:33]
	s_wait_dscnt 0x0
	s_barrier_signal -1
	s_barrier_wait -1
	ds_load_b128 v[32:35], v29
	ds_load_2addr_b64 v[36:39], v28 offset1:16
	ds_load_b128 v[40:43], v29 offset:1024
	ds_load_b128 v[44:47], v29 offset:16
	;; [unrolled: 1-line block ×3, first 2 shown]
	s_wait_dscnt 0x3
	v_fmac_f64_e32 v[20:21], v[36:37], v[32:33]
	v_fmac_f64_e32 v[18:19], v[38:39], v[32:33]
	s_wait_dscnt 0x2
	v_fmac_f64_e32 v[16:17], v[36:37], v[40:41]
	v_fmac_f64_e32 v[14:15], v[38:39], v[40:41]
	ds_load_2addr_b64 v[36:39], v28 offset0:32 offset1:48
	s_wait_dscnt 0x0
	v_fmac_f64_e32 v[20:21], v[36:37], v[34:35]
	v_fmac_f64_e32 v[18:19], v[38:39], v[34:35]
	v_fmac_f64_e32 v[16:17], v[36:37], v[42:43]
	v_fmac_f64_e32 v[14:15], v[38:39], v[42:43]
	ds_load_2addr_b64 v[32:35], v28 offset0:64 offset1:80
	s_wait_dscnt 0x0
	v_fmac_f64_e32 v[20:21], v[32:33], v[44:45]
	v_fmac_f64_e32 v[18:19], v[34:35], v[44:45]
	;; [unrolled: 6-line block ×3, first 2 shown]
	v_fmac_f64_e32 v[16:17], v[32:33], v[50:51]
	v_fmac_f64_e32 v[14:15], v[34:35], v[50:51]
	ds_load_b128 v[32:35], v29 offset:32
	ds_load_2addr_b64 v[36:39], v28 offset0:128 offset1:144
	ds_load_b128 v[40:43], v29 offset:1056
	ds_load_b128 v[44:47], v29 offset:48
	;; [unrolled: 1-line block ×3, first 2 shown]
	s_wait_dscnt 0x3
	v_fmac_f64_e32 v[20:21], v[36:37], v[32:33]
	v_fmac_f64_e32 v[18:19], v[38:39], v[32:33]
	s_wait_dscnt 0x2
	v_fmac_f64_e32 v[16:17], v[36:37], v[40:41]
	v_fmac_f64_e32 v[14:15], v[38:39], v[40:41]
	ds_load_2addr_b64 v[36:39], v28 offset0:160 offset1:176
	s_wait_dscnt 0x0
	v_fmac_f64_e32 v[20:21], v[36:37], v[34:35]
	v_fmac_f64_e32 v[18:19], v[38:39], v[34:35]
	;; [unrolled: 1-line block ×4, first 2 shown]
	ds_load_2addr_b64 v[32:35], v28 offset0:192 offset1:208
	s_wait_dscnt 0x0
	v_fmac_f64_e32 v[20:21], v[32:33], v[44:45]
	v_fmac_f64_e32 v[18:19], v[34:35], v[44:45]
	;; [unrolled: 1-line block ×4, first 2 shown]
	ds_load_2addr_b64 v[32:35], v28 offset0:224 offset1:240
	s_wait_dscnt 0x0
	s_barrier_signal -1
	s_barrier_wait -1
	v_fmac_f64_e32 v[20:21], v[32:33], v[46:47]
	v_fmac_f64_e32 v[18:19], v[34:35], v[46:47]
	;; [unrolled: 1-line block ×4, first 2 shown]
	s_cbranch_vccnz .LBB11_5
	s_branch .LBB11_7
.LBB11_6:                               ;   in Loop: Header=BB11_3 Depth=1
	v_mov_b64_e32 v[20:21], 0
	v_mov_b64_e32 v[18:19], 0
	;; [unrolled: 1-line block ×4, first 2 shown]
.LBB11_7:                               ;   in Loop: Header=BB11_3 Depth=1
	s_wait_loadcnt 0x0
	v_add_nc_u64_e32 v[22:23], s[16:17], v[22:23]
	s_and_not1_b32 vcc_lo, exec_lo, s1
	s_delay_alu instid0(VALU_DEP_1) | instskip(NEXT) | instid1(VALU_DEP_1)
	v_lshl_add_u64 v[22:23], v[4:5], 3, v[22:23]
	v_add_nc_u64_e32 v[24:25], v[22:23], v[10:11]
	v_lshl_add_u64 v[22:23], s[10:11], 3, v[22:23]
	s_cbranch_vccnz .LBB11_9
; %bb.8:                                ;   in Loop: Header=BB11_3 Depth=1
	v_mul_f64_e32 v[26:27], s[6:7], v[20:21]
	v_mul_f64_e32 v[32:33], s[6:7], v[18:19]
	;; [unrolled: 1-line block ×4, first 2 shown]
	v_add_nc_u64_e32 v[38:39], v[22:23], v[10:11]
	s_clause 0x3
	flat_store_b64 v[24:25], v[26:27]
	flat_store_b64 v[24:25], v[32:33] offset:128
	flat_store_b64 v[38:39], v[34:35]
	flat_store_b64 v[38:39], v[36:37] offset:128
	s_cbranch_execnz .LBB11_2
	s_branch .LBB11_10
.LBB11_9:                               ;   in Loop: Header=BB11_3 Depth=1
.LBB11_10:                              ;   in Loop: Header=BB11_3 Depth=1
	v_add_nc_u64_e32 v[12:13], s[18:19], v[12:13]
	s_delay_alu instid0(VALU_DEP_1) | instskip(SKIP_1) | instid1(VALU_DEP_1)
	v_lshl_add_u64 v[12:13], v[6:7], 3, v[12:13]
	s_wait_xcnt 0x3
	v_add_nc_u64_e32 v[26:27], v[12:13], v[10:11]
	v_lshl_add_u64 v[12:13], s[12:13], 3, v[12:13]
	s_delay_alu instid0(VALU_DEP_1) | instskip(SKIP_3) | instid1(VALU_DEP_1)
	v_add_nc_u64_e32 v[12:13], v[12:13], v[10:11]
	flat_load_b64 v[32:33], v[26:27]
	s_wait_loadcnt_dscnt 0x0
	v_mul_f64_e32 v[32:33], s[36:37], v[32:33]
	v_fmac_f64_e32 v[32:33], s[6:7], v[20:21]
	flat_store_b64 v[24:25], v[32:33]
	flat_load_b64 v[20:21], v[26:27] offset:128
	s_wait_loadcnt_dscnt 0x0
	v_mul_f64_e32 v[20:21], s[36:37], v[20:21]
	s_delay_alu instid0(VALU_DEP_1) | instskip(SKIP_4) | instid1(VALU_DEP_1)
	v_fmac_f64_e32 v[20:21], s[6:7], v[18:19]
	flat_store_b64 v[24:25], v[20:21] offset:128
	flat_load_b64 v[18:19], v[12:13]
	s_wait_loadcnt_dscnt 0x0
	v_mul_f64_e32 v[18:19], s[36:37], v[18:19]
	v_fmac_f64_e32 v[18:19], s[6:7], v[16:17]
	v_add_nc_u64_e32 v[16:17], v[22:23], v[10:11]
	flat_store_b64 v[16:17], v[18:19]
	flat_load_b64 v[12:13], v[12:13] offset:128
	s_wait_loadcnt_dscnt 0x0
	s_wait_xcnt 0x0
	v_mul_f64_e32 v[12:13], s[36:37], v[12:13]
	s_delay_alu instid0(VALU_DEP_1)
	v_fmac_f64_e32 v[12:13], s[6:7], v[14:15]
	flat_store_b64 v[16:17], v[12:13] offset:128
	s_branch .LBB11_2
.LBB11_11:
	s_endpgm
	.section	.rodata,"a",@progbits
	.p2align	6, 0x0
	.amdhsa_kernel _ZN12_GLOBAL__N_127rocblas_gemm_batched_kernelIdLi16ELi16ELi32ELi32ELi8ELi32ELi8ELi8ELi32ELc84ELc78EKPKdS3_KPdEEvlllT_PT11_llS8_llS6_PT12_llPT13_lli
		.amdhsa_group_segment_fixed_size 4096
		.amdhsa_private_segment_fixed_size 0
		.amdhsa_kernarg_size 140
		.amdhsa_user_sgpr_count 2
		.amdhsa_user_sgpr_dispatch_ptr 0
		.amdhsa_user_sgpr_queue_ptr 0
		.amdhsa_user_sgpr_kernarg_segment_ptr 1
		.amdhsa_user_sgpr_dispatch_id 0
		.amdhsa_user_sgpr_kernarg_preload_length 0
		.amdhsa_user_sgpr_kernarg_preload_offset 0
		.amdhsa_user_sgpr_private_segment_size 0
		.amdhsa_wavefront_size32 1
		.amdhsa_uses_dynamic_stack 0
		.amdhsa_enable_private_segment 0
		.amdhsa_system_sgpr_workgroup_id_x 1
		.amdhsa_system_sgpr_workgroup_id_y 1
		.amdhsa_system_sgpr_workgroup_id_z 1
		.amdhsa_system_sgpr_workgroup_info 0
		.amdhsa_system_vgpr_workitem_id 1
		.amdhsa_next_free_vgpr 52
		.amdhsa_next_free_sgpr 44
		.amdhsa_named_barrier_count 0
		.amdhsa_reserve_vcc 1
		.amdhsa_float_round_mode_32 0
		.amdhsa_float_round_mode_16_64 0
		.amdhsa_float_denorm_mode_32 3
		.amdhsa_float_denorm_mode_16_64 3
		.amdhsa_fp16_overflow 0
		.amdhsa_memory_ordered 1
		.amdhsa_forward_progress 1
		.amdhsa_inst_pref_size 11
		.amdhsa_round_robin_scheduling 0
		.amdhsa_exception_fp_ieee_invalid_op 0
		.amdhsa_exception_fp_denorm_src 0
		.amdhsa_exception_fp_ieee_div_zero 0
		.amdhsa_exception_fp_ieee_overflow 0
		.amdhsa_exception_fp_ieee_underflow 0
		.amdhsa_exception_fp_ieee_inexact 0
		.amdhsa_exception_int_div_zero 0
	.end_amdhsa_kernel
	.section	.text._ZN12_GLOBAL__N_127rocblas_gemm_batched_kernelIdLi16ELi16ELi32ELi32ELi8ELi32ELi8ELi8ELi32ELc84ELc78EKPKdS3_KPdEEvlllT_PT11_llS8_llS6_PT12_llPT13_lli,"axG",@progbits,_ZN12_GLOBAL__N_127rocblas_gemm_batched_kernelIdLi16ELi16ELi32ELi32ELi8ELi32ELi8ELi8ELi32ELc84ELc78EKPKdS3_KPdEEvlllT_PT11_llS8_llS6_PT12_llPT13_lli,comdat
.Lfunc_end11:
	.size	_ZN12_GLOBAL__N_127rocblas_gemm_batched_kernelIdLi16ELi16ELi32ELi32ELi8ELi32ELi8ELi8ELi32ELc84ELc78EKPKdS3_KPdEEvlllT_PT11_llS8_llS6_PT12_llPT13_lli, .Lfunc_end11-_ZN12_GLOBAL__N_127rocblas_gemm_batched_kernelIdLi16ELi16ELi32ELi32ELi8ELi32ELi8ELi8ELi32ELc84ELc78EKPKdS3_KPdEEvlllT_PT11_llS8_llS6_PT12_llPT13_lli
                                        ; -- End function
	.set _ZN12_GLOBAL__N_127rocblas_gemm_batched_kernelIdLi16ELi16ELi32ELi32ELi8ELi32ELi8ELi8ELi32ELc84ELc78EKPKdS3_KPdEEvlllT_PT11_llS8_llS6_PT12_llPT13_lli.num_vgpr, 52
	.set _ZN12_GLOBAL__N_127rocblas_gemm_batched_kernelIdLi16ELi16ELi32ELi32ELi8ELi32ELi8ELi8ELi32ELc84ELc78EKPKdS3_KPdEEvlllT_PT11_llS8_llS6_PT12_llPT13_lli.num_agpr, 0
	.set _ZN12_GLOBAL__N_127rocblas_gemm_batched_kernelIdLi16ELi16ELi32ELi32ELi8ELi32ELi8ELi8ELi32ELc84ELc78EKPKdS3_KPdEEvlllT_PT11_llS8_llS6_PT12_llPT13_lli.numbered_sgpr, 44
	.set _ZN12_GLOBAL__N_127rocblas_gemm_batched_kernelIdLi16ELi16ELi32ELi32ELi8ELi32ELi8ELi8ELi32ELc84ELc78EKPKdS3_KPdEEvlllT_PT11_llS8_llS6_PT12_llPT13_lli.num_named_barrier, 0
	.set _ZN12_GLOBAL__N_127rocblas_gemm_batched_kernelIdLi16ELi16ELi32ELi32ELi8ELi32ELi8ELi8ELi32ELc84ELc78EKPKdS3_KPdEEvlllT_PT11_llS8_llS6_PT12_llPT13_lli.private_seg_size, 0
	.set _ZN12_GLOBAL__N_127rocblas_gemm_batched_kernelIdLi16ELi16ELi32ELi32ELi8ELi32ELi8ELi8ELi32ELc84ELc78EKPKdS3_KPdEEvlllT_PT11_llS8_llS6_PT12_llPT13_lli.uses_vcc, 1
	.set _ZN12_GLOBAL__N_127rocblas_gemm_batched_kernelIdLi16ELi16ELi32ELi32ELi8ELi32ELi8ELi8ELi32ELc84ELc78EKPKdS3_KPdEEvlllT_PT11_llS8_llS6_PT12_llPT13_lli.uses_flat_scratch, 1
	.set _ZN12_GLOBAL__N_127rocblas_gemm_batched_kernelIdLi16ELi16ELi32ELi32ELi8ELi32ELi8ELi8ELi32ELc84ELc78EKPKdS3_KPdEEvlllT_PT11_llS8_llS6_PT12_llPT13_lli.has_dyn_sized_stack, 0
	.set _ZN12_GLOBAL__N_127rocblas_gemm_batched_kernelIdLi16ELi16ELi32ELi32ELi8ELi32ELi8ELi8ELi32ELc84ELc78EKPKdS3_KPdEEvlllT_PT11_llS8_llS6_PT12_llPT13_lli.has_recursion, 0
	.set _ZN12_GLOBAL__N_127rocblas_gemm_batched_kernelIdLi16ELi16ELi32ELi32ELi8ELi32ELi8ELi8ELi32ELc84ELc78EKPKdS3_KPdEEvlllT_PT11_llS8_llS6_PT12_llPT13_lli.has_indirect_call, 0
	.section	.AMDGPU.csdata,"",@progbits
; Kernel info:
; codeLenInByte = 1336
; TotalNumSgprs: 46
; NumVgprs: 52
; ScratchSize: 0
; MemoryBound: 0
; FloatMode: 240
; IeeeMode: 1
; LDSByteSize: 4096 bytes/workgroup (compile time only)
; SGPRBlocks: 0
; VGPRBlocks: 3
; NumSGPRsForWavesPerEU: 46
; NumVGPRsForWavesPerEU: 52
; NamedBarCnt: 0
; Occupancy: 16
; WaveLimiterHint : 1
; COMPUTE_PGM_RSRC2:SCRATCH_EN: 0
; COMPUTE_PGM_RSRC2:USER_SGPR: 2
; COMPUTE_PGM_RSRC2:TRAP_HANDLER: 0
; COMPUTE_PGM_RSRC2:TGID_X_EN: 1
; COMPUTE_PGM_RSRC2:TGID_Y_EN: 1
; COMPUTE_PGM_RSRC2:TGID_Z_EN: 1
; COMPUTE_PGM_RSRC2:TIDIG_COMP_CNT: 1
	.section	.text._ZN12_GLOBAL__N_127rocblas_gemm_batched_kernelIdLi16ELi16ELi32ELi32ELi8ELi32ELi8ELi8ELi32ELc78ELc84EKPKdS3_KPdEEvlllT_PT11_llS8_llS6_PT12_llPT13_lli,"axG",@progbits,_ZN12_GLOBAL__N_127rocblas_gemm_batched_kernelIdLi16ELi16ELi32ELi32ELi8ELi32ELi8ELi8ELi32ELc78ELc84EKPKdS3_KPdEEvlllT_PT11_llS8_llS6_PT12_llPT13_lli,comdat
	.globl	_ZN12_GLOBAL__N_127rocblas_gemm_batched_kernelIdLi16ELi16ELi32ELi32ELi8ELi32ELi8ELi8ELi32ELc78ELc84EKPKdS3_KPdEEvlllT_PT11_llS8_llS6_PT12_llPT13_lli ; -- Begin function _ZN12_GLOBAL__N_127rocblas_gemm_batched_kernelIdLi16ELi16ELi32ELi32ELi8ELi32ELi8ELi8ELi32ELc78ELc84EKPKdS3_KPdEEvlllT_PT11_llS8_llS6_PT12_llPT13_lli
	.p2align	8
	.type	_ZN12_GLOBAL__N_127rocblas_gemm_batched_kernelIdLi16ELi16ELi32ELi32ELi8ELi32ELi8ELi8ELi32ELc78ELc84EKPKdS3_KPdEEvlllT_PT11_llS8_llS6_PT12_llPT13_lli,@function
_ZN12_GLOBAL__N_127rocblas_gemm_batched_kernelIdLi16ELi16ELi32ELi32ELi8ELi32ELi8ELi8ELi32ELc78ELc84EKPKdS3_KPdEEvlllT_PT11_llS8_llS6_PT12_llPT13_lli: ; @_ZN12_GLOBAL__N_127rocblas_gemm_batched_kernelIdLi16ELi16ELi32ELi32ELi8ELi32ELi8ELi8ELi32ELc78ELc84EKPKdS3_KPdEEvlllT_PT11_llS8_llS6_PT12_llPT13_lli
; %bb.0:
	s_load_b32 s28, s[0:1], 0x88
	s_bfe_u32 s2, ttmp6, 0x40014
	s_lshr_b32 s3, ttmp7, 16
	s_add_co_i32 s2, s2, 1
	s_bfe_u32 s4, ttmp6, 0x40008
	s_mul_i32 s2, s3, s2
	s_getreg_b32 s29, hwreg(HW_REG_IB_STS2, 6, 4)
	s_add_co_i32 s4, s4, s2
	s_cmp_eq_u32 s29, 0
	s_cselect_b32 s2, s3, s4
	s_mov_b32 s3, 0
	s_wait_kmcnt 0x0
	s_cmp_ge_i32 s2, s28
	s_cbranch_scc1 .LBB12_11
; %bb.1:
	s_clause 0x2
	s_load_b512 s[4:19], s[0:1], 0x10
	s_load_b256 s[20:27], s[0:1], 0x70
	s_load_b256 s[36:43], s[0:1], 0x50
	v_bfe_u32 v2, v0, 10, 10
	v_and_b32_e32 v6, 0x3ff, v0
	s_wait_xcnt 0x0
	s_bfe_u32 s1, ttmp6, 0x4000c
	s_wait_kmcnt 0x0
	s_bfe_u32 s26, ttmp6, 0x40010
	s_add_co_i32 s1, s1, 1
	s_and_b32 s27, ttmp7, 0xffff
	s_add_co_i32 s26, s26, 1
	s_and_b32 s0, ttmp6, 15
	s_mul_i32 s1, ttmp9, s1
	s_mul_i32 s26, s27, s26
	s_bfe_u32 s30, ttmp6, 0x40004
	v_lshl_add_u32 v14, v2, 4, v6
	v_dual_mov_b32 v3, 0 :: v_dual_bitop2_b32 v15, 7, v0 bitop3:0x40
	s_add_co_i32 s0, s0, s1
	s_add_co_i32 s30, s30, s26
	s_cmp_eq_u32 s29, 0
	s_delay_alu instid0(VALU_DEP_1)
	v_dual_mov_b32 v9, v3 :: v_dual_lshrrev_b32 v8, 3, v14
	s_cselect_b32 s0, ttmp9, s0
	v_dual_mov_b32 v7, v3 :: v_dual_lshrrev_b32 v16, 5, v14
	s_cselect_b32 s29, s27, s30
	s_ashr_i32 s1, s0, 31
	v_mad_nc_u64_u32 v[10:11], s16, v15, v[8:9]
	s_lshl_b64 s[26:27], s[0:1], 5
	s_lshl_b32 s30, s29, 5
	s_mov_b32 s31, s3
	v_mad_nc_u64_u32 v[12:13], s10, v16, s[26:27]
	v_add_nc_u64_e32 v[4:5], s[30:31], v[2:3]
	v_cmp_eq_f64_e64 s1, s[36:37], 0
	v_dual_lshlrev_b32 v9, 3, v15 :: v_dual_bitop2_b32 v14, 31, v14 bitop3:0x40
	v_lshlrev_b32_e32 v28, 3, v6
	v_cmp_gt_i64_e64 s0, s[4:5], 0
	v_mad_u32 v11, s17, v15, v11
	v_mul_u64_e32 v[0:1], s[22:23], v[4:5]
	v_mul_u64_e32 v[4:5], s[40:41], v[4:5]
	v_mov_b32_e32 v15, v3
	v_mad_u32 v13, s11, v16, v13
	v_lshl_or_b32 v18, v8, 6, v9
	v_lshlrev_b32_e32 v17, 3, v14
	v_lshl_add_u32 v2, v2, 6, 0x800
	s_lshl_b64 s[22:23], s[22:23], 4
	s_lshl_b64 s[16:17], s[16:17], 6
	v_add_nc_u32_e32 v30, 0x800, v18
	v_add_nc_u64_e32 v[10:11], s[30:31], v[10:11]
	v_lshl_or_b32 v29, v16, 8, v17
	s_lshl_b64 s[10:11], s[10:11], 6
	v_add_nc_u64_e32 v[8:9], v[12:13], v[14:15]
	v_add_nc_u64_e32 v[12:13], s[26:27], v[6:7]
	v_cndmask_b32_e64 v14, 0, 1, s0
	v_lshlrev_b64_e32 v[6:7], 3, v[10:11]
	s_lshl_b64 s[26:27], s[40:41], 4
	s_delay_alu instid0(VALU_DEP_4) | instskip(NEXT) | instid1(VALU_DEP_4)
	v_lshlrev_b64_e32 v[10:11], 3, v[8:9]
	v_lshlrev_b64_e32 v[8:9], 3, v[12:13]
	v_cmp_ne_u32_e64 s0, 1, v14
	s_delay_alu instid0(VALU_DEP_4)
	v_lshl_add_u64 v[6:7], s[18:19], 3, v[6:7]
	s_lshl_b64 s[18:19], s[42:43], 3
	v_lshl_add_u64 v[10:11], s[12:13], 3, v[10:11]
	s_lshl_b64 s[12:13], s[24:25], 3
	s_branch .LBB12_3
.LBB12_2:                               ;   in Loop: Header=BB12_3 Depth=1
	s_add_co_i32 s2, s2, 0x10000
	s_delay_alu instid0(SALU_CYCLE_1)
	s_cmp_lt_i32 s2, s28
	s_cbranch_scc0 .LBB12_11
.LBB12_3:                               ; =>This Loop Header: Depth=1
                                        ;     Child Loop BB12_5 Depth 2
	v_mov_b32_e32 v14, s2
	s_and_b32 vcc_lo, exec_lo, s0
	s_clause 0x1
	global_load_b64 v[12:13], v14, s[38:39] scale_offset
	global_load_b64 v[22:23], v14, s[20:21] scale_offset
	s_cbranch_vccnz .LBB12_6
; %bb.4:                                ;   in Loop: Header=BB12_3 Depth=1
	s_lshl_b64 s[24:25], s[2:3], 3
	s_wait_xcnt 0x0
	v_mov_b64_e32 v[14:15], 0
	s_add_nc_u64 s[30:31], s[14:15], s[24:25]
	s_add_nc_u64 s[24:25], s[8:9], s[24:25]
	s_clause 0x1
	global_load_b64 v[20:21], v3, s[30:31]
	global_load_b64 v[26:27], v3, s[24:25]
	v_mov_b64_e32 v[16:17], 0
	v_mov_b64_e32 v[18:19], 0
	s_wait_xcnt 0x0
	s_mov_b64 s[24:25], 0
	s_wait_loadcnt 0x1
	v_add_nc_u64_e32 v[24:25], v[20:21], v[6:7]
	s_wait_loadcnt 0x0
	v_add_nc_u64_e32 v[26:27], v[26:27], v[10:11]
	v_mov_b64_e32 v[20:21], 0
.LBB12_5:                               ;   Parent Loop BB12_3 Depth=1
                                        ; =>  This Inner Loop Header: Depth=2
	flat_load_b64 v[32:33], v[26:27]
	s_add_nc_u64 s[24:25], s[24:25], 8
	s_wait_xcnt 0x0
	v_add_nc_u64_e32 v[26:27], s[10:11], v[26:27]
	v_cmp_lt_i64_e64 s29, s[24:25], s[4:5]
	s_and_b32 vcc_lo, exec_lo, s29
	s_wait_loadcnt_dscnt 0x0
	ds_store_b64 v29, v[32:33]
	flat_load_b64 v[32:33], v[24:25]
	s_wait_xcnt 0x0
	v_add_nc_u64_e32 v[24:25], s[16:17], v[24:25]
	s_wait_loadcnt_dscnt 0x0
	ds_store_b64 v30, v[32:33]
	s_wait_dscnt 0x0
	s_barrier_signal -1
	s_barrier_wait -1
	ds_load_b128 v[32:35], v2
	ds_load_2addr_b64 v[36:39], v28 offset1:16
	ds_load_b128 v[40:43], v2 offset:1024
	ds_load_b128 v[44:47], v2 offset:16
	;; [unrolled: 1-line block ×3, first 2 shown]
	s_wait_dscnt 0x3
	v_fmac_f64_e32 v[20:21], v[36:37], v[32:33]
	v_fmac_f64_e32 v[18:19], v[38:39], v[32:33]
	s_wait_dscnt 0x2
	v_fmac_f64_e32 v[16:17], v[36:37], v[40:41]
	v_fmac_f64_e32 v[14:15], v[38:39], v[40:41]
	ds_load_2addr_b64 v[36:39], v28 offset0:32 offset1:48
	s_wait_dscnt 0x0
	v_fmac_f64_e32 v[20:21], v[36:37], v[34:35]
	v_fmac_f64_e32 v[18:19], v[38:39], v[34:35]
	v_fmac_f64_e32 v[16:17], v[36:37], v[42:43]
	v_fmac_f64_e32 v[14:15], v[38:39], v[42:43]
	ds_load_2addr_b64 v[32:35], v28 offset0:64 offset1:80
	s_wait_dscnt 0x0
	v_fmac_f64_e32 v[20:21], v[32:33], v[44:45]
	v_fmac_f64_e32 v[18:19], v[34:35], v[44:45]
	v_fmac_f64_e32 v[16:17], v[32:33], v[48:49]
	v_fmac_f64_e32 v[14:15], v[34:35], v[48:49]
	ds_load_2addr_b64 v[32:35], v28 offset0:96 offset1:112
	s_wait_dscnt 0x0
	v_fmac_f64_e32 v[20:21], v[32:33], v[46:47]
	v_fmac_f64_e32 v[18:19], v[34:35], v[46:47]
	v_fmac_f64_e32 v[16:17], v[32:33], v[50:51]
	v_fmac_f64_e32 v[14:15], v[34:35], v[50:51]
	ds_load_b128 v[32:35], v2 offset:32
	ds_load_2addr_b64 v[36:39], v28 offset0:128 offset1:144
	ds_load_b128 v[40:43], v2 offset:1056
	ds_load_b128 v[44:47], v2 offset:48
	;; [unrolled: 1-line block ×3, first 2 shown]
	s_wait_dscnt 0x3
	v_fmac_f64_e32 v[20:21], v[36:37], v[32:33]
	v_fmac_f64_e32 v[18:19], v[38:39], v[32:33]
	s_wait_dscnt 0x2
	v_fmac_f64_e32 v[16:17], v[36:37], v[40:41]
	v_fmac_f64_e32 v[14:15], v[38:39], v[40:41]
	ds_load_2addr_b64 v[36:39], v28 offset0:160 offset1:176
	s_wait_dscnt 0x0
	v_fmac_f64_e32 v[20:21], v[36:37], v[34:35]
	v_fmac_f64_e32 v[18:19], v[38:39], v[34:35]
	v_fmac_f64_e32 v[16:17], v[36:37], v[42:43]
	v_fmac_f64_e32 v[14:15], v[38:39], v[42:43]
	ds_load_2addr_b64 v[32:35], v28 offset0:192 offset1:208
	s_wait_dscnt 0x0
	v_fmac_f64_e32 v[20:21], v[32:33], v[44:45]
	v_fmac_f64_e32 v[18:19], v[34:35], v[44:45]
	;; [unrolled: 1-line block ×4, first 2 shown]
	ds_load_2addr_b64 v[32:35], v28 offset0:224 offset1:240
	s_wait_dscnt 0x0
	s_barrier_signal -1
	s_barrier_wait -1
	v_fmac_f64_e32 v[20:21], v[32:33], v[46:47]
	v_fmac_f64_e32 v[18:19], v[34:35], v[46:47]
	;; [unrolled: 1-line block ×4, first 2 shown]
	s_cbranch_vccnz .LBB12_5
	s_branch .LBB12_7
.LBB12_6:                               ;   in Loop: Header=BB12_3 Depth=1
	v_mov_b64_e32 v[20:21], 0
	v_mov_b64_e32 v[18:19], 0
	;; [unrolled: 1-line block ×3, first 2 shown]
	s_wait_xcnt 0x0
	v_mov_b64_e32 v[14:15], 0
.LBB12_7:                               ;   in Loop: Header=BB12_3 Depth=1
	s_wait_loadcnt 0x0
	v_add_nc_u64_e32 v[22:23], s[12:13], v[22:23]
	s_and_not1_b32 vcc_lo, exec_lo, s1
	s_delay_alu instid0(VALU_DEP_1) | instskip(NEXT) | instid1(VALU_DEP_1)
	v_lshl_add_u64 v[22:23], v[0:1], 3, v[22:23]
	v_add_nc_u64_e32 v[24:25], v[22:23], v[8:9]
	v_lshl_add_u64 v[22:23], s[22:23], 3, v[22:23]
	s_cbranch_vccnz .LBB12_9
; %bb.8:                                ;   in Loop: Header=BB12_3 Depth=1
	v_mul_f64_e32 v[26:27], s[6:7], v[20:21]
	v_mul_f64_e32 v[32:33], s[6:7], v[18:19]
	;; [unrolled: 1-line block ×4, first 2 shown]
	v_add_nc_u64_e32 v[38:39], v[22:23], v[8:9]
	s_clause 0x3
	flat_store_b64 v[24:25], v[26:27]
	flat_store_b64 v[24:25], v[32:33] offset:128
	flat_store_b64 v[38:39], v[34:35]
	flat_store_b64 v[38:39], v[36:37] offset:128
	s_cbranch_execnz .LBB12_2
	s_branch .LBB12_10
.LBB12_9:                               ;   in Loop: Header=BB12_3 Depth=1
.LBB12_10:                              ;   in Loop: Header=BB12_3 Depth=1
	v_add_nc_u64_e32 v[12:13], s[18:19], v[12:13]
	s_delay_alu instid0(VALU_DEP_1) | instskip(SKIP_1) | instid1(VALU_DEP_1)
	v_lshl_add_u64 v[12:13], v[4:5], 3, v[12:13]
	s_wait_xcnt 0x3
	v_add_nc_u64_e32 v[26:27], v[12:13], v[8:9]
	v_lshl_add_u64 v[12:13], s[26:27], 3, v[12:13]
	s_delay_alu instid0(VALU_DEP_1) | instskip(SKIP_3) | instid1(VALU_DEP_1)
	v_add_nc_u64_e32 v[12:13], v[12:13], v[8:9]
	flat_load_b64 v[32:33], v[26:27]
	s_wait_loadcnt_dscnt 0x0
	v_mul_f64_e32 v[32:33], s[36:37], v[32:33]
	v_fmac_f64_e32 v[32:33], s[6:7], v[20:21]
	flat_store_b64 v[24:25], v[32:33]
	flat_load_b64 v[20:21], v[26:27] offset:128
	s_wait_loadcnt_dscnt 0x0
	v_mul_f64_e32 v[20:21], s[36:37], v[20:21]
	s_delay_alu instid0(VALU_DEP_1) | instskip(SKIP_4) | instid1(VALU_DEP_1)
	v_fmac_f64_e32 v[20:21], s[6:7], v[18:19]
	flat_store_b64 v[24:25], v[20:21] offset:128
	flat_load_b64 v[18:19], v[12:13]
	s_wait_loadcnt_dscnt 0x0
	v_mul_f64_e32 v[18:19], s[36:37], v[18:19]
	v_fmac_f64_e32 v[18:19], s[6:7], v[16:17]
	v_add_nc_u64_e32 v[16:17], v[22:23], v[8:9]
	flat_store_b64 v[16:17], v[18:19]
	flat_load_b64 v[12:13], v[12:13] offset:128
	s_wait_loadcnt_dscnt 0x0
	s_wait_xcnt 0x0
	v_mul_f64_e32 v[12:13], s[36:37], v[12:13]
	s_delay_alu instid0(VALU_DEP_1)
	v_fmac_f64_e32 v[12:13], s[6:7], v[14:15]
	flat_store_b64 v[16:17], v[12:13] offset:128
	s_branch .LBB12_2
.LBB12_11:
	s_endpgm
	.section	.rodata,"a",@progbits
	.p2align	6, 0x0
	.amdhsa_kernel _ZN12_GLOBAL__N_127rocblas_gemm_batched_kernelIdLi16ELi16ELi32ELi32ELi8ELi32ELi8ELi8ELi32ELc78ELc84EKPKdS3_KPdEEvlllT_PT11_llS8_llS6_PT12_llPT13_lli
		.amdhsa_group_segment_fixed_size 4096
		.amdhsa_private_segment_fixed_size 0
		.amdhsa_kernarg_size 140
		.amdhsa_user_sgpr_count 2
		.amdhsa_user_sgpr_dispatch_ptr 0
		.amdhsa_user_sgpr_queue_ptr 0
		.amdhsa_user_sgpr_kernarg_segment_ptr 1
		.amdhsa_user_sgpr_dispatch_id 0
		.amdhsa_user_sgpr_kernarg_preload_length 0
		.amdhsa_user_sgpr_kernarg_preload_offset 0
		.amdhsa_user_sgpr_private_segment_size 0
		.amdhsa_wavefront_size32 1
		.amdhsa_uses_dynamic_stack 0
		.amdhsa_enable_private_segment 0
		.amdhsa_system_sgpr_workgroup_id_x 1
		.amdhsa_system_sgpr_workgroup_id_y 1
		.amdhsa_system_sgpr_workgroup_id_z 1
		.amdhsa_system_sgpr_workgroup_info 0
		.amdhsa_system_vgpr_workitem_id 1
		.amdhsa_next_free_vgpr 52
		.amdhsa_next_free_sgpr 44
		.amdhsa_named_barrier_count 0
		.amdhsa_reserve_vcc 1
		.amdhsa_float_round_mode_32 0
		.amdhsa_float_round_mode_16_64 0
		.amdhsa_float_denorm_mode_32 3
		.amdhsa_float_denorm_mode_16_64 3
		.amdhsa_fp16_overflow 0
		.amdhsa_memory_ordered 1
		.amdhsa_forward_progress 1
		.amdhsa_inst_pref_size 11
		.amdhsa_round_robin_scheduling 0
		.amdhsa_exception_fp_ieee_invalid_op 0
		.amdhsa_exception_fp_denorm_src 0
		.amdhsa_exception_fp_ieee_div_zero 0
		.amdhsa_exception_fp_ieee_overflow 0
		.amdhsa_exception_fp_ieee_underflow 0
		.amdhsa_exception_fp_ieee_inexact 0
		.amdhsa_exception_int_div_zero 0
	.end_amdhsa_kernel
	.section	.text._ZN12_GLOBAL__N_127rocblas_gemm_batched_kernelIdLi16ELi16ELi32ELi32ELi8ELi32ELi8ELi8ELi32ELc78ELc84EKPKdS3_KPdEEvlllT_PT11_llS8_llS6_PT12_llPT13_lli,"axG",@progbits,_ZN12_GLOBAL__N_127rocblas_gemm_batched_kernelIdLi16ELi16ELi32ELi32ELi8ELi32ELi8ELi8ELi32ELc78ELc84EKPKdS3_KPdEEvlllT_PT11_llS8_llS6_PT12_llPT13_lli,comdat
.Lfunc_end12:
	.size	_ZN12_GLOBAL__N_127rocblas_gemm_batched_kernelIdLi16ELi16ELi32ELi32ELi8ELi32ELi8ELi8ELi32ELc78ELc84EKPKdS3_KPdEEvlllT_PT11_llS8_llS6_PT12_llPT13_lli, .Lfunc_end12-_ZN12_GLOBAL__N_127rocblas_gemm_batched_kernelIdLi16ELi16ELi32ELi32ELi8ELi32ELi8ELi8ELi32ELc78ELc84EKPKdS3_KPdEEvlllT_PT11_llS8_llS6_PT12_llPT13_lli
                                        ; -- End function
	.set _ZN12_GLOBAL__N_127rocblas_gemm_batched_kernelIdLi16ELi16ELi32ELi32ELi8ELi32ELi8ELi8ELi32ELc78ELc84EKPKdS3_KPdEEvlllT_PT11_llS8_llS6_PT12_llPT13_lli.num_vgpr, 52
	.set _ZN12_GLOBAL__N_127rocblas_gemm_batched_kernelIdLi16ELi16ELi32ELi32ELi8ELi32ELi8ELi8ELi32ELc78ELc84EKPKdS3_KPdEEvlllT_PT11_llS8_llS6_PT12_llPT13_lli.num_agpr, 0
	.set _ZN12_GLOBAL__N_127rocblas_gemm_batched_kernelIdLi16ELi16ELi32ELi32ELi8ELi32ELi8ELi8ELi32ELc78ELc84EKPKdS3_KPdEEvlllT_PT11_llS8_llS6_PT12_llPT13_lli.numbered_sgpr, 44
	.set _ZN12_GLOBAL__N_127rocblas_gemm_batched_kernelIdLi16ELi16ELi32ELi32ELi8ELi32ELi8ELi8ELi32ELc78ELc84EKPKdS3_KPdEEvlllT_PT11_llS8_llS6_PT12_llPT13_lli.num_named_barrier, 0
	.set _ZN12_GLOBAL__N_127rocblas_gemm_batched_kernelIdLi16ELi16ELi32ELi32ELi8ELi32ELi8ELi8ELi32ELc78ELc84EKPKdS3_KPdEEvlllT_PT11_llS8_llS6_PT12_llPT13_lli.private_seg_size, 0
	.set _ZN12_GLOBAL__N_127rocblas_gemm_batched_kernelIdLi16ELi16ELi32ELi32ELi8ELi32ELi8ELi8ELi32ELc78ELc84EKPKdS3_KPdEEvlllT_PT11_llS8_llS6_PT12_llPT13_lli.uses_vcc, 1
	.set _ZN12_GLOBAL__N_127rocblas_gemm_batched_kernelIdLi16ELi16ELi32ELi32ELi8ELi32ELi8ELi8ELi32ELc78ELc84EKPKdS3_KPdEEvlllT_PT11_llS8_llS6_PT12_llPT13_lli.uses_flat_scratch, 1
	.set _ZN12_GLOBAL__N_127rocblas_gemm_batched_kernelIdLi16ELi16ELi32ELi32ELi8ELi32ELi8ELi8ELi32ELc78ELc84EKPKdS3_KPdEEvlllT_PT11_llS8_llS6_PT12_llPT13_lli.has_dyn_sized_stack, 0
	.set _ZN12_GLOBAL__N_127rocblas_gemm_batched_kernelIdLi16ELi16ELi32ELi32ELi8ELi32ELi8ELi8ELi32ELc78ELc84EKPKdS3_KPdEEvlllT_PT11_llS8_llS6_PT12_llPT13_lli.has_recursion, 0
	.set _ZN12_GLOBAL__N_127rocblas_gemm_batched_kernelIdLi16ELi16ELi32ELi32ELi8ELi32ELi8ELi8ELi32ELc78ELc84EKPKdS3_KPdEEvlllT_PT11_llS8_llS6_PT12_llPT13_lli.has_indirect_call, 0
	.section	.AMDGPU.csdata,"",@progbits
; Kernel info:
; codeLenInByte = 1356
; TotalNumSgprs: 46
; NumVgprs: 52
; ScratchSize: 0
; MemoryBound: 0
; FloatMode: 240
; IeeeMode: 1
; LDSByteSize: 4096 bytes/workgroup (compile time only)
; SGPRBlocks: 0
; VGPRBlocks: 3
; NumSGPRsForWavesPerEU: 46
; NumVGPRsForWavesPerEU: 52
; NamedBarCnt: 0
; Occupancy: 16
; WaveLimiterHint : 1
; COMPUTE_PGM_RSRC2:SCRATCH_EN: 0
; COMPUTE_PGM_RSRC2:USER_SGPR: 2
; COMPUTE_PGM_RSRC2:TRAP_HANDLER: 0
; COMPUTE_PGM_RSRC2:TGID_X_EN: 1
; COMPUTE_PGM_RSRC2:TGID_Y_EN: 1
; COMPUTE_PGM_RSRC2:TGID_Z_EN: 1
; COMPUTE_PGM_RSRC2:TIDIG_COMP_CNT: 1
	.section	.text._ZN12_GLOBAL__N_127rocblas_gemm_batched_kernelIdLi16ELi16ELi32ELi32ELi8ELi32ELi8ELi8ELi32ELc84ELc84EKPKdS3_KPdEEvlllT_PT11_llS8_llS6_PT12_llPT13_lli,"axG",@progbits,_ZN12_GLOBAL__N_127rocblas_gemm_batched_kernelIdLi16ELi16ELi32ELi32ELi8ELi32ELi8ELi8ELi32ELc84ELc84EKPKdS3_KPdEEvlllT_PT11_llS8_llS6_PT12_llPT13_lli,comdat
	.globl	_ZN12_GLOBAL__N_127rocblas_gemm_batched_kernelIdLi16ELi16ELi32ELi32ELi8ELi32ELi8ELi8ELi32ELc84ELc84EKPKdS3_KPdEEvlllT_PT11_llS8_llS6_PT12_llPT13_lli ; -- Begin function _ZN12_GLOBAL__N_127rocblas_gemm_batched_kernelIdLi16ELi16ELi32ELi32ELi8ELi32ELi8ELi8ELi32ELc84ELc84EKPKdS3_KPdEEvlllT_PT11_llS8_llS6_PT12_llPT13_lli
	.p2align	8
	.type	_ZN12_GLOBAL__N_127rocblas_gemm_batched_kernelIdLi16ELi16ELi32ELi32ELi8ELi32ELi8ELi8ELi32ELc84ELc84EKPKdS3_KPdEEvlllT_PT11_llS8_llS6_PT12_llPT13_lli,@function
_ZN12_GLOBAL__N_127rocblas_gemm_batched_kernelIdLi16ELi16ELi32ELi32ELi8ELi32ELi8ELi8ELi32ELc84ELc84EKPKdS3_KPdEEvlllT_PT11_llS8_llS6_PT12_llPT13_lli: ; @_ZN12_GLOBAL__N_127rocblas_gemm_batched_kernelIdLi16ELi16ELi32ELi32ELi8ELi32ELi8ELi8ELi32ELc84ELc84EKPKdS3_KPdEEvlllT_PT11_llS8_llS6_PT12_llPT13_lli
; %bb.0:
	s_load_b32 s28, s[0:1], 0x88
	s_bfe_u32 s2, ttmp6, 0x40014
	s_lshr_b32 s3, ttmp7, 16
	s_add_co_i32 s2, s2, 1
	s_bfe_u32 s4, ttmp6, 0x40008
	s_mul_i32 s2, s3, s2
	s_getreg_b32 s29, hwreg(HW_REG_IB_STS2, 6, 4)
	s_add_co_i32 s4, s4, s2
	s_cmp_eq_u32 s29, 0
	s_cselect_b32 s2, s3, s4
	s_mov_b32 s3, 0
	s_wait_kmcnt 0x0
	s_cmp_ge_i32 s2, s28
	s_cbranch_scc1 .LBB13_11
; %bb.1:
	s_clause 0x2
	s_load_b512 s[4:19], s[0:1], 0x10
	s_load_b256 s[20:27], s[0:1], 0x70
	s_load_b256 s[36:43], s[0:1], 0x50
	v_bfe_u32 v2, v0, 10, 10
	v_and_b32_e32 v6, 0x3ff, v0
	s_wait_xcnt 0x0
	s_bfe_u32 s0, ttmp6, 0x4000c
	s_wait_kmcnt 0x0
	s_bfe_u32 s26, ttmp6, 0x40010
	s_add_co_i32 s0, s0, 1
	s_and_b32 s27, ttmp7, 0xffff
	s_add_co_i32 s26, s26, 1
	s_and_b32 s1, ttmp6, 15
	s_mul_i32 s0, ttmp9, s0
	s_mul_i32 s26, s27, s26
	s_bfe_u32 s30, ttmp6, 0x40004
	v_lshl_add_u32 v14, v2, 4, v6
	s_add_co_i32 s1, s1, s0
	s_add_co_i32 s30, s30, s26
	s_cmp_eq_u32 s29, 0
	s_delay_alu instid0(VALU_DEP_1)
	v_dual_mov_b32 v3, 0 :: v_dual_bitop2_b32 v15, 31, v14 bitop3:0x40
	s_cselect_b32 s0, ttmp9, s1
	s_cselect_b32 s29, s27, s30
	s_ashr_i32 s1, s0, 31
	v_lshrrev_b32_e32 v8, 3, v14
	s_lshl_b64 s[26:27], s[0:1], 5
	s_delay_alu instid0(SALU_CYCLE_1) | instskip(SKIP_4) | instid1(VALU_DEP_2)
	v_dual_mov_b32 v1, s27 :: v_dual_bitop2_b32 v7, 7, v0 bitop3:0x40
	v_dual_mov_b32 v9, v3 :: v_dual_bitop2_b32 v0, s26, v15 bitop3:0x54
	s_lshl_b32 s30, s29, 5
	s_mov_b32 s31, s3
	v_cmp_eq_f64_e64 s1, s[36:37], 0
	v_mul_u64_e32 v[10:11], s[10:11], v[0:1]
	v_mad_nc_u64_u32 v[12:13], s16, v7, v[8:9]
	v_add_nc_u64_e32 v[4:5], s[30:31], v[2:3]
	v_dual_lshlrev_b32 v9, 3, v7 :: v_dual_lshlrev_b32 v28, 3, v6
	v_dual_lshrrev_b32 v14, 5, v14 :: v_dual_lshlrev_b32 v15, 3, v15
	v_cmp_gt_i64_e64 s0, s[4:5], 0
	s_delay_alu instid0(VALU_DEP_3)
	v_lshl_or_b32 v16, v8, 6, v9
	v_mul_u64_e32 v[0:1], s[22:23], v[4:5]
	v_mul_u64_e32 v[4:5], s[40:41], v[4:5]
	s_lshl_b64 s[10:11], s[12:13], 3
	v_mad_u32 v13, s17, v7, v13
	v_mov_b32_e32 v7, v3
	v_lshl_add_u32 v29, v2, 6, 0x800
	v_lshlrev_b32_e32 v2, 3, v14
	v_lshl_or_b32 v30, v14, 8, v15
	v_add_nc_u32_e32 v31, 0x800, v16
	v_cndmask_b32_e64 v16, 0, 1, s0
	s_lshl_b64 s[12:13], s[40:41], 4
	s_lshl_b64 s[16:17], s[16:17], 6
	v_add_nc_u64_e32 v[8:9], s[30:31], v[12:13]
	v_add_nc_u64_e32 v[12:13], s[26:27], v[6:7]
	v_cmp_ne_u32_e64 s0, 1, v16
	s_delay_alu instid0(VALU_DEP_3) | instskip(NEXT) | instid1(VALU_DEP_3)
	v_lshlrev_b64_e32 v[14:15], 3, v[8:9]
	v_lshlrev_b64_e32 v[8:9], 3, v[12:13]
	v_lshl_add_u64 v[6:7], v[10:11], 3, s[10:11]
	s_lshl_b64 s[10:11], s[22:23], 4
	s_lshl_b64 s[22:23], s[42:43], 3
	s_delay_alu instid0(VALU_DEP_1) | instskip(NEXT) | instid1(VALU_DEP_4)
	v_add_nc_u64_e32 v[6:7], v[6:7], v[2:3]
	v_lshl_add_u64 v[10:11], s[18:19], 3, v[14:15]
	s_lshl_b64 s[18:19], s[24:25], 3
	s_branch .LBB13_3
.LBB13_2:                               ;   in Loop: Header=BB13_3 Depth=1
	s_add_co_i32 s2, s2, 0x10000
	s_delay_alu instid0(SALU_CYCLE_1)
	s_cmp_lt_i32 s2, s28
	s_cbranch_scc0 .LBB13_11
.LBB13_3:                               ; =>This Loop Header: Depth=1
                                        ;     Child Loop BB13_5 Depth 2
	s_wait_xcnt 0x0
	v_mov_b32_e32 v2, s2
	s_and_b32 vcc_lo, exec_lo, s0
	s_clause 0x1
	global_load_b64 v[12:13], v2, s[38:39] scale_offset
	global_load_b64 v[22:23], v2, s[20:21] scale_offset
	s_cbranch_vccnz .LBB13_6
; %bb.4:                                ;   in Loop: Header=BB13_3 Depth=1
	s_lshl_b64 s[24:25], s[2:3], 3
	v_mov_b64_e32 v[14:15], 0
	s_add_nc_u64 s[26:27], s[14:15], s[24:25]
	s_add_nc_u64 s[24:25], s[8:9], s[24:25]
	s_clause 0x1
	global_load_b64 v[20:21], v3, s[26:27]
	global_load_b64 v[26:27], v3, s[24:25]
	v_mov_b64_e32 v[16:17], 0
	v_mov_b64_e32 v[18:19], 0
	s_wait_xcnt 0x0
	s_mov_b64 s[24:25], 0
	s_wait_loadcnt 0x1
	v_add_nc_u64_e32 v[24:25], v[20:21], v[10:11]
	s_wait_loadcnt 0x0
	v_add_nc_u64_e32 v[26:27], v[26:27], v[6:7]
	v_mov_b64_e32 v[20:21], 0
.LBB13_5:                               ;   Parent Loop BB13_3 Depth=1
                                        ; =>  This Inner Loop Header: Depth=2
	flat_load_b64 v[32:33], v[26:27]
	s_add_nc_u64 s[24:25], s[24:25], 8
	s_wait_xcnt 0x0
	v_add_nc_u64_e32 v[26:27], 64, v[26:27]
	v_cmp_lt_i64_e64 s26, s[24:25], s[4:5]
	s_and_b32 vcc_lo, exec_lo, s26
	s_wait_loadcnt_dscnt 0x0
	ds_store_b64 v30, v[32:33]
	flat_load_b64 v[32:33], v[24:25]
	s_wait_xcnt 0x0
	v_add_nc_u64_e32 v[24:25], s[16:17], v[24:25]
	s_wait_loadcnt_dscnt 0x0
	ds_store_b64 v31, v[32:33]
	s_wait_dscnt 0x0
	s_barrier_signal -1
	s_barrier_wait -1
	ds_load_b128 v[32:35], v29
	ds_load_2addr_b64 v[36:39], v28 offset1:16
	ds_load_b128 v[40:43], v29 offset:1024
	ds_load_b128 v[44:47], v29 offset:16
	;; [unrolled: 1-line block ×3, first 2 shown]
	s_wait_dscnt 0x3
	v_fmac_f64_e32 v[20:21], v[36:37], v[32:33]
	v_fmac_f64_e32 v[18:19], v[38:39], v[32:33]
	s_wait_dscnt 0x2
	v_fmac_f64_e32 v[16:17], v[36:37], v[40:41]
	v_fmac_f64_e32 v[14:15], v[38:39], v[40:41]
	ds_load_2addr_b64 v[36:39], v28 offset0:32 offset1:48
	s_wait_dscnt 0x0
	v_fmac_f64_e32 v[20:21], v[36:37], v[34:35]
	v_fmac_f64_e32 v[18:19], v[38:39], v[34:35]
	v_fmac_f64_e32 v[16:17], v[36:37], v[42:43]
	v_fmac_f64_e32 v[14:15], v[38:39], v[42:43]
	ds_load_2addr_b64 v[32:35], v28 offset0:64 offset1:80
	s_wait_dscnt 0x0
	v_fmac_f64_e32 v[20:21], v[32:33], v[44:45]
	v_fmac_f64_e32 v[18:19], v[34:35], v[44:45]
	;; [unrolled: 6-line block ×3, first 2 shown]
	v_fmac_f64_e32 v[16:17], v[32:33], v[50:51]
	v_fmac_f64_e32 v[14:15], v[34:35], v[50:51]
	ds_load_b128 v[32:35], v29 offset:32
	ds_load_2addr_b64 v[36:39], v28 offset0:128 offset1:144
	ds_load_b128 v[40:43], v29 offset:1056
	ds_load_b128 v[44:47], v29 offset:48
	;; [unrolled: 1-line block ×3, first 2 shown]
	s_wait_dscnt 0x3
	v_fmac_f64_e32 v[20:21], v[36:37], v[32:33]
	v_fmac_f64_e32 v[18:19], v[38:39], v[32:33]
	s_wait_dscnt 0x2
	v_fmac_f64_e32 v[16:17], v[36:37], v[40:41]
	v_fmac_f64_e32 v[14:15], v[38:39], v[40:41]
	ds_load_2addr_b64 v[36:39], v28 offset0:160 offset1:176
	s_wait_dscnt 0x0
	v_fmac_f64_e32 v[20:21], v[36:37], v[34:35]
	v_fmac_f64_e32 v[18:19], v[38:39], v[34:35]
	;; [unrolled: 1-line block ×4, first 2 shown]
	ds_load_2addr_b64 v[32:35], v28 offset0:192 offset1:208
	s_wait_dscnt 0x0
	v_fmac_f64_e32 v[20:21], v[32:33], v[44:45]
	v_fmac_f64_e32 v[18:19], v[34:35], v[44:45]
	;; [unrolled: 1-line block ×4, first 2 shown]
	ds_load_2addr_b64 v[32:35], v28 offset0:224 offset1:240
	s_wait_dscnt 0x0
	s_barrier_signal -1
	s_barrier_wait -1
	v_fmac_f64_e32 v[20:21], v[32:33], v[46:47]
	v_fmac_f64_e32 v[18:19], v[34:35], v[46:47]
	;; [unrolled: 1-line block ×4, first 2 shown]
	s_cbranch_vccnz .LBB13_5
	s_branch .LBB13_7
.LBB13_6:                               ;   in Loop: Header=BB13_3 Depth=1
	v_mov_b64_e32 v[20:21], 0
	v_mov_b64_e32 v[18:19], 0
	;; [unrolled: 1-line block ×4, first 2 shown]
.LBB13_7:                               ;   in Loop: Header=BB13_3 Depth=1
	s_wait_loadcnt 0x0
	v_add_nc_u64_e32 v[22:23], s[18:19], v[22:23]
	s_and_not1_b32 vcc_lo, exec_lo, s1
	s_delay_alu instid0(VALU_DEP_1) | instskip(NEXT) | instid1(VALU_DEP_1)
	v_lshl_add_u64 v[22:23], v[0:1], 3, v[22:23]
	v_add_nc_u64_e32 v[24:25], v[22:23], v[8:9]
	v_lshl_add_u64 v[22:23], s[10:11], 3, v[22:23]
	s_cbranch_vccnz .LBB13_9
; %bb.8:                                ;   in Loop: Header=BB13_3 Depth=1
	v_mul_f64_e32 v[26:27], s[6:7], v[20:21]
	v_mul_f64_e32 v[32:33], s[6:7], v[18:19]
	;; [unrolled: 1-line block ×4, first 2 shown]
	v_add_nc_u64_e32 v[38:39], v[22:23], v[8:9]
	s_clause 0x3
	flat_store_b64 v[24:25], v[26:27]
	flat_store_b64 v[24:25], v[32:33] offset:128
	flat_store_b64 v[38:39], v[34:35]
	flat_store_b64 v[38:39], v[36:37] offset:128
	s_cbranch_execnz .LBB13_2
	s_branch .LBB13_10
.LBB13_9:                               ;   in Loop: Header=BB13_3 Depth=1
.LBB13_10:                              ;   in Loop: Header=BB13_3 Depth=1
	v_add_nc_u64_e32 v[12:13], s[22:23], v[12:13]
	s_delay_alu instid0(VALU_DEP_1) | instskip(SKIP_1) | instid1(VALU_DEP_1)
	v_lshl_add_u64 v[12:13], v[4:5], 3, v[12:13]
	s_wait_xcnt 0x3
	v_add_nc_u64_e32 v[26:27], v[12:13], v[8:9]
	v_lshl_add_u64 v[12:13], s[12:13], 3, v[12:13]
	s_delay_alu instid0(VALU_DEP_1) | instskip(SKIP_3) | instid1(VALU_DEP_1)
	v_add_nc_u64_e32 v[12:13], v[12:13], v[8:9]
	flat_load_b64 v[32:33], v[26:27]
	s_wait_loadcnt_dscnt 0x0
	v_mul_f64_e32 v[32:33], s[36:37], v[32:33]
	v_fmac_f64_e32 v[32:33], s[6:7], v[20:21]
	flat_store_b64 v[24:25], v[32:33]
	flat_load_b64 v[20:21], v[26:27] offset:128
	s_wait_loadcnt_dscnt 0x0
	v_mul_f64_e32 v[20:21], s[36:37], v[20:21]
	s_delay_alu instid0(VALU_DEP_1) | instskip(SKIP_4) | instid1(VALU_DEP_1)
	v_fmac_f64_e32 v[20:21], s[6:7], v[18:19]
	flat_store_b64 v[24:25], v[20:21] offset:128
	flat_load_b64 v[18:19], v[12:13]
	s_wait_loadcnt_dscnt 0x0
	v_mul_f64_e32 v[18:19], s[36:37], v[18:19]
	v_fmac_f64_e32 v[18:19], s[6:7], v[16:17]
	v_add_nc_u64_e32 v[16:17], v[22:23], v[8:9]
	flat_store_b64 v[16:17], v[18:19]
	flat_load_b64 v[12:13], v[12:13] offset:128
	s_wait_loadcnt_dscnt 0x0
	s_wait_xcnt 0x0
	v_mul_f64_e32 v[12:13], s[36:37], v[12:13]
	s_delay_alu instid0(VALU_DEP_1)
	v_fmac_f64_e32 v[12:13], s[6:7], v[14:15]
	flat_store_b64 v[16:17], v[12:13] offset:128
	s_branch .LBB13_2
.LBB13_11:
	s_endpgm
	.section	.rodata,"a",@progbits
	.p2align	6, 0x0
	.amdhsa_kernel _ZN12_GLOBAL__N_127rocblas_gemm_batched_kernelIdLi16ELi16ELi32ELi32ELi8ELi32ELi8ELi8ELi32ELc84ELc84EKPKdS3_KPdEEvlllT_PT11_llS8_llS6_PT12_llPT13_lli
		.amdhsa_group_segment_fixed_size 4096
		.amdhsa_private_segment_fixed_size 0
		.amdhsa_kernarg_size 140
		.amdhsa_user_sgpr_count 2
		.amdhsa_user_sgpr_dispatch_ptr 0
		.amdhsa_user_sgpr_queue_ptr 0
		.amdhsa_user_sgpr_kernarg_segment_ptr 1
		.amdhsa_user_sgpr_dispatch_id 0
		.amdhsa_user_sgpr_kernarg_preload_length 0
		.amdhsa_user_sgpr_kernarg_preload_offset 0
		.amdhsa_user_sgpr_private_segment_size 0
		.amdhsa_wavefront_size32 1
		.amdhsa_uses_dynamic_stack 0
		.amdhsa_enable_private_segment 0
		.amdhsa_system_sgpr_workgroup_id_x 1
		.amdhsa_system_sgpr_workgroup_id_y 1
		.amdhsa_system_sgpr_workgroup_id_z 1
		.amdhsa_system_sgpr_workgroup_info 0
		.amdhsa_system_vgpr_workitem_id 1
		.amdhsa_next_free_vgpr 52
		.amdhsa_next_free_sgpr 44
		.amdhsa_named_barrier_count 0
		.amdhsa_reserve_vcc 1
		.amdhsa_float_round_mode_32 0
		.amdhsa_float_round_mode_16_64 0
		.amdhsa_float_denorm_mode_32 3
		.amdhsa_float_denorm_mode_16_64 3
		.amdhsa_fp16_overflow 0
		.amdhsa_memory_ordered 1
		.amdhsa_forward_progress 1
		.amdhsa_inst_pref_size 11
		.amdhsa_round_robin_scheduling 0
		.amdhsa_exception_fp_ieee_invalid_op 0
		.amdhsa_exception_fp_denorm_src 0
		.amdhsa_exception_fp_ieee_div_zero 0
		.amdhsa_exception_fp_ieee_overflow 0
		.amdhsa_exception_fp_ieee_underflow 0
		.amdhsa_exception_fp_ieee_inexact 0
		.amdhsa_exception_int_div_zero 0
	.end_amdhsa_kernel
	.section	.text._ZN12_GLOBAL__N_127rocblas_gemm_batched_kernelIdLi16ELi16ELi32ELi32ELi8ELi32ELi8ELi8ELi32ELc84ELc84EKPKdS3_KPdEEvlllT_PT11_llS8_llS6_PT12_llPT13_lli,"axG",@progbits,_ZN12_GLOBAL__N_127rocblas_gemm_batched_kernelIdLi16ELi16ELi32ELi32ELi8ELi32ELi8ELi8ELi32ELc84ELc84EKPKdS3_KPdEEvlllT_PT11_llS8_llS6_PT12_llPT13_lli,comdat
.Lfunc_end13:
	.size	_ZN12_GLOBAL__N_127rocblas_gemm_batched_kernelIdLi16ELi16ELi32ELi32ELi8ELi32ELi8ELi8ELi32ELc84ELc84EKPKdS3_KPdEEvlllT_PT11_llS8_llS6_PT12_llPT13_lli, .Lfunc_end13-_ZN12_GLOBAL__N_127rocblas_gemm_batched_kernelIdLi16ELi16ELi32ELi32ELi8ELi32ELi8ELi8ELi32ELc84ELc84EKPKdS3_KPdEEvlllT_PT11_llS8_llS6_PT12_llPT13_lli
                                        ; -- End function
	.set _ZN12_GLOBAL__N_127rocblas_gemm_batched_kernelIdLi16ELi16ELi32ELi32ELi8ELi32ELi8ELi8ELi32ELc84ELc84EKPKdS3_KPdEEvlllT_PT11_llS8_llS6_PT12_llPT13_lli.num_vgpr, 52
	.set _ZN12_GLOBAL__N_127rocblas_gemm_batched_kernelIdLi16ELi16ELi32ELi32ELi8ELi32ELi8ELi8ELi32ELc84ELc84EKPKdS3_KPdEEvlllT_PT11_llS8_llS6_PT12_llPT13_lli.num_agpr, 0
	.set _ZN12_GLOBAL__N_127rocblas_gemm_batched_kernelIdLi16ELi16ELi32ELi32ELi8ELi32ELi8ELi8ELi32ELc84ELc84EKPKdS3_KPdEEvlllT_PT11_llS8_llS6_PT12_llPT13_lli.numbered_sgpr, 44
	.set _ZN12_GLOBAL__N_127rocblas_gemm_batched_kernelIdLi16ELi16ELi32ELi32ELi8ELi32ELi8ELi8ELi32ELc84ELc84EKPKdS3_KPdEEvlllT_PT11_llS8_llS6_PT12_llPT13_lli.num_named_barrier, 0
	.set _ZN12_GLOBAL__N_127rocblas_gemm_batched_kernelIdLi16ELi16ELi32ELi32ELi8ELi32ELi8ELi8ELi32ELc84ELc84EKPKdS3_KPdEEvlllT_PT11_llS8_llS6_PT12_llPT13_lli.private_seg_size, 0
	.set _ZN12_GLOBAL__N_127rocblas_gemm_batched_kernelIdLi16ELi16ELi32ELi32ELi8ELi32ELi8ELi8ELi32ELc84ELc84EKPKdS3_KPdEEvlllT_PT11_llS8_llS6_PT12_llPT13_lli.uses_vcc, 1
	.set _ZN12_GLOBAL__N_127rocblas_gemm_batched_kernelIdLi16ELi16ELi32ELi32ELi8ELi32ELi8ELi8ELi32ELc84ELc84EKPKdS3_KPdEEvlllT_PT11_llS8_llS6_PT12_llPT13_lli.uses_flat_scratch, 1
	.set _ZN12_GLOBAL__N_127rocblas_gemm_batched_kernelIdLi16ELi16ELi32ELi32ELi8ELi32ELi8ELi8ELi32ELc84ELc84EKPKdS3_KPdEEvlllT_PT11_llS8_llS6_PT12_llPT13_lli.has_dyn_sized_stack, 0
	.set _ZN12_GLOBAL__N_127rocblas_gemm_batched_kernelIdLi16ELi16ELi32ELi32ELi8ELi32ELi8ELi8ELi32ELc84ELc84EKPKdS3_KPdEEvlllT_PT11_llS8_llS6_PT12_llPT13_lli.has_recursion, 0
	.set _ZN12_GLOBAL__N_127rocblas_gemm_batched_kernelIdLi16ELi16ELi32ELi32ELi8ELi32ELi8ELi8ELi32ELc84ELc84EKPKdS3_KPdEEvlllT_PT11_llS8_llS6_PT12_llPT13_lli.has_indirect_call, 0
	.section	.AMDGPU.csdata,"",@progbits
; Kernel info:
; codeLenInByte = 1364
; TotalNumSgprs: 46
; NumVgprs: 52
; ScratchSize: 0
; MemoryBound: 0
; FloatMode: 240
; IeeeMode: 1
; LDSByteSize: 4096 bytes/workgroup (compile time only)
; SGPRBlocks: 0
; VGPRBlocks: 3
; NumSGPRsForWavesPerEU: 46
; NumVGPRsForWavesPerEU: 52
; NamedBarCnt: 0
; Occupancy: 16
; WaveLimiterHint : 1
; COMPUTE_PGM_RSRC2:SCRATCH_EN: 0
; COMPUTE_PGM_RSRC2:USER_SGPR: 2
; COMPUTE_PGM_RSRC2:TRAP_HANDLER: 0
; COMPUTE_PGM_RSRC2:TGID_X_EN: 1
; COMPUTE_PGM_RSRC2:TGID_Y_EN: 1
; COMPUTE_PGM_RSRC2:TGID_Z_EN: 1
; COMPUTE_PGM_RSRC2:TIDIG_COMP_CNT: 1
	.section	.text._ZN12_GLOBAL__N_127rocblas_gemm_batched_kernelIdLi16ELi16ELi32ELi32ELi8ELi32ELi8ELi8ELi32ELc67ELc67EKPKdS3_KPdEEvlllT_PT11_llS8_llS6_PT12_llPT13_lli,"axG",@progbits,_ZN12_GLOBAL__N_127rocblas_gemm_batched_kernelIdLi16ELi16ELi32ELi32ELi8ELi32ELi8ELi8ELi32ELc67ELc67EKPKdS3_KPdEEvlllT_PT11_llS8_llS6_PT12_llPT13_lli,comdat
	.globl	_ZN12_GLOBAL__N_127rocblas_gemm_batched_kernelIdLi16ELi16ELi32ELi32ELi8ELi32ELi8ELi8ELi32ELc67ELc67EKPKdS3_KPdEEvlllT_PT11_llS8_llS6_PT12_llPT13_lli ; -- Begin function _ZN12_GLOBAL__N_127rocblas_gemm_batched_kernelIdLi16ELi16ELi32ELi32ELi8ELi32ELi8ELi8ELi32ELc67ELc67EKPKdS3_KPdEEvlllT_PT11_llS8_llS6_PT12_llPT13_lli
	.p2align	8
	.type	_ZN12_GLOBAL__N_127rocblas_gemm_batched_kernelIdLi16ELi16ELi32ELi32ELi8ELi32ELi8ELi8ELi32ELc67ELc67EKPKdS3_KPdEEvlllT_PT11_llS8_llS6_PT12_llPT13_lli,@function
_ZN12_GLOBAL__N_127rocblas_gemm_batched_kernelIdLi16ELi16ELi32ELi32ELi8ELi32ELi8ELi8ELi32ELc67ELc67EKPKdS3_KPdEEvlllT_PT11_llS8_llS6_PT12_llPT13_lli: ; @_ZN12_GLOBAL__N_127rocblas_gemm_batched_kernelIdLi16ELi16ELi32ELi32ELi8ELi32ELi8ELi8ELi32ELc67ELc67EKPKdS3_KPdEEvlllT_PT11_llS8_llS6_PT12_llPT13_lli
; %bb.0:
	s_load_b32 s28, s[0:1], 0x88
	s_bfe_u32 s2, ttmp6, 0x40014
	s_lshr_b32 s3, ttmp7, 16
	s_add_co_i32 s2, s2, 1
	s_bfe_u32 s4, ttmp6, 0x40008
	s_mul_i32 s2, s3, s2
	s_getreg_b32 s29, hwreg(HW_REG_IB_STS2, 6, 4)
	s_add_co_i32 s4, s4, s2
	s_cmp_eq_u32 s29, 0
	s_cselect_b32 s2, s3, s4
	s_mov_b32 s3, 0
	s_wait_kmcnt 0x0
	s_cmp_ge_i32 s2, s28
	s_cbranch_scc1 .LBB14_11
; %bb.1:
	s_clause 0x2
	s_load_b512 s[4:19], s[0:1], 0x10
	s_load_b256 s[20:27], s[0:1], 0x70
	s_load_b256 s[36:43], s[0:1], 0x50
	v_bfe_u32 v2, v0, 10, 10
	v_and_b32_e32 v6, 0x3ff, v0
	s_wait_xcnt 0x0
	s_bfe_u32 s0, ttmp6, 0x4000c
	s_wait_kmcnt 0x0
	s_bfe_u32 s26, ttmp6, 0x40010
	s_add_co_i32 s0, s0, 1
	s_and_b32 s27, ttmp7, 0xffff
	s_add_co_i32 s26, s26, 1
	s_and_b32 s1, ttmp6, 15
	s_mul_i32 s0, ttmp9, s0
	s_mul_i32 s26, s27, s26
	s_bfe_u32 s30, ttmp6, 0x40004
	v_lshl_add_u32 v14, v2, 4, v6
	s_add_co_i32 s1, s1, s0
	s_add_co_i32 s30, s30, s26
	s_cmp_eq_u32 s29, 0
	s_delay_alu instid0(VALU_DEP_1)
	v_dual_mov_b32 v3, 0 :: v_dual_bitop2_b32 v15, 31, v14 bitop3:0x40
	s_cselect_b32 s0, ttmp9, s1
	s_cselect_b32 s29, s27, s30
	s_ashr_i32 s1, s0, 31
	v_lshrrev_b32_e32 v8, 3, v14
	s_lshl_b64 s[26:27], s[0:1], 5
	s_delay_alu instid0(SALU_CYCLE_1) | instskip(SKIP_4) | instid1(VALU_DEP_2)
	v_dual_mov_b32 v1, s27 :: v_dual_bitop2_b32 v7, 7, v0 bitop3:0x40
	v_dual_mov_b32 v9, v3 :: v_dual_bitop2_b32 v0, s26, v15 bitop3:0x54
	s_lshl_b32 s30, s29, 5
	s_mov_b32 s31, s3
	v_cmp_eq_f64_e64 s1, s[36:37], 0
	v_mul_u64_e32 v[10:11], s[10:11], v[0:1]
	v_mad_nc_u64_u32 v[12:13], s16, v7, v[8:9]
	v_add_nc_u64_e32 v[4:5], s[30:31], v[2:3]
	v_dual_lshlrev_b32 v9, 3, v7 :: v_dual_lshlrev_b32 v28, 3, v6
	v_dual_lshrrev_b32 v14, 5, v14 :: v_dual_lshlrev_b32 v15, 3, v15
	v_cmp_gt_i64_e64 s0, s[4:5], 0
	s_delay_alu instid0(VALU_DEP_3)
	v_lshl_or_b32 v16, v8, 6, v9
	v_mul_u64_e32 v[0:1], s[22:23], v[4:5]
	v_mul_u64_e32 v[4:5], s[40:41], v[4:5]
	s_lshl_b64 s[10:11], s[12:13], 3
	v_mad_u32 v13, s17, v7, v13
	v_mov_b32_e32 v7, v3
	v_lshl_add_u32 v29, v2, 6, 0x800
	v_lshlrev_b32_e32 v2, 3, v14
	v_lshl_or_b32 v30, v14, 8, v15
	v_add_nc_u32_e32 v31, 0x800, v16
	v_cndmask_b32_e64 v16, 0, 1, s0
	s_lshl_b64 s[12:13], s[40:41], 4
	s_lshl_b64 s[16:17], s[16:17], 6
	v_add_nc_u64_e32 v[8:9], s[30:31], v[12:13]
	v_add_nc_u64_e32 v[12:13], s[26:27], v[6:7]
	v_cmp_ne_u32_e64 s0, 1, v16
	s_delay_alu instid0(VALU_DEP_3) | instskip(NEXT) | instid1(VALU_DEP_3)
	v_lshlrev_b64_e32 v[14:15], 3, v[8:9]
	v_lshlrev_b64_e32 v[8:9], 3, v[12:13]
	v_lshl_add_u64 v[6:7], v[10:11], 3, s[10:11]
	s_lshl_b64 s[10:11], s[22:23], 4
	s_lshl_b64 s[22:23], s[42:43], 3
	s_delay_alu instid0(VALU_DEP_1) | instskip(NEXT) | instid1(VALU_DEP_4)
	v_add_nc_u64_e32 v[6:7], v[6:7], v[2:3]
	v_lshl_add_u64 v[10:11], s[18:19], 3, v[14:15]
	s_lshl_b64 s[18:19], s[24:25], 3
	s_branch .LBB14_3
.LBB14_2:                               ;   in Loop: Header=BB14_3 Depth=1
	s_add_co_i32 s2, s2, 0x10000
	s_delay_alu instid0(SALU_CYCLE_1)
	s_cmp_lt_i32 s2, s28
	s_cbranch_scc0 .LBB14_11
.LBB14_3:                               ; =>This Loop Header: Depth=1
                                        ;     Child Loop BB14_5 Depth 2
	s_wait_xcnt 0x0
	v_mov_b32_e32 v2, s2
	s_and_b32 vcc_lo, exec_lo, s0
	s_clause 0x1
	global_load_b64 v[12:13], v2, s[38:39] scale_offset
	global_load_b64 v[22:23], v2, s[20:21] scale_offset
	s_cbranch_vccnz .LBB14_6
; %bb.4:                                ;   in Loop: Header=BB14_3 Depth=1
	s_lshl_b64 s[24:25], s[2:3], 3
	v_mov_b64_e32 v[14:15], 0
	s_add_nc_u64 s[26:27], s[14:15], s[24:25]
	s_add_nc_u64 s[24:25], s[8:9], s[24:25]
	s_clause 0x1
	global_load_b64 v[20:21], v3, s[26:27]
	global_load_b64 v[26:27], v3, s[24:25]
	v_mov_b64_e32 v[16:17], 0
	v_mov_b64_e32 v[18:19], 0
	s_wait_xcnt 0x0
	s_mov_b64 s[24:25], 0
	s_wait_loadcnt 0x1
	v_add_nc_u64_e32 v[24:25], v[20:21], v[10:11]
	s_wait_loadcnt 0x0
	v_add_nc_u64_e32 v[26:27], v[26:27], v[6:7]
	v_mov_b64_e32 v[20:21], 0
.LBB14_5:                               ;   Parent Loop BB14_3 Depth=1
                                        ; =>  This Inner Loop Header: Depth=2
	flat_load_b64 v[32:33], v[26:27]
	s_add_nc_u64 s[24:25], s[24:25], 8
	s_wait_xcnt 0x0
	v_add_nc_u64_e32 v[26:27], 64, v[26:27]
	v_cmp_lt_i64_e64 s26, s[24:25], s[4:5]
	s_and_b32 vcc_lo, exec_lo, s26
	s_wait_loadcnt_dscnt 0x0
	ds_store_b64 v30, v[32:33]
	flat_load_b64 v[32:33], v[24:25]
	s_wait_xcnt 0x0
	v_add_nc_u64_e32 v[24:25], s[16:17], v[24:25]
	s_wait_loadcnt_dscnt 0x0
	ds_store_b64 v31, v[32:33]
	s_wait_dscnt 0x0
	s_barrier_signal -1
	s_barrier_wait -1
	ds_load_b128 v[32:35], v29
	ds_load_2addr_b64 v[36:39], v28 offset1:16
	ds_load_b128 v[40:43], v29 offset:1024
	ds_load_b128 v[44:47], v29 offset:16
	ds_load_b128 v[48:51], v29 offset:1040
	s_wait_dscnt 0x3
	v_fmac_f64_e32 v[20:21], v[36:37], v[32:33]
	v_fmac_f64_e32 v[18:19], v[38:39], v[32:33]
	s_wait_dscnt 0x2
	v_fmac_f64_e32 v[16:17], v[36:37], v[40:41]
	v_fmac_f64_e32 v[14:15], v[38:39], v[40:41]
	ds_load_2addr_b64 v[36:39], v28 offset0:32 offset1:48
	s_wait_dscnt 0x0
	v_fmac_f64_e32 v[20:21], v[36:37], v[34:35]
	v_fmac_f64_e32 v[18:19], v[38:39], v[34:35]
	v_fmac_f64_e32 v[16:17], v[36:37], v[42:43]
	v_fmac_f64_e32 v[14:15], v[38:39], v[42:43]
	ds_load_2addr_b64 v[32:35], v28 offset0:64 offset1:80
	s_wait_dscnt 0x0
	v_fmac_f64_e32 v[20:21], v[32:33], v[44:45]
	v_fmac_f64_e32 v[18:19], v[34:35], v[44:45]
	;; [unrolled: 6-line block ×3, first 2 shown]
	v_fmac_f64_e32 v[16:17], v[32:33], v[50:51]
	v_fmac_f64_e32 v[14:15], v[34:35], v[50:51]
	ds_load_b128 v[32:35], v29 offset:32
	ds_load_2addr_b64 v[36:39], v28 offset0:128 offset1:144
	ds_load_b128 v[40:43], v29 offset:1056
	ds_load_b128 v[44:47], v29 offset:48
	;; [unrolled: 1-line block ×3, first 2 shown]
	s_wait_dscnt 0x3
	v_fmac_f64_e32 v[20:21], v[36:37], v[32:33]
	v_fmac_f64_e32 v[18:19], v[38:39], v[32:33]
	s_wait_dscnt 0x2
	v_fmac_f64_e32 v[16:17], v[36:37], v[40:41]
	v_fmac_f64_e32 v[14:15], v[38:39], v[40:41]
	ds_load_2addr_b64 v[36:39], v28 offset0:160 offset1:176
	s_wait_dscnt 0x0
	v_fmac_f64_e32 v[20:21], v[36:37], v[34:35]
	v_fmac_f64_e32 v[18:19], v[38:39], v[34:35]
	v_fmac_f64_e32 v[16:17], v[36:37], v[42:43]
	v_fmac_f64_e32 v[14:15], v[38:39], v[42:43]
	ds_load_2addr_b64 v[32:35], v28 offset0:192 offset1:208
	s_wait_dscnt 0x0
	v_fmac_f64_e32 v[20:21], v[32:33], v[44:45]
	v_fmac_f64_e32 v[18:19], v[34:35], v[44:45]
	;; [unrolled: 1-line block ×4, first 2 shown]
	ds_load_2addr_b64 v[32:35], v28 offset0:224 offset1:240
	s_wait_dscnt 0x0
	s_barrier_signal -1
	s_barrier_wait -1
	v_fmac_f64_e32 v[20:21], v[32:33], v[46:47]
	v_fmac_f64_e32 v[18:19], v[34:35], v[46:47]
	;; [unrolled: 1-line block ×4, first 2 shown]
	s_cbranch_vccnz .LBB14_5
	s_branch .LBB14_7
.LBB14_6:                               ;   in Loop: Header=BB14_3 Depth=1
	v_mov_b64_e32 v[20:21], 0
	v_mov_b64_e32 v[18:19], 0
	v_mov_b64_e32 v[16:17], 0
	v_mov_b64_e32 v[14:15], 0
.LBB14_7:                               ;   in Loop: Header=BB14_3 Depth=1
	s_wait_loadcnt 0x0
	v_add_nc_u64_e32 v[22:23], s[18:19], v[22:23]
	s_and_not1_b32 vcc_lo, exec_lo, s1
	s_delay_alu instid0(VALU_DEP_1) | instskip(NEXT) | instid1(VALU_DEP_1)
	v_lshl_add_u64 v[22:23], v[0:1], 3, v[22:23]
	v_add_nc_u64_e32 v[24:25], v[22:23], v[8:9]
	v_lshl_add_u64 v[22:23], s[10:11], 3, v[22:23]
	s_cbranch_vccnz .LBB14_9
; %bb.8:                                ;   in Loop: Header=BB14_3 Depth=1
	v_mul_f64_e32 v[26:27], s[6:7], v[20:21]
	v_mul_f64_e32 v[32:33], s[6:7], v[18:19]
	;; [unrolled: 1-line block ×4, first 2 shown]
	v_add_nc_u64_e32 v[38:39], v[22:23], v[8:9]
	s_clause 0x3
	flat_store_b64 v[24:25], v[26:27]
	flat_store_b64 v[24:25], v[32:33] offset:128
	flat_store_b64 v[38:39], v[34:35]
	flat_store_b64 v[38:39], v[36:37] offset:128
	s_cbranch_execnz .LBB14_2
	s_branch .LBB14_10
.LBB14_9:                               ;   in Loop: Header=BB14_3 Depth=1
.LBB14_10:                              ;   in Loop: Header=BB14_3 Depth=1
	v_add_nc_u64_e32 v[12:13], s[22:23], v[12:13]
	s_delay_alu instid0(VALU_DEP_1) | instskip(SKIP_1) | instid1(VALU_DEP_1)
	v_lshl_add_u64 v[12:13], v[4:5], 3, v[12:13]
	s_wait_xcnt 0x3
	v_add_nc_u64_e32 v[26:27], v[12:13], v[8:9]
	v_lshl_add_u64 v[12:13], s[12:13], 3, v[12:13]
	s_delay_alu instid0(VALU_DEP_1) | instskip(SKIP_3) | instid1(VALU_DEP_1)
	v_add_nc_u64_e32 v[12:13], v[12:13], v[8:9]
	flat_load_b64 v[32:33], v[26:27]
	s_wait_loadcnt_dscnt 0x0
	v_mul_f64_e32 v[32:33], s[36:37], v[32:33]
	v_fmac_f64_e32 v[32:33], s[6:7], v[20:21]
	flat_store_b64 v[24:25], v[32:33]
	flat_load_b64 v[20:21], v[26:27] offset:128
	s_wait_loadcnt_dscnt 0x0
	v_mul_f64_e32 v[20:21], s[36:37], v[20:21]
	s_delay_alu instid0(VALU_DEP_1) | instskip(SKIP_4) | instid1(VALU_DEP_1)
	v_fmac_f64_e32 v[20:21], s[6:7], v[18:19]
	flat_store_b64 v[24:25], v[20:21] offset:128
	flat_load_b64 v[18:19], v[12:13]
	s_wait_loadcnt_dscnt 0x0
	v_mul_f64_e32 v[18:19], s[36:37], v[18:19]
	v_fmac_f64_e32 v[18:19], s[6:7], v[16:17]
	v_add_nc_u64_e32 v[16:17], v[22:23], v[8:9]
	flat_store_b64 v[16:17], v[18:19]
	flat_load_b64 v[12:13], v[12:13] offset:128
	s_wait_loadcnt_dscnt 0x0
	s_wait_xcnt 0x0
	v_mul_f64_e32 v[12:13], s[36:37], v[12:13]
	s_delay_alu instid0(VALU_DEP_1)
	v_fmac_f64_e32 v[12:13], s[6:7], v[14:15]
	flat_store_b64 v[16:17], v[12:13] offset:128
	s_branch .LBB14_2
.LBB14_11:
	s_endpgm
	.section	.rodata,"a",@progbits
	.p2align	6, 0x0
	.amdhsa_kernel _ZN12_GLOBAL__N_127rocblas_gemm_batched_kernelIdLi16ELi16ELi32ELi32ELi8ELi32ELi8ELi8ELi32ELc67ELc67EKPKdS3_KPdEEvlllT_PT11_llS8_llS6_PT12_llPT13_lli
		.amdhsa_group_segment_fixed_size 4096
		.amdhsa_private_segment_fixed_size 0
		.amdhsa_kernarg_size 140
		.amdhsa_user_sgpr_count 2
		.amdhsa_user_sgpr_dispatch_ptr 0
		.amdhsa_user_sgpr_queue_ptr 0
		.amdhsa_user_sgpr_kernarg_segment_ptr 1
		.amdhsa_user_sgpr_dispatch_id 0
		.amdhsa_user_sgpr_kernarg_preload_length 0
		.amdhsa_user_sgpr_kernarg_preload_offset 0
		.amdhsa_user_sgpr_private_segment_size 0
		.amdhsa_wavefront_size32 1
		.amdhsa_uses_dynamic_stack 0
		.amdhsa_enable_private_segment 0
		.amdhsa_system_sgpr_workgroup_id_x 1
		.amdhsa_system_sgpr_workgroup_id_y 1
		.amdhsa_system_sgpr_workgroup_id_z 1
		.amdhsa_system_sgpr_workgroup_info 0
		.amdhsa_system_vgpr_workitem_id 1
		.amdhsa_next_free_vgpr 52
		.amdhsa_next_free_sgpr 44
		.amdhsa_named_barrier_count 0
		.amdhsa_reserve_vcc 1
		.amdhsa_float_round_mode_32 0
		.amdhsa_float_round_mode_16_64 0
		.amdhsa_float_denorm_mode_32 3
		.amdhsa_float_denorm_mode_16_64 3
		.amdhsa_fp16_overflow 0
		.amdhsa_memory_ordered 1
		.amdhsa_forward_progress 1
		.amdhsa_inst_pref_size 11
		.amdhsa_round_robin_scheduling 0
		.amdhsa_exception_fp_ieee_invalid_op 0
		.amdhsa_exception_fp_denorm_src 0
		.amdhsa_exception_fp_ieee_div_zero 0
		.amdhsa_exception_fp_ieee_overflow 0
		.amdhsa_exception_fp_ieee_underflow 0
		.amdhsa_exception_fp_ieee_inexact 0
		.amdhsa_exception_int_div_zero 0
	.end_amdhsa_kernel
	.section	.text._ZN12_GLOBAL__N_127rocblas_gemm_batched_kernelIdLi16ELi16ELi32ELi32ELi8ELi32ELi8ELi8ELi32ELc67ELc67EKPKdS3_KPdEEvlllT_PT11_llS8_llS6_PT12_llPT13_lli,"axG",@progbits,_ZN12_GLOBAL__N_127rocblas_gemm_batched_kernelIdLi16ELi16ELi32ELi32ELi8ELi32ELi8ELi8ELi32ELc67ELc67EKPKdS3_KPdEEvlllT_PT11_llS8_llS6_PT12_llPT13_lli,comdat
.Lfunc_end14:
	.size	_ZN12_GLOBAL__N_127rocblas_gemm_batched_kernelIdLi16ELi16ELi32ELi32ELi8ELi32ELi8ELi8ELi32ELc67ELc67EKPKdS3_KPdEEvlllT_PT11_llS8_llS6_PT12_llPT13_lli, .Lfunc_end14-_ZN12_GLOBAL__N_127rocblas_gemm_batched_kernelIdLi16ELi16ELi32ELi32ELi8ELi32ELi8ELi8ELi32ELc67ELc67EKPKdS3_KPdEEvlllT_PT11_llS8_llS6_PT12_llPT13_lli
                                        ; -- End function
	.set _ZN12_GLOBAL__N_127rocblas_gemm_batched_kernelIdLi16ELi16ELi32ELi32ELi8ELi32ELi8ELi8ELi32ELc67ELc67EKPKdS3_KPdEEvlllT_PT11_llS8_llS6_PT12_llPT13_lli.num_vgpr, 52
	.set _ZN12_GLOBAL__N_127rocblas_gemm_batched_kernelIdLi16ELi16ELi32ELi32ELi8ELi32ELi8ELi8ELi32ELc67ELc67EKPKdS3_KPdEEvlllT_PT11_llS8_llS6_PT12_llPT13_lli.num_agpr, 0
	.set _ZN12_GLOBAL__N_127rocblas_gemm_batched_kernelIdLi16ELi16ELi32ELi32ELi8ELi32ELi8ELi8ELi32ELc67ELc67EKPKdS3_KPdEEvlllT_PT11_llS8_llS6_PT12_llPT13_lli.numbered_sgpr, 44
	.set _ZN12_GLOBAL__N_127rocblas_gemm_batched_kernelIdLi16ELi16ELi32ELi32ELi8ELi32ELi8ELi8ELi32ELc67ELc67EKPKdS3_KPdEEvlllT_PT11_llS8_llS6_PT12_llPT13_lli.num_named_barrier, 0
	.set _ZN12_GLOBAL__N_127rocblas_gemm_batched_kernelIdLi16ELi16ELi32ELi32ELi8ELi32ELi8ELi8ELi32ELc67ELc67EKPKdS3_KPdEEvlllT_PT11_llS8_llS6_PT12_llPT13_lli.private_seg_size, 0
	.set _ZN12_GLOBAL__N_127rocblas_gemm_batched_kernelIdLi16ELi16ELi32ELi32ELi8ELi32ELi8ELi8ELi32ELc67ELc67EKPKdS3_KPdEEvlllT_PT11_llS8_llS6_PT12_llPT13_lli.uses_vcc, 1
	.set _ZN12_GLOBAL__N_127rocblas_gemm_batched_kernelIdLi16ELi16ELi32ELi32ELi8ELi32ELi8ELi8ELi32ELc67ELc67EKPKdS3_KPdEEvlllT_PT11_llS8_llS6_PT12_llPT13_lli.uses_flat_scratch, 1
	.set _ZN12_GLOBAL__N_127rocblas_gemm_batched_kernelIdLi16ELi16ELi32ELi32ELi8ELi32ELi8ELi8ELi32ELc67ELc67EKPKdS3_KPdEEvlllT_PT11_llS8_llS6_PT12_llPT13_lli.has_dyn_sized_stack, 0
	.set _ZN12_GLOBAL__N_127rocblas_gemm_batched_kernelIdLi16ELi16ELi32ELi32ELi8ELi32ELi8ELi8ELi32ELc67ELc67EKPKdS3_KPdEEvlllT_PT11_llS8_llS6_PT12_llPT13_lli.has_recursion, 0
	.set _ZN12_GLOBAL__N_127rocblas_gemm_batched_kernelIdLi16ELi16ELi32ELi32ELi8ELi32ELi8ELi8ELi32ELc67ELc67EKPKdS3_KPdEEvlllT_PT11_llS8_llS6_PT12_llPT13_lli.has_indirect_call, 0
	.section	.AMDGPU.csdata,"",@progbits
; Kernel info:
; codeLenInByte = 1364
; TotalNumSgprs: 46
; NumVgprs: 52
; ScratchSize: 0
; MemoryBound: 0
; FloatMode: 240
; IeeeMode: 1
; LDSByteSize: 4096 bytes/workgroup (compile time only)
; SGPRBlocks: 0
; VGPRBlocks: 3
; NumSGPRsForWavesPerEU: 46
; NumVGPRsForWavesPerEU: 52
; NamedBarCnt: 0
; Occupancy: 16
; WaveLimiterHint : 1
; COMPUTE_PGM_RSRC2:SCRATCH_EN: 0
; COMPUTE_PGM_RSRC2:USER_SGPR: 2
; COMPUTE_PGM_RSRC2:TRAP_HANDLER: 0
; COMPUTE_PGM_RSRC2:TGID_X_EN: 1
; COMPUTE_PGM_RSRC2:TGID_Y_EN: 1
; COMPUTE_PGM_RSRC2:TGID_Z_EN: 1
; COMPUTE_PGM_RSRC2:TIDIG_COMP_CNT: 1
	.section	.text._ZN12_GLOBAL__N_127rocblas_gemm_batched_kernelIdLi16ELi16ELi32ELi32ELi8ELi32ELi8ELi8ELi32ELc67ELc78EKPKdS3_KPdEEvlllT_PT11_llS8_llS6_PT12_llPT13_lli,"axG",@progbits,_ZN12_GLOBAL__N_127rocblas_gemm_batched_kernelIdLi16ELi16ELi32ELi32ELi8ELi32ELi8ELi8ELi32ELc67ELc78EKPKdS3_KPdEEvlllT_PT11_llS8_llS6_PT12_llPT13_lli,comdat
	.globl	_ZN12_GLOBAL__N_127rocblas_gemm_batched_kernelIdLi16ELi16ELi32ELi32ELi8ELi32ELi8ELi8ELi32ELc67ELc78EKPKdS3_KPdEEvlllT_PT11_llS8_llS6_PT12_llPT13_lli ; -- Begin function _ZN12_GLOBAL__N_127rocblas_gemm_batched_kernelIdLi16ELi16ELi32ELi32ELi8ELi32ELi8ELi8ELi32ELc67ELc78EKPKdS3_KPdEEvlllT_PT11_llS8_llS6_PT12_llPT13_lli
	.p2align	8
	.type	_ZN12_GLOBAL__N_127rocblas_gemm_batched_kernelIdLi16ELi16ELi32ELi32ELi8ELi32ELi8ELi8ELi32ELc67ELc78EKPKdS3_KPdEEvlllT_PT11_llS8_llS6_PT12_llPT13_lli,@function
_ZN12_GLOBAL__N_127rocblas_gemm_batched_kernelIdLi16ELi16ELi32ELi32ELi8ELi32ELi8ELi8ELi32ELc67ELc78EKPKdS3_KPdEEvlllT_PT11_llS8_llS6_PT12_llPT13_lli: ; @_ZN12_GLOBAL__N_127rocblas_gemm_batched_kernelIdLi16ELi16ELi32ELi32ELi8ELi32ELi8ELi8ELi32ELc67ELc78EKPKdS3_KPdEEvlllT_PT11_llS8_llS6_PT12_llPT13_lli
; %bb.0:
	s_load_b32 s28, s[0:1], 0x88
	s_bfe_u32 s2, ttmp6, 0x40014
	s_lshr_b32 s3, ttmp7, 16
	s_add_co_i32 s2, s2, 1
	s_bfe_u32 s4, ttmp6, 0x40008
	s_mul_i32 s2, s3, s2
	s_getreg_b32 s29, hwreg(HW_REG_IB_STS2, 6, 4)
	s_add_co_i32 s4, s4, s2
	s_cmp_eq_u32 s29, 0
	s_cselect_b32 s2, s3, s4
	s_mov_b32 s3, 0
	s_wait_kmcnt 0x0
	s_cmp_ge_i32 s2, s28
	s_cbranch_scc1 .LBB15_11
; %bb.1:
	v_bfe_u32 v2, v0, 10, 10
	v_and_b32_e32 v8, 0x3ff, v0
	s_clause 0x2
	s_load_b512 s[4:19], s[0:1], 0x10
	s_load_b256 s[20:27], s[0:1], 0x70
	s_load_b256 s[36:43], s[0:1], 0x50
	s_wait_xcnt 0x0
	s_bfe_u32 s1, ttmp6, 0x4000c
	s_wait_kmcnt 0x0
	s_bfe_u32 s26, ttmp6, 0x40010
	s_add_co_i32 s1, s1, 1
	s_and_b32 s27, ttmp7, 0xffff
	s_add_co_i32 s26, s26, 1
	v_lshl_add_u32 v1, v2, 4, v8
	v_mov_b32_e32 v3, 0
	s_and_b32 s0, ttmp6, 15
	s_mul_i32 s1, ttmp9, s1
	s_mul_i32 s26, s27, s26
	s_bfe_u32 s30, ttmp6, 0x40004
	s_add_co_i32 s0, s0, s1
	s_add_co_i32 s30, s30, s26
	s_cmp_eq_u32 s29, 0
	v_dual_lshrrev_b32 v10, 3, v1 :: v_dual_bitop2_b32 v17, 31, v1 bitop3:0x40
	v_mov_b32_e32 v11, v3
	s_cselect_b32 s0, ttmp9, s0
	s_cselect_b32 s26, s27, s30
	s_ashr_i32 s1, s0, 31
	s_lshl_b32 s26, s26, 5
	s_mov_b32 s27, s3
	s_lshl_b64 s[30:31], s[0:1], 5
	v_add_nc_u64_e32 v[4:5], s[26:27], v[10:11]
	v_dual_mov_b32 v7, s31 :: v_dual_bitop2_b32 v6, s30, v17 bitop3:0x54
	v_cmp_eq_f64_e64 s1, s[36:37], 0
	v_dual_mov_b32 v9, v3 :: v_dual_lshlrev_b32 v0, 3, v0
	v_lshlrev_b32_e32 v28, 3, v8
	s_delay_alu instid0(VALU_DEP_4)
	v_mul_u64_e32 v[12:13], s[10:11], v[6:7]
	v_mul_u64_e32 v[14:15], s[16:17], v[4:5]
	v_add_nc_u64_e32 v[6:7], s[26:27], v[2:3]
	v_dual_lshrrev_b32 v0, 5, v1 :: v_dual_bitop2_b32 v16, 56, v0 bitop3:0x40
	v_lshlrev_b32_e32 v1, 3, v17
	v_cmp_gt_i64_e64 s0, s[4:5], 0
	s_lshl_b64 s[10:11], s[12:13], 3
	v_lshl_or_b32 v18, v10, 6, v16
	v_mul_u64_e32 v[4:5], s[22:23], v[6:7]
	v_mul_u64_e32 v[6:7], s[40:41], v[6:7]
	v_add_nc_u64_e32 v[10:11], s[30:31], v[8:9]
	s_lshl_b64 s[12:13], s[18:19], 3
	v_lshl_add_u32 v29, v2, 6, 0x800
	v_dual_mov_b32 v17, v3 :: v_dual_lshlrev_b32 v2, 3, v0
	v_lshl_or_b32 v30, v0, 8, v1
	v_add_nc_u32_e32 v31, 0x800, v18
	v_lshlrev_b64_e32 v[10:11], 3, v[10:11]
	s_lshl_b64 s[16:17], s[24:25], 3
	s_lshl_b64 s[18:19], s[42:43], 3
	v_lshl_add_u64 v[0:1], v[12:13], 3, s[10:11]
	v_lshl_add_u64 v[8:9], v[14:15], 3, s[12:13]
	v_cndmask_b32_e64 v12, 0, 1, s0
	s_lshl_b64 s[10:11], s[22:23], 4
	s_lshl_b64 s[12:13], s[40:41], 4
	v_add_nc_u64_e32 v[0:1], v[0:1], v[2:3]
	v_add_nc_u64_e32 v[8:9], v[8:9], v[16:17]
	v_cmp_ne_u32_e64 s0, 1, v12
	s_branch .LBB15_3
.LBB15_2:                               ;   in Loop: Header=BB15_3 Depth=1
	s_add_co_i32 s2, s2, 0x10000
	s_delay_alu instid0(SALU_CYCLE_1)
	s_cmp_lt_i32 s2, s28
	s_cbranch_scc0 .LBB15_11
.LBB15_3:                               ; =>This Loop Header: Depth=1
                                        ;     Child Loop BB15_5 Depth 2
	s_wait_xcnt 0x0
	v_mov_b32_e32 v2, s2
	s_delay_alu instid0(VALU_DEP_2)
	s_and_b32 vcc_lo, exec_lo, s0
	s_clause 0x1
	global_load_b64 v[12:13], v2, s[38:39] scale_offset
	global_load_b64 v[22:23], v2, s[20:21] scale_offset
	s_cbranch_vccnz .LBB15_6
; %bb.4:                                ;   in Loop: Header=BB15_3 Depth=1
	s_lshl_b64 s[22:23], s[2:3], 3
	v_mov_b64_e32 v[14:15], 0
	s_add_nc_u64 s[24:25], s[14:15], s[22:23]
	s_add_nc_u64 s[22:23], s[8:9], s[22:23]
	s_clause 0x1
	global_load_b64 v[20:21], v3, s[24:25]
	global_load_b64 v[26:27], v3, s[22:23]
	v_mov_b64_e32 v[16:17], 0
	v_mov_b64_e32 v[18:19], 0
	s_wait_xcnt 0x0
	s_mov_b64 s[22:23], 0
	s_wait_loadcnt 0x1
	v_add_nc_u64_e32 v[24:25], v[20:21], v[8:9]
	s_wait_loadcnt 0x0
	v_add_nc_u64_e32 v[26:27], v[26:27], v[0:1]
	v_mov_b64_e32 v[20:21], 0
.LBB15_5:                               ;   Parent Loop BB15_3 Depth=1
                                        ; =>  This Inner Loop Header: Depth=2
	flat_load_b64 v[32:33], v[26:27]
	s_add_nc_u64 s[22:23], s[22:23], 8
	s_wait_xcnt 0x0
	v_add_nc_u64_e32 v[26:27], 64, v[26:27]
	v_cmp_lt_i64_e64 s24, s[22:23], s[4:5]
	s_and_b32 vcc_lo, exec_lo, s24
	s_wait_loadcnt_dscnt 0x0
	ds_store_b64 v30, v[32:33]
	flat_load_b64 v[32:33], v[24:25]
	s_wait_xcnt 0x0
	v_add_nc_u64_e32 v[24:25], 64, v[24:25]
	s_wait_loadcnt_dscnt 0x0
	ds_store_b64 v31, v[32:33]
	s_wait_dscnt 0x0
	s_barrier_signal -1
	s_barrier_wait -1
	ds_load_b128 v[32:35], v29
	ds_load_2addr_b64 v[36:39], v28 offset1:16
	ds_load_b128 v[40:43], v29 offset:1024
	ds_load_b128 v[44:47], v29 offset:16
	;; [unrolled: 1-line block ×3, first 2 shown]
	s_wait_dscnt 0x3
	v_fmac_f64_e32 v[20:21], v[36:37], v[32:33]
	v_fmac_f64_e32 v[18:19], v[38:39], v[32:33]
	s_wait_dscnt 0x2
	v_fmac_f64_e32 v[16:17], v[36:37], v[40:41]
	v_fmac_f64_e32 v[14:15], v[38:39], v[40:41]
	ds_load_2addr_b64 v[36:39], v28 offset0:32 offset1:48
	s_wait_dscnt 0x0
	v_fmac_f64_e32 v[20:21], v[36:37], v[34:35]
	v_fmac_f64_e32 v[18:19], v[38:39], v[34:35]
	v_fmac_f64_e32 v[16:17], v[36:37], v[42:43]
	v_fmac_f64_e32 v[14:15], v[38:39], v[42:43]
	ds_load_2addr_b64 v[32:35], v28 offset0:64 offset1:80
	s_wait_dscnt 0x0
	v_fmac_f64_e32 v[20:21], v[32:33], v[44:45]
	v_fmac_f64_e32 v[18:19], v[34:35], v[44:45]
	;; [unrolled: 6-line block ×3, first 2 shown]
	v_fmac_f64_e32 v[16:17], v[32:33], v[50:51]
	v_fmac_f64_e32 v[14:15], v[34:35], v[50:51]
	ds_load_b128 v[32:35], v29 offset:32
	ds_load_2addr_b64 v[36:39], v28 offset0:128 offset1:144
	ds_load_b128 v[40:43], v29 offset:1056
	ds_load_b128 v[44:47], v29 offset:48
	;; [unrolled: 1-line block ×3, first 2 shown]
	s_wait_dscnt 0x3
	v_fmac_f64_e32 v[20:21], v[36:37], v[32:33]
	v_fmac_f64_e32 v[18:19], v[38:39], v[32:33]
	s_wait_dscnt 0x2
	v_fmac_f64_e32 v[16:17], v[36:37], v[40:41]
	v_fmac_f64_e32 v[14:15], v[38:39], v[40:41]
	ds_load_2addr_b64 v[36:39], v28 offset0:160 offset1:176
	s_wait_dscnt 0x0
	v_fmac_f64_e32 v[20:21], v[36:37], v[34:35]
	v_fmac_f64_e32 v[18:19], v[38:39], v[34:35]
	;; [unrolled: 1-line block ×4, first 2 shown]
	ds_load_2addr_b64 v[32:35], v28 offset0:192 offset1:208
	s_wait_dscnt 0x0
	v_fmac_f64_e32 v[20:21], v[32:33], v[44:45]
	v_fmac_f64_e32 v[18:19], v[34:35], v[44:45]
	;; [unrolled: 1-line block ×4, first 2 shown]
	ds_load_2addr_b64 v[32:35], v28 offset0:224 offset1:240
	s_wait_dscnt 0x0
	s_barrier_signal -1
	s_barrier_wait -1
	v_fmac_f64_e32 v[20:21], v[32:33], v[46:47]
	v_fmac_f64_e32 v[18:19], v[34:35], v[46:47]
	;; [unrolled: 1-line block ×4, first 2 shown]
	s_cbranch_vccnz .LBB15_5
	s_branch .LBB15_7
.LBB15_6:                               ;   in Loop: Header=BB15_3 Depth=1
	v_mov_b64_e32 v[20:21], 0
	v_mov_b64_e32 v[18:19], 0
	;; [unrolled: 1-line block ×4, first 2 shown]
.LBB15_7:                               ;   in Loop: Header=BB15_3 Depth=1
	s_wait_loadcnt 0x0
	v_add_nc_u64_e32 v[22:23], s[16:17], v[22:23]
	s_and_not1_b32 vcc_lo, exec_lo, s1
	s_delay_alu instid0(VALU_DEP_1) | instskip(NEXT) | instid1(VALU_DEP_1)
	v_lshl_add_u64 v[22:23], v[4:5], 3, v[22:23]
	v_add_nc_u64_e32 v[24:25], v[22:23], v[10:11]
	v_lshl_add_u64 v[22:23], s[10:11], 3, v[22:23]
	s_cbranch_vccnz .LBB15_9
; %bb.8:                                ;   in Loop: Header=BB15_3 Depth=1
	v_mul_f64_e32 v[26:27], s[6:7], v[20:21]
	v_mul_f64_e32 v[32:33], s[6:7], v[18:19]
	;; [unrolled: 1-line block ×4, first 2 shown]
	v_add_nc_u64_e32 v[38:39], v[22:23], v[10:11]
	s_clause 0x3
	flat_store_b64 v[24:25], v[26:27]
	flat_store_b64 v[24:25], v[32:33] offset:128
	flat_store_b64 v[38:39], v[34:35]
	flat_store_b64 v[38:39], v[36:37] offset:128
	s_cbranch_execnz .LBB15_2
	s_branch .LBB15_10
.LBB15_9:                               ;   in Loop: Header=BB15_3 Depth=1
.LBB15_10:                              ;   in Loop: Header=BB15_3 Depth=1
	v_add_nc_u64_e32 v[12:13], s[18:19], v[12:13]
	s_delay_alu instid0(VALU_DEP_1) | instskip(SKIP_1) | instid1(VALU_DEP_1)
	v_lshl_add_u64 v[12:13], v[6:7], 3, v[12:13]
	s_wait_xcnt 0x3
	v_add_nc_u64_e32 v[26:27], v[12:13], v[10:11]
	v_lshl_add_u64 v[12:13], s[12:13], 3, v[12:13]
	s_delay_alu instid0(VALU_DEP_1) | instskip(SKIP_3) | instid1(VALU_DEP_1)
	v_add_nc_u64_e32 v[12:13], v[12:13], v[10:11]
	flat_load_b64 v[32:33], v[26:27]
	s_wait_loadcnt_dscnt 0x0
	v_mul_f64_e32 v[32:33], s[36:37], v[32:33]
	v_fmac_f64_e32 v[32:33], s[6:7], v[20:21]
	flat_store_b64 v[24:25], v[32:33]
	flat_load_b64 v[20:21], v[26:27] offset:128
	s_wait_loadcnt_dscnt 0x0
	v_mul_f64_e32 v[20:21], s[36:37], v[20:21]
	s_delay_alu instid0(VALU_DEP_1) | instskip(SKIP_4) | instid1(VALU_DEP_1)
	v_fmac_f64_e32 v[20:21], s[6:7], v[18:19]
	flat_store_b64 v[24:25], v[20:21] offset:128
	flat_load_b64 v[18:19], v[12:13]
	s_wait_loadcnt_dscnt 0x0
	v_mul_f64_e32 v[18:19], s[36:37], v[18:19]
	v_fmac_f64_e32 v[18:19], s[6:7], v[16:17]
	v_add_nc_u64_e32 v[16:17], v[22:23], v[10:11]
	flat_store_b64 v[16:17], v[18:19]
	flat_load_b64 v[12:13], v[12:13] offset:128
	s_wait_loadcnt_dscnt 0x0
	s_wait_xcnt 0x0
	v_mul_f64_e32 v[12:13], s[36:37], v[12:13]
	s_delay_alu instid0(VALU_DEP_1)
	v_fmac_f64_e32 v[12:13], s[6:7], v[14:15]
	flat_store_b64 v[16:17], v[12:13] offset:128
	s_branch .LBB15_2
.LBB15_11:
	s_endpgm
	.section	.rodata,"a",@progbits
	.p2align	6, 0x0
	.amdhsa_kernel _ZN12_GLOBAL__N_127rocblas_gemm_batched_kernelIdLi16ELi16ELi32ELi32ELi8ELi32ELi8ELi8ELi32ELc67ELc78EKPKdS3_KPdEEvlllT_PT11_llS8_llS6_PT12_llPT13_lli
		.amdhsa_group_segment_fixed_size 4096
		.amdhsa_private_segment_fixed_size 0
		.amdhsa_kernarg_size 140
		.amdhsa_user_sgpr_count 2
		.amdhsa_user_sgpr_dispatch_ptr 0
		.amdhsa_user_sgpr_queue_ptr 0
		.amdhsa_user_sgpr_kernarg_segment_ptr 1
		.amdhsa_user_sgpr_dispatch_id 0
		.amdhsa_user_sgpr_kernarg_preload_length 0
		.amdhsa_user_sgpr_kernarg_preload_offset 0
		.amdhsa_user_sgpr_private_segment_size 0
		.amdhsa_wavefront_size32 1
		.amdhsa_uses_dynamic_stack 0
		.amdhsa_enable_private_segment 0
		.amdhsa_system_sgpr_workgroup_id_x 1
		.amdhsa_system_sgpr_workgroup_id_y 1
		.amdhsa_system_sgpr_workgroup_id_z 1
		.amdhsa_system_sgpr_workgroup_info 0
		.amdhsa_system_vgpr_workitem_id 1
		.amdhsa_next_free_vgpr 52
		.amdhsa_next_free_sgpr 44
		.amdhsa_named_barrier_count 0
		.amdhsa_reserve_vcc 1
		.amdhsa_float_round_mode_32 0
		.amdhsa_float_round_mode_16_64 0
		.amdhsa_float_denorm_mode_32 3
		.amdhsa_float_denorm_mode_16_64 3
		.amdhsa_fp16_overflow 0
		.amdhsa_memory_ordered 1
		.amdhsa_forward_progress 1
		.amdhsa_inst_pref_size 11
		.amdhsa_round_robin_scheduling 0
		.amdhsa_exception_fp_ieee_invalid_op 0
		.amdhsa_exception_fp_denorm_src 0
		.amdhsa_exception_fp_ieee_div_zero 0
		.amdhsa_exception_fp_ieee_overflow 0
		.amdhsa_exception_fp_ieee_underflow 0
		.amdhsa_exception_fp_ieee_inexact 0
		.amdhsa_exception_int_div_zero 0
	.end_amdhsa_kernel
	.section	.text._ZN12_GLOBAL__N_127rocblas_gemm_batched_kernelIdLi16ELi16ELi32ELi32ELi8ELi32ELi8ELi8ELi32ELc67ELc78EKPKdS3_KPdEEvlllT_PT11_llS8_llS6_PT12_llPT13_lli,"axG",@progbits,_ZN12_GLOBAL__N_127rocblas_gemm_batched_kernelIdLi16ELi16ELi32ELi32ELi8ELi32ELi8ELi8ELi32ELc67ELc78EKPKdS3_KPdEEvlllT_PT11_llS8_llS6_PT12_llPT13_lli,comdat
.Lfunc_end15:
	.size	_ZN12_GLOBAL__N_127rocblas_gemm_batched_kernelIdLi16ELi16ELi32ELi32ELi8ELi32ELi8ELi8ELi32ELc67ELc78EKPKdS3_KPdEEvlllT_PT11_llS8_llS6_PT12_llPT13_lli, .Lfunc_end15-_ZN12_GLOBAL__N_127rocblas_gemm_batched_kernelIdLi16ELi16ELi32ELi32ELi8ELi32ELi8ELi8ELi32ELc67ELc78EKPKdS3_KPdEEvlllT_PT11_llS8_llS6_PT12_llPT13_lli
                                        ; -- End function
	.set _ZN12_GLOBAL__N_127rocblas_gemm_batched_kernelIdLi16ELi16ELi32ELi32ELi8ELi32ELi8ELi8ELi32ELc67ELc78EKPKdS3_KPdEEvlllT_PT11_llS8_llS6_PT12_llPT13_lli.num_vgpr, 52
	.set _ZN12_GLOBAL__N_127rocblas_gemm_batched_kernelIdLi16ELi16ELi32ELi32ELi8ELi32ELi8ELi8ELi32ELc67ELc78EKPKdS3_KPdEEvlllT_PT11_llS8_llS6_PT12_llPT13_lli.num_agpr, 0
	.set _ZN12_GLOBAL__N_127rocblas_gemm_batched_kernelIdLi16ELi16ELi32ELi32ELi8ELi32ELi8ELi8ELi32ELc67ELc78EKPKdS3_KPdEEvlllT_PT11_llS8_llS6_PT12_llPT13_lli.numbered_sgpr, 44
	.set _ZN12_GLOBAL__N_127rocblas_gemm_batched_kernelIdLi16ELi16ELi32ELi32ELi8ELi32ELi8ELi8ELi32ELc67ELc78EKPKdS3_KPdEEvlllT_PT11_llS8_llS6_PT12_llPT13_lli.num_named_barrier, 0
	.set _ZN12_GLOBAL__N_127rocblas_gemm_batched_kernelIdLi16ELi16ELi32ELi32ELi8ELi32ELi8ELi8ELi32ELc67ELc78EKPKdS3_KPdEEvlllT_PT11_llS8_llS6_PT12_llPT13_lli.private_seg_size, 0
	.set _ZN12_GLOBAL__N_127rocblas_gemm_batched_kernelIdLi16ELi16ELi32ELi32ELi8ELi32ELi8ELi8ELi32ELc67ELc78EKPKdS3_KPdEEvlllT_PT11_llS8_llS6_PT12_llPT13_lli.uses_vcc, 1
	.set _ZN12_GLOBAL__N_127rocblas_gemm_batched_kernelIdLi16ELi16ELi32ELi32ELi8ELi32ELi8ELi8ELi32ELc67ELc78EKPKdS3_KPdEEvlllT_PT11_llS8_llS6_PT12_llPT13_lli.uses_flat_scratch, 1
	.set _ZN12_GLOBAL__N_127rocblas_gemm_batched_kernelIdLi16ELi16ELi32ELi32ELi8ELi32ELi8ELi8ELi32ELc67ELc78EKPKdS3_KPdEEvlllT_PT11_llS8_llS6_PT12_llPT13_lli.has_dyn_sized_stack, 0
	.set _ZN12_GLOBAL__N_127rocblas_gemm_batched_kernelIdLi16ELi16ELi32ELi32ELi8ELi32ELi8ELi8ELi32ELc67ELc78EKPKdS3_KPdEEvlllT_PT11_llS8_llS6_PT12_llPT13_lli.has_recursion, 0
	.set _ZN12_GLOBAL__N_127rocblas_gemm_batched_kernelIdLi16ELi16ELi32ELi32ELi8ELi32ELi8ELi8ELi32ELc67ELc78EKPKdS3_KPdEEvlllT_PT11_llS8_llS6_PT12_llPT13_lli.has_indirect_call, 0
	.section	.AMDGPU.csdata,"",@progbits
; Kernel info:
; codeLenInByte = 1336
; TotalNumSgprs: 46
; NumVgprs: 52
; ScratchSize: 0
; MemoryBound: 0
; FloatMode: 240
; IeeeMode: 1
; LDSByteSize: 4096 bytes/workgroup (compile time only)
; SGPRBlocks: 0
; VGPRBlocks: 3
; NumSGPRsForWavesPerEU: 46
; NumVGPRsForWavesPerEU: 52
; NamedBarCnt: 0
; Occupancy: 16
; WaveLimiterHint : 1
; COMPUTE_PGM_RSRC2:SCRATCH_EN: 0
; COMPUTE_PGM_RSRC2:USER_SGPR: 2
; COMPUTE_PGM_RSRC2:TRAP_HANDLER: 0
; COMPUTE_PGM_RSRC2:TGID_X_EN: 1
; COMPUTE_PGM_RSRC2:TGID_Y_EN: 1
; COMPUTE_PGM_RSRC2:TGID_Z_EN: 1
; COMPUTE_PGM_RSRC2:TIDIG_COMP_CNT: 1
	.section	.text._ZN12_GLOBAL__N_127rocblas_gemm_batched_kernelIdLi16ELi16ELi32ELi32ELi8ELi32ELi8ELi8ELi32ELc67ELc84EKPKdS3_KPdEEvlllT_PT11_llS8_llS6_PT12_llPT13_lli,"axG",@progbits,_ZN12_GLOBAL__N_127rocblas_gemm_batched_kernelIdLi16ELi16ELi32ELi32ELi8ELi32ELi8ELi8ELi32ELc67ELc84EKPKdS3_KPdEEvlllT_PT11_llS8_llS6_PT12_llPT13_lli,comdat
	.globl	_ZN12_GLOBAL__N_127rocblas_gemm_batched_kernelIdLi16ELi16ELi32ELi32ELi8ELi32ELi8ELi8ELi32ELc67ELc84EKPKdS3_KPdEEvlllT_PT11_llS8_llS6_PT12_llPT13_lli ; -- Begin function _ZN12_GLOBAL__N_127rocblas_gemm_batched_kernelIdLi16ELi16ELi32ELi32ELi8ELi32ELi8ELi8ELi32ELc67ELc84EKPKdS3_KPdEEvlllT_PT11_llS8_llS6_PT12_llPT13_lli
	.p2align	8
	.type	_ZN12_GLOBAL__N_127rocblas_gemm_batched_kernelIdLi16ELi16ELi32ELi32ELi8ELi32ELi8ELi8ELi32ELc67ELc84EKPKdS3_KPdEEvlllT_PT11_llS8_llS6_PT12_llPT13_lli,@function
_ZN12_GLOBAL__N_127rocblas_gemm_batched_kernelIdLi16ELi16ELi32ELi32ELi8ELi32ELi8ELi8ELi32ELc67ELc84EKPKdS3_KPdEEvlllT_PT11_llS8_llS6_PT12_llPT13_lli: ; @_ZN12_GLOBAL__N_127rocblas_gemm_batched_kernelIdLi16ELi16ELi32ELi32ELi8ELi32ELi8ELi8ELi32ELc67ELc84EKPKdS3_KPdEEvlllT_PT11_llS8_llS6_PT12_llPT13_lli
; %bb.0:
	s_load_b32 s28, s[0:1], 0x88
	s_bfe_u32 s2, ttmp6, 0x40014
	s_lshr_b32 s3, ttmp7, 16
	s_add_co_i32 s2, s2, 1
	s_bfe_u32 s4, ttmp6, 0x40008
	s_mul_i32 s2, s3, s2
	s_getreg_b32 s29, hwreg(HW_REG_IB_STS2, 6, 4)
	s_add_co_i32 s4, s4, s2
	s_cmp_eq_u32 s29, 0
	s_cselect_b32 s2, s3, s4
	s_mov_b32 s3, 0
	s_wait_kmcnt 0x0
	s_cmp_ge_i32 s2, s28
	s_cbranch_scc1 .LBB16_11
; %bb.1:
	s_clause 0x2
	s_load_b512 s[4:19], s[0:1], 0x10
	s_load_b256 s[20:27], s[0:1], 0x70
	s_load_b256 s[36:43], s[0:1], 0x50
	v_bfe_u32 v2, v0, 10, 10
	v_and_b32_e32 v6, 0x3ff, v0
	s_wait_xcnt 0x0
	s_bfe_u32 s0, ttmp6, 0x4000c
	s_wait_kmcnt 0x0
	s_bfe_u32 s26, ttmp6, 0x40010
	s_add_co_i32 s0, s0, 1
	s_and_b32 s27, ttmp7, 0xffff
	s_add_co_i32 s26, s26, 1
	s_and_b32 s1, ttmp6, 15
	s_mul_i32 s0, ttmp9, s0
	s_mul_i32 s26, s27, s26
	s_bfe_u32 s30, ttmp6, 0x40004
	v_lshl_add_u32 v14, v2, 4, v6
	s_add_co_i32 s1, s1, s0
	s_add_co_i32 s30, s30, s26
	s_cmp_eq_u32 s29, 0
	s_delay_alu instid0(VALU_DEP_1)
	v_dual_mov_b32 v3, 0 :: v_dual_bitop2_b32 v15, 31, v14 bitop3:0x40
	s_cselect_b32 s0, ttmp9, s1
	s_cselect_b32 s29, s27, s30
	s_ashr_i32 s1, s0, 31
	v_lshrrev_b32_e32 v8, 3, v14
	s_lshl_b64 s[26:27], s[0:1], 5
	s_delay_alu instid0(SALU_CYCLE_1) | instskip(SKIP_4) | instid1(VALU_DEP_2)
	v_dual_mov_b32 v1, s27 :: v_dual_bitop2_b32 v7, 7, v0 bitop3:0x40
	v_dual_mov_b32 v9, v3 :: v_dual_bitop2_b32 v0, s26, v15 bitop3:0x54
	s_lshl_b32 s30, s29, 5
	s_mov_b32 s31, s3
	v_cmp_eq_f64_e64 s1, s[36:37], 0
	v_mul_u64_e32 v[10:11], s[10:11], v[0:1]
	v_mad_nc_u64_u32 v[12:13], s16, v7, v[8:9]
	v_add_nc_u64_e32 v[4:5], s[30:31], v[2:3]
	v_dual_lshlrev_b32 v9, 3, v7 :: v_dual_lshlrev_b32 v28, 3, v6
	v_dual_lshrrev_b32 v14, 5, v14 :: v_dual_lshlrev_b32 v15, 3, v15
	v_cmp_gt_i64_e64 s0, s[4:5], 0
	s_delay_alu instid0(VALU_DEP_3)
	v_lshl_or_b32 v16, v8, 6, v9
	v_mul_u64_e32 v[0:1], s[22:23], v[4:5]
	v_mul_u64_e32 v[4:5], s[40:41], v[4:5]
	s_lshl_b64 s[10:11], s[12:13], 3
	v_mad_u32 v13, s17, v7, v13
	v_mov_b32_e32 v7, v3
	v_lshl_add_u32 v29, v2, 6, 0x800
	v_lshlrev_b32_e32 v2, 3, v14
	v_lshl_or_b32 v30, v14, 8, v15
	v_add_nc_u32_e32 v31, 0x800, v16
	v_cndmask_b32_e64 v16, 0, 1, s0
	s_lshl_b64 s[12:13], s[40:41], 4
	s_lshl_b64 s[16:17], s[16:17], 6
	v_add_nc_u64_e32 v[8:9], s[30:31], v[12:13]
	v_add_nc_u64_e32 v[12:13], s[26:27], v[6:7]
	v_cmp_ne_u32_e64 s0, 1, v16
	s_delay_alu instid0(VALU_DEP_3) | instskip(NEXT) | instid1(VALU_DEP_3)
	v_lshlrev_b64_e32 v[14:15], 3, v[8:9]
	v_lshlrev_b64_e32 v[8:9], 3, v[12:13]
	v_lshl_add_u64 v[6:7], v[10:11], 3, s[10:11]
	s_lshl_b64 s[10:11], s[22:23], 4
	s_lshl_b64 s[22:23], s[42:43], 3
	s_delay_alu instid0(VALU_DEP_1) | instskip(NEXT) | instid1(VALU_DEP_4)
	v_add_nc_u64_e32 v[6:7], v[6:7], v[2:3]
	v_lshl_add_u64 v[10:11], s[18:19], 3, v[14:15]
	s_lshl_b64 s[18:19], s[24:25], 3
	s_branch .LBB16_3
.LBB16_2:                               ;   in Loop: Header=BB16_3 Depth=1
	s_add_co_i32 s2, s2, 0x10000
	s_delay_alu instid0(SALU_CYCLE_1)
	s_cmp_lt_i32 s2, s28
	s_cbranch_scc0 .LBB16_11
.LBB16_3:                               ; =>This Loop Header: Depth=1
                                        ;     Child Loop BB16_5 Depth 2
	s_wait_xcnt 0x0
	v_mov_b32_e32 v2, s2
	s_and_b32 vcc_lo, exec_lo, s0
	s_clause 0x1
	global_load_b64 v[12:13], v2, s[38:39] scale_offset
	global_load_b64 v[22:23], v2, s[20:21] scale_offset
	s_cbranch_vccnz .LBB16_6
; %bb.4:                                ;   in Loop: Header=BB16_3 Depth=1
	s_lshl_b64 s[24:25], s[2:3], 3
	v_mov_b64_e32 v[14:15], 0
	s_add_nc_u64 s[26:27], s[14:15], s[24:25]
	s_add_nc_u64 s[24:25], s[8:9], s[24:25]
	s_clause 0x1
	global_load_b64 v[20:21], v3, s[26:27]
	global_load_b64 v[26:27], v3, s[24:25]
	v_mov_b64_e32 v[16:17], 0
	v_mov_b64_e32 v[18:19], 0
	s_wait_xcnt 0x0
	s_mov_b64 s[24:25], 0
	s_wait_loadcnt 0x1
	v_add_nc_u64_e32 v[24:25], v[20:21], v[10:11]
	s_wait_loadcnt 0x0
	v_add_nc_u64_e32 v[26:27], v[26:27], v[6:7]
	v_mov_b64_e32 v[20:21], 0
.LBB16_5:                               ;   Parent Loop BB16_3 Depth=1
                                        ; =>  This Inner Loop Header: Depth=2
	flat_load_b64 v[32:33], v[26:27]
	s_add_nc_u64 s[24:25], s[24:25], 8
	s_wait_xcnt 0x0
	v_add_nc_u64_e32 v[26:27], 64, v[26:27]
	v_cmp_lt_i64_e64 s26, s[24:25], s[4:5]
	s_and_b32 vcc_lo, exec_lo, s26
	s_wait_loadcnt_dscnt 0x0
	ds_store_b64 v30, v[32:33]
	flat_load_b64 v[32:33], v[24:25]
	s_wait_xcnt 0x0
	v_add_nc_u64_e32 v[24:25], s[16:17], v[24:25]
	s_wait_loadcnt_dscnt 0x0
	ds_store_b64 v31, v[32:33]
	s_wait_dscnt 0x0
	s_barrier_signal -1
	s_barrier_wait -1
	ds_load_b128 v[32:35], v29
	ds_load_2addr_b64 v[36:39], v28 offset1:16
	ds_load_b128 v[40:43], v29 offset:1024
	ds_load_b128 v[44:47], v29 offset:16
	;; [unrolled: 1-line block ×3, first 2 shown]
	s_wait_dscnt 0x3
	v_fmac_f64_e32 v[20:21], v[36:37], v[32:33]
	v_fmac_f64_e32 v[18:19], v[38:39], v[32:33]
	s_wait_dscnt 0x2
	v_fmac_f64_e32 v[16:17], v[36:37], v[40:41]
	v_fmac_f64_e32 v[14:15], v[38:39], v[40:41]
	ds_load_2addr_b64 v[36:39], v28 offset0:32 offset1:48
	s_wait_dscnt 0x0
	v_fmac_f64_e32 v[20:21], v[36:37], v[34:35]
	v_fmac_f64_e32 v[18:19], v[38:39], v[34:35]
	v_fmac_f64_e32 v[16:17], v[36:37], v[42:43]
	v_fmac_f64_e32 v[14:15], v[38:39], v[42:43]
	ds_load_2addr_b64 v[32:35], v28 offset0:64 offset1:80
	s_wait_dscnt 0x0
	v_fmac_f64_e32 v[20:21], v[32:33], v[44:45]
	v_fmac_f64_e32 v[18:19], v[34:35], v[44:45]
	;; [unrolled: 6-line block ×3, first 2 shown]
	v_fmac_f64_e32 v[16:17], v[32:33], v[50:51]
	v_fmac_f64_e32 v[14:15], v[34:35], v[50:51]
	ds_load_b128 v[32:35], v29 offset:32
	ds_load_2addr_b64 v[36:39], v28 offset0:128 offset1:144
	ds_load_b128 v[40:43], v29 offset:1056
	ds_load_b128 v[44:47], v29 offset:48
	;; [unrolled: 1-line block ×3, first 2 shown]
	s_wait_dscnt 0x3
	v_fmac_f64_e32 v[20:21], v[36:37], v[32:33]
	v_fmac_f64_e32 v[18:19], v[38:39], v[32:33]
	s_wait_dscnt 0x2
	v_fmac_f64_e32 v[16:17], v[36:37], v[40:41]
	v_fmac_f64_e32 v[14:15], v[38:39], v[40:41]
	ds_load_2addr_b64 v[36:39], v28 offset0:160 offset1:176
	s_wait_dscnt 0x0
	v_fmac_f64_e32 v[20:21], v[36:37], v[34:35]
	v_fmac_f64_e32 v[18:19], v[38:39], v[34:35]
	;; [unrolled: 1-line block ×4, first 2 shown]
	ds_load_2addr_b64 v[32:35], v28 offset0:192 offset1:208
	s_wait_dscnt 0x0
	v_fmac_f64_e32 v[20:21], v[32:33], v[44:45]
	v_fmac_f64_e32 v[18:19], v[34:35], v[44:45]
	v_fmac_f64_e32 v[16:17], v[32:33], v[48:49]
	v_fmac_f64_e32 v[14:15], v[34:35], v[48:49]
	ds_load_2addr_b64 v[32:35], v28 offset0:224 offset1:240
	s_wait_dscnt 0x0
	s_barrier_signal -1
	s_barrier_wait -1
	v_fmac_f64_e32 v[20:21], v[32:33], v[46:47]
	v_fmac_f64_e32 v[18:19], v[34:35], v[46:47]
	;; [unrolled: 1-line block ×4, first 2 shown]
	s_cbranch_vccnz .LBB16_5
	s_branch .LBB16_7
.LBB16_6:                               ;   in Loop: Header=BB16_3 Depth=1
	v_mov_b64_e32 v[20:21], 0
	v_mov_b64_e32 v[18:19], 0
	v_mov_b64_e32 v[16:17], 0
	v_mov_b64_e32 v[14:15], 0
.LBB16_7:                               ;   in Loop: Header=BB16_3 Depth=1
	s_wait_loadcnt 0x0
	v_add_nc_u64_e32 v[22:23], s[18:19], v[22:23]
	s_and_not1_b32 vcc_lo, exec_lo, s1
	s_delay_alu instid0(VALU_DEP_1) | instskip(NEXT) | instid1(VALU_DEP_1)
	v_lshl_add_u64 v[22:23], v[0:1], 3, v[22:23]
	v_add_nc_u64_e32 v[24:25], v[22:23], v[8:9]
	v_lshl_add_u64 v[22:23], s[10:11], 3, v[22:23]
	s_cbranch_vccnz .LBB16_9
; %bb.8:                                ;   in Loop: Header=BB16_3 Depth=1
	v_mul_f64_e32 v[26:27], s[6:7], v[20:21]
	v_mul_f64_e32 v[32:33], s[6:7], v[18:19]
	;; [unrolled: 1-line block ×4, first 2 shown]
	v_add_nc_u64_e32 v[38:39], v[22:23], v[8:9]
	s_clause 0x3
	flat_store_b64 v[24:25], v[26:27]
	flat_store_b64 v[24:25], v[32:33] offset:128
	flat_store_b64 v[38:39], v[34:35]
	flat_store_b64 v[38:39], v[36:37] offset:128
	s_cbranch_execnz .LBB16_2
	s_branch .LBB16_10
.LBB16_9:                               ;   in Loop: Header=BB16_3 Depth=1
.LBB16_10:                              ;   in Loop: Header=BB16_3 Depth=1
	v_add_nc_u64_e32 v[12:13], s[22:23], v[12:13]
	s_delay_alu instid0(VALU_DEP_1) | instskip(SKIP_1) | instid1(VALU_DEP_1)
	v_lshl_add_u64 v[12:13], v[4:5], 3, v[12:13]
	s_wait_xcnt 0x3
	v_add_nc_u64_e32 v[26:27], v[12:13], v[8:9]
	v_lshl_add_u64 v[12:13], s[12:13], 3, v[12:13]
	s_delay_alu instid0(VALU_DEP_1) | instskip(SKIP_3) | instid1(VALU_DEP_1)
	v_add_nc_u64_e32 v[12:13], v[12:13], v[8:9]
	flat_load_b64 v[32:33], v[26:27]
	s_wait_loadcnt_dscnt 0x0
	v_mul_f64_e32 v[32:33], s[36:37], v[32:33]
	v_fmac_f64_e32 v[32:33], s[6:7], v[20:21]
	flat_store_b64 v[24:25], v[32:33]
	flat_load_b64 v[20:21], v[26:27] offset:128
	s_wait_loadcnt_dscnt 0x0
	v_mul_f64_e32 v[20:21], s[36:37], v[20:21]
	s_delay_alu instid0(VALU_DEP_1) | instskip(SKIP_4) | instid1(VALU_DEP_1)
	v_fmac_f64_e32 v[20:21], s[6:7], v[18:19]
	flat_store_b64 v[24:25], v[20:21] offset:128
	flat_load_b64 v[18:19], v[12:13]
	s_wait_loadcnt_dscnt 0x0
	v_mul_f64_e32 v[18:19], s[36:37], v[18:19]
	v_fmac_f64_e32 v[18:19], s[6:7], v[16:17]
	v_add_nc_u64_e32 v[16:17], v[22:23], v[8:9]
	flat_store_b64 v[16:17], v[18:19]
	flat_load_b64 v[12:13], v[12:13] offset:128
	s_wait_loadcnt_dscnt 0x0
	s_wait_xcnt 0x0
	v_mul_f64_e32 v[12:13], s[36:37], v[12:13]
	s_delay_alu instid0(VALU_DEP_1)
	v_fmac_f64_e32 v[12:13], s[6:7], v[14:15]
	flat_store_b64 v[16:17], v[12:13] offset:128
	s_branch .LBB16_2
.LBB16_11:
	s_endpgm
	.section	.rodata,"a",@progbits
	.p2align	6, 0x0
	.amdhsa_kernel _ZN12_GLOBAL__N_127rocblas_gemm_batched_kernelIdLi16ELi16ELi32ELi32ELi8ELi32ELi8ELi8ELi32ELc67ELc84EKPKdS3_KPdEEvlllT_PT11_llS8_llS6_PT12_llPT13_lli
		.amdhsa_group_segment_fixed_size 4096
		.amdhsa_private_segment_fixed_size 0
		.amdhsa_kernarg_size 140
		.amdhsa_user_sgpr_count 2
		.amdhsa_user_sgpr_dispatch_ptr 0
		.amdhsa_user_sgpr_queue_ptr 0
		.amdhsa_user_sgpr_kernarg_segment_ptr 1
		.amdhsa_user_sgpr_dispatch_id 0
		.amdhsa_user_sgpr_kernarg_preload_length 0
		.amdhsa_user_sgpr_kernarg_preload_offset 0
		.amdhsa_user_sgpr_private_segment_size 0
		.amdhsa_wavefront_size32 1
		.amdhsa_uses_dynamic_stack 0
		.amdhsa_enable_private_segment 0
		.amdhsa_system_sgpr_workgroup_id_x 1
		.amdhsa_system_sgpr_workgroup_id_y 1
		.amdhsa_system_sgpr_workgroup_id_z 1
		.amdhsa_system_sgpr_workgroup_info 0
		.amdhsa_system_vgpr_workitem_id 1
		.amdhsa_next_free_vgpr 52
		.amdhsa_next_free_sgpr 44
		.amdhsa_named_barrier_count 0
		.amdhsa_reserve_vcc 1
		.amdhsa_float_round_mode_32 0
		.amdhsa_float_round_mode_16_64 0
		.amdhsa_float_denorm_mode_32 3
		.amdhsa_float_denorm_mode_16_64 3
		.amdhsa_fp16_overflow 0
		.amdhsa_memory_ordered 1
		.amdhsa_forward_progress 1
		.amdhsa_inst_pref_size 11
		.amdhsa_round_robin_scheduling 0
		.amdhsa_exception_fp_ieee_invalid_op 0
		.amdhsa_exception_fp_denorm_src 0
		.amdhsa_exception_fp_ieee_div_zero 0
		.amdhsa_exception_fp_ieee_overflow 0
		.amdhsa_exception_fp_ieee_underflow 0
		.amdhsa_exception_fp_ieee_inexact 0
		.amdhsa_exception_int_div_zero 0
	.end_amdhsa_kernel
	.section	.text._ZN12_GLOBAL__N_127rocblas_gemm_batched_kernelIdLi16ELi16ELi32ELi32ELi8ELi32ELi8ELi8ELi32ELc67ELc84EKPKdS3_KPdEEvlllT_PT11_llS8_llS6_PT12_llPT13_lli,"axG",@progbits,_ZN12_GLOBAL__N_127rocblas_gemm_batched_kernelIdLi16ELi16ELi32ELi32ELi8ELi32ELi8ELi8ELi32ELc67ELc84EKPKdS3_KPdEEvlllT_PT11_llS8_llS6_PT12_llPT13_lli,comdat
.Lfunc_end16:
	.size	_ZN12_GLOBAL__N_127rocblas_gemm_batched_kernelIdLi16ELi16ELi32ELi32ELi8ELi32ELi8ELi8ELi32ELc67ELc84EKPKdS3_KPdEEvlllT_PT11_llS8_llS6_PT12_llPT13_lli, .Lfunc_end16-_ZN12_GLOBAL__N_127rocblas_gemm_batched_kernelIdLi16ELi16ELi32ELi32ELi8ELi32ELi8ELi8ELi32ELc67ELc84EKPKdS3_KPdEEvlllT_PT11_llS8_llS6_PT12_llPT13_lli
                                        ; -- End function
	.set _ZN12_GLOBAL__N_127rocblas_gemm_batched_kernelIdLi16ELi16ELi32ELi32ELi8ELi32ELi8ELi8ELi32ELc67ELc84EKPKdS3_KPdEEvlllT_PT11_llS8_llS6_PT12_llPT13_lli.num_vgpr, 52
	.set _ZN12_GLOBAL__N_127rocblas_gemm_batched_kernelIdLi16ELi16ELi32ELi32ELi8ELi32ELi8ELi8ELi32ELc67ELc84EKPKdS3_KPdEEvlllT_PT11_llS8_llS6_PT12_llPT13_lli.num_agpr, 0
	.set _ZN12_GLOBAL__N_127rocblas_gemm_batched_kernelIdLi16ELi16ELi32ELi32ELi8ELi32ELi8ELi8ELi32ELc67ELc84EKPKdS3_KPdEEvlllT_PT11_llS8_llS6_PT12_llPT13_lli.numbered_sgpr, 44
	.set _ZN12_GLOBAL__N_127rocblas_gemm_batched_kernelIdLi16ELi16ELi32ELi32ELi8ELi32ELi8ELi8ELi32ELc67ELc84EKPKdS3_KPdEEvlllT_PT11_llS8_llS6_PT12_llPT13_lli.num_named_barrier, 0
	.set _ZN12_GLOBAL__N_127rocblas_gemm_batched_kernelIdLi16ELi16ELi32ELi32ELi8ELi32ELi8ELi8ELi32ELc67ELc84EKPKdS3_KPdEEvlllT_PT11_llS8_llS6_PT12_llPT13_lli.private_seg_size, 0
	.set _ZN12_GLOBAL__N_127rocblas_gemm_batched_kernelIdLi16ELi16ELi32ELi32ELi8ELi32ELi8ELi8ELi32ELc67ELc84EKPKdS3_KPdEEvlllT_PT11_llS8_llS6_PT12_llPT13_lli.uses_vcc, 1
	.set _ZN12_GLOBAL__N_127rocblas_gemm_batched_kernelIdLi16ELi16ELi32ELi32ELi8ELi32ELi8ELi8ELi32ELc67ELc84EKPKdS3_KPdEEvlllT_PT11_llS8_llS6_PT12_llPT13_lli.uses_flat_scratch, 1
	.set _ZN12_GLOBAL__N_127rocblas_gemm_batched_kernelIdLi16ELi16ELi32ELi32ELi8ELi32ELi8ELi8ELi32ELc67ELc84EKPKdS3_KPdEEvlllT_PT11_llS8_llS6_PT12_llPT13_lli.has_dyn_sized_stack, 0
	.set _ZN12_GLOBAL__N_127rocblas_gemm_batched_kernelIdLi16ELi16ELi32ELi32ELi8ELi32ELi8ELi8ELi32ELc67ELc84EKPKdS3_KPdEEvlllT_PT11_llS8_llS6_PT12_llPT13_lli.has_recursion, 0
	.set _ZN12_GLOBAL__N_127rocblas_gemm_batched_kernelIdLi16ELi16ELi32ELi32ELi8ELi32ELi8ELi8ELi32ELc67ELc84EKPKdS3_KPdEEvlllT_PT11_llS8_llS6_PT12_llPT13_lli.has_indirect_call, 0
	.section	.AMDGPU.csdata,"",@progbits
; Kernel info:
; codeLenInByte = 1364
; TotalNumSgprs: 46
; NumVgprs: 52
; ScratchSize: 0
; MemoryBound: 0
; FloatMode: 240
; IeeeMode: 1
; LDSByteSize: 4096 bytes/workgroup (compile time only)
; SGPRBlocks: 0
; VGPRBlocks: 3
; NumSGPRsForWavesPerEU: 46
; NumVGPRsForWavesPerEU: 52
; NamedBarCnt: 0
; Occupancy: 16
; WaveLimiterHint : 1
; COMPUTE_PGM_RSRC2:SCRATCH_EN: 0
; COMPUTE_PGM_RSRC2:USER_SGPR: 2
; COMPUTE_PGM_RSRC2:TRAP_HANDLER: 0
; COMPUTE_PGM_RSRC2:TGID_X_EN: 1
; COMPUTE_PGM_RSRC2:TGID_Y_EN: 1
; COMPUTE_PGM_RSRC2:TGID_Z_EN: 1
; COMPUTE_PGM_RSRC2:TIDIG_COMP_CNT: 1
	.section	.text._ZN12_GLOBAL__N_127rocblas_gemm_batched_kernelIdLi16ELi16ELi32ELi32ELi8ELi32ELi8ELi8ELi32ELc78ELc67EKPKdS3_KPdEEvlllT_PT11_llS8_llS6_PT12_llPT13_lli,"axG",@progbits,_ZN12_GLOBAL__N_127rocblas_gemm_batched_kernelIdLi16ELi16ELi32ELi32ELi8ELi32ELi8ELi8ELi32ELc78ELc67EKPKdS3_KPdEEvlllT_PT11_llS8_llS6_PT12_llPT13_lli,comdat
	.globl	_ZN12_GLOBAL__N_127rocblas_gemm_batched_kernelIdLi16ELi16ELi32ELi32ELi8ELi32ELi8ELi8ELi32ELc78ELc67EKPKdS3_KPdEEvlllT_PT11_llS8_llS6_PT12_llPT13_lli ; -- Begin function _ZN12_GLOBAL__N_127rocblas_gemm_batched_kernelIdLi16ELi16ELi32ELi32ELi8ELi32ELi8ELi8ELi32ELc78ELc67EKPKdS3_KPdEEvlllT_PT11_llS8_llS6_PT12_llPT13_lli
	.p2align	8
	.type	_ZN12_GLOBAL__N_127rocblas_gemm_batched_kernelIdLi16ELi16ELi32ELi32ELi8ELi32ELi8ELi8ELi32ELc78ELc67EKPKdS3_KPdEEvlllT_PT11_llS8_llS6_PT12_llPT13_lli,@function
_ZN12_GLOBAL__N_127rocblas_gemm_batched_kernelIdLi16ELi16ELi32ELi32ELi8ELi32ELi8ELi8ELi32ELc78ELc67EKPKdS3_KPdEEvlllT_PT11_llS8_llS6_PT12_llPT13_lli: ; @_ZN12_GLOBAL__N_127rocblas_gemm_batched_kernelIdLi16ELi16ELi32ELi32ELi8ELi32ELi8ELi8ELi32ELc78ELc67EKPKdS3_KPdEEvlllT_PT11_llS8_llS6_PT12_llPT13_lli
; %bb.0:
	s_load_b32 s28, s[0:1], 0x88
	s_bfe_u32 s2, ttmp6, 0x40014
	s_lshr_b32 s3, ttmp7, 16
	s_add_co_i32 s2, s2, 1
	s_bfe_u32 s4, ttmp6, 0x40008
	s_mul_i32 s2, s3, s2
	s_getreg_b32 s29, hwreg(HW_REG_IB_STS2, 6, 4)
	s_add_co_i32 s4, s4, s2
	s_cmp_eq_u32 s29, 0
	s_cselect_b32 s2, s3, s4
	s_mov_b32 s3, 0
	s_wait_kmcnt 0x0
	s_cmp_ge_i32 s2, s28
	s_cbranch_scc1 .LBB17_11
; %bb.1:
	s_clause 0x2
	s_load_b512 s[4:19], s[0:1], 0x10
	s_load_b256 s[20:27], s[0:1], 0x70
	s_load_b256 s[36:43], s[0:1], 0x50
	v_bfe_u32 v2, v0, 10, 10
	v_and_b32_e32 v6, 0x3ff, v0
	s_wait_xcnt 0x0
	s_bfe_u32 s1, ttmp6, 0x4000c
	s_wait_kmcnt 0x0
	s_bfe_u32 s26, ttmp6, 0x40010
	s_add_co_i32 s1, s1, 1
	s_and_b32 s27, ttmp7, 0xffff
	s_add_co_i32 s26, s26, 1
	s_and_b32 s0, ttmp6, 15
	s_mul_i32 s1, ttmp9, s1
	s_mul_i32 s26, s27, s26
	s_bfe_u32 s30, ttmp6, 0x40004
	v_lshl_add_u32 v14, v2, 4, v6
	v_dual_mov_b32 v3, 0 :: v_dual_bitop2_b32 v15, 7, v0 bitop3:0x40
	s_add_co_i32 s0, s0, s1
	s_add_co_i32 s30, s30, s26
	s_cmp_eq_u32 s29, 0
	s_delay_alu instid0(VALU_DEP_1)
	v_dual_mov_b32 v9, v3 :: v_dual_lshrrev_b32 v8, 3, v14
	s_cselect_b32 s0, ttmp9, s0
	v_dual_mov_b32 v7, v3 :: v_dual_lshrrev_b32 v16, 5, v14
	s_cselect_b32 s29, s27, s30
	s_ashr_i32 s1, s0, 31
	v_mad_nc_u64_u32 v[10:11], s16, v15, v[8:9]
	s_lshl_b64 s[26:27], s[0:1], 5
	s_lshl_b32 s30, s29, 5
	s_mov_b32 s31, s3
	v_mad_nc_u64_u32 v[12:13], s10, v16, s[26:27]
	v_add_nc_u64_e32 v[4:5], s[30:31], v[2:3]
	v_cmp_eq_f64_e64 s1, s[36:37], 0
	v_dual_lshlrev_b32 v9, 3, v15 :: v_dual_bitop2_b32 v14, 31, v14 bitop3:0x40
	v_lshlrev_b32_e32 v28, 3, v6
	v_cmp_gt_i64_e64 s0, s[4:5], 0
	v_mad_u32 v11, s17, v15, v11
	v_mul_u64_e32 v[0:1], s[22:23], v[4:5]
	v_mul_u64_e32 v[4:5], s[40:41], v[4:5]
	v_mov_b32_e32 v15, v3
	v_mad_u32 v13, s11, v16, v13
	v_lshl_or_b32 v18, v8, 6, v9
	v_lshlrev_b32_e32 v17, 3, v14
	v_lshl_add_u32 v2, v2, 6, 0x800
	s_lshl_b64 s[22:23], s[22:23], 4
	s_lshl_b64 s[16:17], s[16:17], 6
	v_add_nc_u32_e32 v30, 0x800, v18
	v_add_nc_u64_e32 v[10:11], s[30:31], v[10:11]
	v_lshl_or_b32 v29, v16, 8, v17
	s_lshl_b64 s[10:11], s[10:11], 6
	v_add_nc_u64_e32 v[8:9], v[12:13], v[14:15]
	v_add_nc_u64_e32 v[12:13], s[26:27], v[6:7]
	v_cndmask_b32_e64 v14, 0, 1, s0
	v_lshlrev_b64_e32 v[6:7], 3, v[10:11]
	s_lshl_b64 s[26:27], s[40:41], 4
	s_delay_alu instid0(VALU_DEP_4) | instskip(NEXT) | instid1(VALU_DEP_4)
	v_lshlrev_b64_e32 v[10:11], 3, v[8:9]
	v_lshlrev_b64_e32 v[8:9], 3, v[12:13]
	v_cmp_ne_u32_e64 s0, 1, v14
	s_delay_alu instid0(VALU_DEP_4)
	v_lshl_add_u64 v[6:7], s[18:19], 3, v[6:7]
	s_lshl_b64 s[18:19], s[42:43], 3
	v_lshl_add_u64 v[10:11], s[12:13], 3, v[10:11]
	s_lshl_b64 s[12:13], s[24:25], 3
	s_branch .LBB17_3
.LBB17_2:                               ;   in Loop: Header=BB17_3 Depth=1
	s_add_co_i32 s2, s2, 0x10000
	s_delay_alu instid0(SALU_CYCLE_1)
	s_cmp_lt_i32 s2, s28
	s_cbranch_scc0 .LBB17_11
.LBB17_3:                               ; =>This Loop Header: Depth=1
                                        ;     Child Loop BB17_5 Depth 2
	v_mov_b32_e32 v14, s2
	s_and_b32 vcc_lo, exec_lo, s0
	s_clause 0x1
	global_load_b64 v[12:13], v14, s[38:39] scale_offset
	global_load_b64 v[22:23], v14, s[20:21] scale_offset
	s_cbranch_vccnz .LBB17_6
; %bb.4:                                ;   in Loop: Header=BB17_3 Depth=1
	s_lshl_b64 s[24:25], s[2:3], 3
	s_wait_xcnt 0x0
	v_mov_b64_e32 v[14:15], 0
	s_add_nc_u64 s[30:31], s[14:15], s[24:25]
	s_add_nc_u64 s[24:25], s[8:9], s[24:25]
	s_clause 0x1
	global_load_b64 v[20:21], v3, s[30:31]
	global_load_b64 v[26:27], v3, s[24:25]
	v_mov_b64_e32 v[16:17], 0
	v_mov_b64_e32 v[18:19], 0
	s_wait_xcnt 0x0
	s_mov_b64 s[24:25], 0
	s_wait_loadcnt 0x1
	v_add_nc_u64_e32 v[24:25], v[20:21], v[6:7]
	s_wait_loadcnt 0x0
	v_add_nc_u64_e32 v[26:27], v[26:27], v[10:11]
	v_mov_b64_e32 v[20:21], 0
.LBB17_5:                               ;   Parent Loop BB17_3 Depth=1
                                        ; =>  This Inner Loop Header: Depth=2
	flat_load_b64 v[32:33], v[26:27]
	s_add_nc_u64 s[24:25], s[24:25], 8
	s_wait_xcnt 0x0
	v_add_nc_u64_e32 v[26:27], s[10:11], v[26:27]
	v_cmp_lt_i64_e64 s29, s[24:25], s[4:5]
	s_and_b32 vcc_lo, exec_lo, s29
	s_wait_loadcnt_dscnt 0x0
	ds_store_b64 v29, v[32:33]
	flat_load_b64 v[32:33], v[24:25]
	s_wait_xcnt 0x0
	v_add_nc_u64_e32 v[24:25], s[16:17], v[24:25]
	s_wait_loadcnt_dscnt 0x0
	ds_store_b64 v30, v[32:33]
	s_wait_dscnt 0x0
	s_barrier_signal -1
	s_barrier_wait -1
	ds_load_b128 v[32:35], v2
	ds_load_2addr_b64 v[36:39], v28 offset1:16
	ds_load_b128 v[40:43], v2 offset:1024
	ds_load_b128 v[44:47], v2 offset:16
	;; [unrolled: 1-line block ×3, first 2 shown]
	s_wait_dscnt 0x3
	v_fmac_f64_e32 v[20:21], v[36:37], v[32:33]
	v_fmac_f64_e32 v[18:19], v[38:39], v[32:33]
	s_wait_dscnt 0x2
	v_fmac_f64_e32 v[16:17], v[36:37], v[40:41]
	v_fmac_f64_e32 v[14:15], v[38:39], v[40:41]
	ds_load_2addr_b64 v[36:39], v28 offset0:32 offset1:48
	s_wait_dscnt 0x0
	v_fmac_f64_e32 v[20:21], v[36:37], v[34:35]
	v_fmac_f64_e32 v[18:19], v[38:39], v[34:35]
	v_fmac_f64_e32 v[16:17], v[36:37], v[42:43]
	v_fmac_f64_e32 v[14:15], v[38:39], v[42:43]
	ds_load_2addr_b64 v[32:35], v28 offset0:64 offset1:80
	s_wait_dscnt 0x0
	v_fmac_f64_e32 v[20:21], v[32:33], v[44:45]
	v_fmac_f64_e32 v[18:19], v[34:35], v[44:45]
	;; [unrolled: 6-line block ×3, first 2 shown]
	v_fmac_f64_e32 v[16:17], v[32:33], v[50:51]
	v_fmac_f64_e32 v[14:15], v[34:35], v[50:51]
	ds_load_b128 v[32:35], v2 offset:32
	ds_load_2addr_b64 v[36:39], v28 offset0:128 offset1:144
	ds_load_b128 v[40:43], v2 offset:1056
	ds_load_b128 v[44:47], v2 offset:48
	;; [unrolled: 1-line block ×3, first 2 shown]
	s_wait_dscnt 0x3
	v_fmac_f64_e32 v[20:21], v[36:37], v[32:33]
	v_fmac_f64_e32 v[18:19], v[38:39], v[32:33]
	s_wait_dscnt 0x2
	v_fmac_f64_e32 v[16:17], v[36:37], v[40:41]
	v_fmac_f64_e32 v[14:15], v[38:39], v[40:41]
	ds_load_2addr_b64 v[36:39], v28 offset0:160 offset1:176
	s_wait_dscnt 0x0
	v_fmac_f64_e32 v[20:21], v[36:37], v[34:35]
	v_fmac_f64_e32 v[18:19], v[38:39], v[34:35]
	;; [unrolled: 1-line block ×4, first 2 shown]
	ds_load_2addr_b64 v[32:35], v28 offset0:192 offset1:208
	s_wait_dscnt 0x0
	v_fmac_f64_e32 v[20:21], v[32:33], v[44:45]
	v_fmac_f64_e32 v[18:19], v[34:35], v[44:45]
	;; [unrolled: 1-line block ×4, first 2 shown]
	ds_load_2addr_b64 v[32:35], v28 offset0:224 offset1:240
	s_wait_dscnt 0x0
	s_barrier_signal -1
	s_barrier_wait -1
	v_fmac_f64_e32 v[20:21], v[32:33], v[46:47]
	v_fmac_f64_e32 v[18:19], v[34:35], v[46:47]
	;; [unrolled: 1-line block ×4, first 2 shown]
	s_cbranch_vccnz .LBB17_5
	s_branch .LBB17_7
.LBB17_6:                               ;   in Loop: Header=BB17_3 Depth=1
	v_mov_b64_e32 v[20:21], 0
	v_mov_b64_e32 v[18:19], 0
	;; [unrolled: 1-line block ×3, first 2 shown]
	s_wait_xcnt 0x0
	v_mov_b64_e32 v[14:15], 0
.LBB17_7:                               ;   in Loop: Header=BB17_3 Depth=1
	s_wait_loadcnt 0x0
	v_add_nc_u64_e32 v[22:23], s[12:13], v[22:23]
	s_and_not1_b32 vcc_lo, exec_lo, s1
	s_delay_alu instid0(VALU_DEP_1) | instskip(NEXT) | instid1(VALU_DEP_1)
	v_lshl_add_u64 v[22:23], v[0:1], 3, v[22:23]
	v_add_nc_u64_e32 v[24:25], v[22:23], v[8:9]
	v_lshl_add_u64 v[22:23], s[22:23], 3, v[22:23]
	s_cbranch_vccnz .LBB17_9
; %bb.8:                                ;   in Loop: Header=BB17_3 Depth=1
	v_mul_f64_e32 v[26:27], s[6:7], v[20:21]
	v_mul_f64_e32 v[32:33], s[6:7], v[18:19]
	;; [unrolled: 1-line block ×4, first 2 shown]
	v_add_nc_u64_e32 v[38:39], v[22:23], v[8:9]
	s_clause 0x3
	flat_store_b64 v[24:25], v[26:27]
	flat_store_b64 v[24:25], v[32:33] offset:128
	flat_store_b64 v[38:39], v[34:35]
	flat_store_b64 v[38:39], v[36:37] offset:128
	s_cbranch_execnz .LBB17_2
	s_branch .LBB17_10
.LBB17_9:                               ;   in Loop: Header=BB17_3 Depth=1
.LBB17_10:                              ;   in Loop: Header=BB17_3 Depth=1
	v_add_nc_u64_e32 v[12:13], s[18:19], v[12:13]
	s_delay_alu instid0(VALU_DEP_1) | instskip(SKIP_1) | instid1(VALU_DEP_1)
	v_lshl_add_u64 v[12:13], v[4:5], 3, v[12:13]
	s_wait_xcnt 0x3
	v_add_nc_u64_e32 v[26:27], v[12:13], v[8:9]
	v_lshl_add_u64 v[12:13], s[26:27], 3, v[12:13]
	s_delay_alu instid0(VALU_DEP_1) | instskip(SKIP_3) | instid1(VALU_DEP_1)
	v_add_nc_u64_e32 v[12:13], v[12:13], v[8:9]
	flat_load_b64 v[32:33], v[26:27]
	s_wait_loadcnt_dscnt 0x0
	v_mul_f64_e32 v[32:33], s[36:37], v[32:33]
	v_fmac_f64_e32 v[32:33], s[6:7], v[20:21]
	flat_store_b64 v[24:25], v[32:33]
	flat_load_b64 v[20:21], v[26:27] offset:128
	s_wait_loadcnt_dscnt 0x0
	v_mul_f64_e32 v[20:21], s[36:37], v[20:21]
	s_delay_alu instid0(VALU_DEP_1) | instskip(SKIP_4) | instid1(VALU_DEP_1)
	v_fmac_f64_e32 v[20:21], s[6:7], v[18:19]
	flat_store_b64 v[24:25], v[20:21] offset:128
	flat_load_b64 v[18:19], v[12:13]
	s_wait_loadcnt_dscnt 0x0
	v_mul_f64_e32 v[18:19], s[36:37], v[18:19]
	v_fmac_f64_e32 v[18:19], s[6:7], v[16:17]
	v_add_nc_u64_e32 v[16:17], v[22:23], v[8:9]
	flat_store_b64 v[16:17], v[18:19]
	flat_load_b64 v[12:13], v[12:13] offset:128
	s_wait_loadcnt_dscnt 0x0
	s_wait_xcnt 0x0
	v_mul_f64_e32 v[12:13], s[36:37], v[12:13]
	s_delay_alu instid0(VALU_DEP_1)
	v_fmac_f64_e32 v[12:13], s[6:7], v[14:15]
	flat_store_b64 v[16:17], v[12:13] offset:128
	s_branch .LBB17_2
.LBB17_11:
	s_endpgm
	.section	.rodata,"a",@progbits
	.p2align	6, 0x0
	.amdhsa_kernel _ZN12_GLOBAL__N_127rocblas_gemm_batched_kernelIdLi16ELi16ELi32ELi32ELi8ELi32ELi8ELi8ELi32ELc78ELc67EKPKdS3_KPdEEvlllT_PT11_llS8_llS6_PT12_llPT13_lli
		.amdhsa_group_segment_fixed_size 4096
		.amdhsa_private_segment_fixed_size 0
		.amdhsa_kernarg_size 140
		.amdhsa_user_sgpr_count 2
		.amdhsa_user_sgpr_dispatch_ptr 0
		.amdhsa_user_sgpr_queue_ptr 0
		.amdhsa_user_sgpr_kernarg_segment_ptr 1
		.amdhsa_user_sgpr_dispatch_id 0
		.amdhsa_user_sgpr_kernarg_preload_length 0
		.amdhsa_user_sgpr_kernarg_preload_offset 0
		.amdhsa_user_sgpr_private_segment_size 0
		.amdhsa_wavefront_size32 1
		.amdhsa_uses_dynamic_stack 0
		.amdhsa_enable_private_segment 0
		.amdhsa_system_sgpr_workgroup_id_x 1
		.amdhsa_system_sgpr_workgroup_id_y 1
		.amdhsa_system_sgpr_workgroup_id_z 1
		.amdhsa_system_sgpr_workgroup_info 0
		.amdhsa_system_vgpr_workitem_id 1
		.amdhsa_next_free_vgpr 52
		.amdhsa_next_free_sgpr 44
		.amdhsa_named_barrier_count 0
		.amdhsa_reserve_vcc 1
		.amdhsa_float_round_mode_32 0
		.amdhsa_float_round_mode_16_64 0
		.amdhsa_float_denorm_mode_32 3
		.amdhsa_float_denorm_mode_16_64 3
		.amdhsa_fp16_overflow 0
		.amdhsa_memory_ordered 1
		.amdhsa_forward_progress 1
		.amdhsa_inst_pref_size 11
		.amdhsa_round_robin_scheduling 0
		.amdhsa_exception_fp_ieee_invalid_op 0
		.amdhsa_exception_fp_denorm_src 0
		.amdhsa_exception_fp_ieee_div_zero 0
		.amdhsa_exception_fp_ieee_overflow 0
		.amdhsa_exception_fp_ieee_underflow 0
		.amdhsa_exception_fp_ieee_inexact 0
		.amdhsa_exception_int_div_zero 0
	.end_amdhsa_kernel
	.section	.text._ZN12_GLOBAL__N_127rocblas_gemm_batched_kernelIdLi16ELi16ELi32ELi32ELi8ELi32ELi8ELi8ELi32ELc78ELc67EKPKdS3_KPdEEvlllT_PT11_llS8_llS6_PT12_llPT13_lli,"axG",@progbits,_ZN12_GLOBAL__N_127rocblas_gemm_batched_kernelIdLi16ELi16ELi32ELi32ELi8ELi32ELi8ELi8ELi32ELc78ELc67EKPKdS3_KPdEEvlllT_PT11_llS8_llS6_PT12_llPT13_lli,comdat
.Lfunc_end17:
	.size	_ZN12_GLOBAL__N_127rocblas_gemm_batched_kernelIdLi16ELi16ELi32ELi32ELi8ELi32ELi8ELi8ELi32ELc78ELc67EKPKdS3_KPdEEvlllT_PT11_llS8_llS6_PT12_llPT13_lli, .Lfunc_end17-_ZN12_GLOBAL__N_127rocblas_gemm_batched_kernelIdLi16ELi16ELi32ELi32ELi8ELi32ELi8ELi8ELi32ELc78ELc67EKPKdS3_KPdEEvlllT_PT11_llS8_llS6_PT12_llPT13_lli
                                        ; -- End function
	.set _ZN12_GLOBAL__N_127rocblas_gemm_batched_kernelIdLi16ELi16ELi32ELi32ELi8ELi32ELi8ELi8ELi32ELc78ELc67EKPKdS3_KPdEEvlllT_PT11_llS8_llS6_PT12_llPT13_lli.num_vgpr, 52
	.set _ZN12_GLOBAL__N_127rocblas_gemm_batched_kernelIdLi16ELi16ELi32ELi32ELi8ELi32ELi8ELi8ELi32ELc78ELc67EKPKdS3_KPdEEvlllT_PT11_llS8_llS6_PT12_llPT13_lli.num_agpr, 0
	.set _ZN12_GLOBAL__N_127rocblas_gemm_batched_kernelIdLi16ELi16ELi32ELi32ELi8ELi32ELi8ELi8ELi32ELc78ELc67EKPKdS3_KPdEEvlllT_PT11_llS8_llS6_PT12_llPT13_lli.numbered_sgpr, 44
	.set _ZN12_GLOBAL__N_127rocblas_gemm_batched_kernelIdLi16ELi16ELi32ELi32ELi8ELi32ELi8ELi8ELi32ELc78ELc67EKPKdS3_KPdEEvlllT_PT11_llS8_llS6_PT12_llPT13_lli.num_named_barrier, 0
	.set _ZN12_GLOBAL__N_127rocblas_gemm_batched_kernelIdLi16ELi16ELi32ELi32ELi8ELi32ELi8ELi8ELi32ELc78ELc67EKPKdS3_KPdEEvlllT_PT11_llS8_llS6_PT12_llPT13_lli.private_seg_size, 0
	.set _ZN12_GLOBAL__N_127rocblas_gemm_batched_kernelIdLi16ELi16ELi32ELi32ELi8ELi32ELi8ELi8ELi32ELc78ELc67EKPKdS3_KPdEEvlllT_PT11_llS8_llS6_PT12_llPT13_lli.uses_vcc, 1
	.set _ZN12_GLOBAL__N_127rocblas_gemm_batched_kernelIdLi16ELi16ELi32ELi32ELi8ELi32ELi8ELi8ELi32ELc78ELc67EKPKdS3_KPdEEvlllT_PT11_llS8_llS6_PT12_llPT13_lli.uses_flat_scratch, 1
	.set _ZN12_GLOBAL__N_127rocblas_gemm_batched_kernelIdLi16ELi16ELi32ELi32ELi8ELi32ELi8ELi8ELi32ELc78ELc67EKPKdS3_KPdEEvlllT_PT11_llS8_llS6_PT12_llPT13_lli.has_dyn_sized_stack, 0
	.set _ZN12_GLOBAL__N_127rocblas_gemm_batched_kernelIdLi16ELi16ELi32ELi32ELi8ELi32ELi8ELi8ELi32ELc78ELc67EKPKdS3_KPdEEvlllT_PT11_llS8_llS6_PT12_llPT13_lli.has_recursion, 0
	.set _ZN12_GLOBAL__N_127rocblas_gemm_batched_kernelIdLi16ELi16ELi32ELi32ELi8ELi32ELi8ELi8ELi32ELc78ELc67EKPKdS3_KPdEEvlllT_PT11_llS8_llS6_PT12_llPT13_lli.has_indirect_call, 0
	.section	.AMDGPU.csdata,"",@progbits
; Kernel info:
; codeLenInByte = 1356
; TotalNumSgprs: 46
; NumVgprs: 52
; ScratchSize: 0
; MemoryBound: 0
; FloatMode: 240
; IeeeMode: 1
; LDSByteSize: 4096 bytes/workgroup (compile time only)
; SGPRBlocks: 0
; VGPRBlocks: 3
; NumSGPRsForWavesPerEU: 46
; NumVGPRsForWavesPerEU: 52
; NamedBarCnt: 0
; Occupancy: 16
; WaveLimiterHint : 1
; COMPUTE_PGM_RSRC2:SCRATCH_EN: 0
; COMPUTE_PGM_RSRC2:USER_SGPR: 2
; COMPUTE_PGM_RSRC2:TRAP_HANDLER: 0
; COMPUTE_PGM_RSRC2:TGID_X_EN: 1
; COMPUTE_PGM_RSRC2:TGID_Y_EN: 1
; COMPUTE_PGM_RSRC2:TGID_Z_EN: 1
; COMPUTE_PGM_RSRC2:TIDIG_COMP_CNT: 1
	.section	.text._ZN12_GLOBAL__N_127rocblas_gemm_batched_kernelIdLi16ELi16ELi32ELi32ELi8ELi32ELi8ELi8ELi32ELc84ELc67EKPKdS3_KPdEEvlllT_PT11_llS8_llS6_PT12_llPT13_lli,"axG",@progbits,_ZN12_GLOBAL__N_127rocblas_gemm_batched_kernelIdLi16ELi16ELi32ELi32ELi8ELi32ELi8ELi8ELi32ELc84ELc67EKPKdS3_KPdEEvlllT_PT11_llS8_llS6_PT12_llPT13_lli,comdat
	.globl	_ZN12_GLOBAL__N_127rocblas_gemm_batched_kernelIdLi16ELi16ELi32ELi32ELi8ELi32ELi8ELi8ELi32ELc84ELc67EKPKdS3_KPdEEvlllT_PT11_llS8_llS6_PT12_llPT13_lli ; -- Begin function _ZN12_GLOBAL__N_127rocblas_gemm_batched_kernelIdLi16ELi16ELi32ELi32ELi8ELi32ELi8ELi8ELi32ELc84ELc67EKPKdS3_KPdEEvlllT_PT11_llS8_llS6_PT12_llPT13_lli
	.p2align	8
	.type	_ZN12_GLOBAL__N_127rocblas_gemm_batched_kernelIdLi16ELi16ELi32ELi32ELi8ELi32ELi8ELi8ELi32ELc84ELc67EKPKdS3_KPdEEvlllT_PT11_llS8_llS6_PT12_llPT13_lli,@function
_ZN12_GLOBAL__N_127rocblas_gemm_batched_kernelIdLi16ELi16ELi32ELi32ELi8ELi32ELi8ELi8ELi32ELc84ELc67EKPKdS3_KPdEEvlllT_PT11_llS8_llS6_PT12_llPT13_lli: ; @_ZN12_GLOBAL__N_127rocblas_gemm_batched_kernelIdLi16ELi16ELi32ELi32ELi8ELi32ELi8ELi8ELi32ELc84ELc67EKPKdS3_KPdEEvlllT_PT11_llS8_llS6_PT12_llPT13_lli
; %bb.0:
	s_load_b32 s28, s[0:1], 0x88
	s_bfe_u32 s2, ttmp6, 0x40014
	s_lshr_b32 s3, ttmp7, 16
	s_add_co_i32 s2, s2, 1
	s_bfe_u32 s4, ttmp6, 0x40008
	s_mul_i32 s2, s3, s2
	s_getreg_b32 s29, hwreg(HW_REG_IB_STS2, 6, 4)
	s_add_co_i32 s4, s4, s2
	s_cmp_eq_u32 s29, 0
	s_cselect_b32 s2, s3, s4
	s_mov_b32 s3, 0
	s_wait_kmcnt 0x0
	s_cmp_ge_i32 s2, s28
	s_cbranch_scc1 .LBB18_11
; %bb.1:
	s_clause 0x2
	s_load_b512 s[4:19], s[0:1], 0x10
	s_load_b256 s[20:27], s[0:1], 0x70
	s_load_b256 s[36:43], s[0:1], 0x50
	v_bfe_u32 v2, v0, 10, 10
	v_and_b32_e32 v6, 0x3ff, v0
	s_wait_xcnt 0x0
	s_bfe_u32 s0, ttmp6, 0x4000c
	s_wait_kmcnt 0x0
	s_bfe_u32 s26, ttmp6, 0x40010
	s_add_co_i32 s0, s0, 1
	s_and_b32 s27, ttmp7, 0xffff
	s_add_co_i32 s26, s26, 1
	s_and_b32 s1, ttmp6, 15
	s_mul_i32 s0, ttmp9, s0
	s_mul_i32 s26, s27, s26
	s_bfe_u32 s30, ttmp6, 0x40004
	v_lshl_add_u32 v14, v2, 4, v6
	s_add_co_i32 s1, s1, s0
	s_add_co_i32 s30, s30, s26
	s_cmp_eq_u32 s29, 0
	s_delay_alu instid0(VALU_DEP_1)
	v_dual_mov_b32 v3, 0 :: v_dual_bitop2_b32 v15, 31, v14 bitop3:0x40
	s_cselect_b32 s0, ttmp9, s1
	s_cselect_b32 s29, s27, s30
	s_ashr_i32 s1, s0, 31
	v_lshrrev_b32_e32 v8, 3, v14
	s_lshl_b64 s[26:27], s[0:1], 5
	s_delay_alu instid0(SALU_CYCLE_1) | instskip(SKIP_4) | instid1(VALU_DEP_2)
	v_dual_mov_b32 v1, s27 :: v_dual_bitop2_b32 v7, 7, v0 bitop3:0x40
	v_dual_mov_b32 v9, v3 :: v_dual_bitop2_b32 v0, s26, v15 bitop3:0x54
	s_lshl_b32 s30, s29, 5
	s_mov_b32 s31, s3
	v_cmp_eq_f64_e64 s1, s[36:37], 0
	v_mul_u64_e32 v[10:11], s[10:11], v[0:1]
	v_mad_nc_u64_u32 v[12:13], s16, v7, v[8:9]
	v_add_nc_u64_e32 v[4:5], s[30:31], v[2:3]
	v_dual_lshlrev_b32 v9, 3, v7 :: v_dual_lshlrev_b32 v28, 3, v6
	v_dual_lshrrev_b32 v14, 5, v14 :: v_dual_lshlrev_b32 v15, 3, v15
	v_cmp_gt_i64_e64 s0, s[4:5], 0
	s_delay_alu instid0(VALU_DEP_3)
	v_lshl_or_b32 v16, v8, 6, v9
	v_mul_u64_e32 v[0:1], s[22:23], v[4:5]
	v_mul_u64_e32 v[4:5], s[40:41], v[4:5]
	s_lshl_b64 s[10:11], s[12:13], 3
	v_mad_u32 v13, s17, v7, v13
	v_mov_b32_e32 v7, v3
	v_lshl_add_u32 v29, v2, 6, 0x800
	v_lshlrev_b32_e32 v2, 3, v14
	v_lshl_or_b32 v30, v14, 8, v15
	v_add_nc_u32_e32 v31, 0x800, v16
	v_cndmask_b32_e64 v16, 0, 1, s0
	s_lshl_b64 s[12:13], s[40:41], 4
	s_lshl_b64 s[16:17], s[16:17], 6
	v_add_nc_u64_e32 v[8:9], s[30:31], v[12:13]
	v_add_nc_u64_e32 v[12:13], s[26:27], v[6:7]
	v_cmp_ne_u32_e64 s0, 1, v16
	s_delay_alu instid0(VALU_DEP_3) | instskip(NEXT) | instid1(VALU_DEP_3)
	v_lshlrev_b64_e32 v[14:15], 3, v[8:9]
	v_lshlrev_b64_e32 v[8:9], 3, v[12:13]
	v_lshl_add_u64 v[6:7], v[10:11], 3, s[10:11]
	s_lshl_b64 s[10:11], s[22:23], 4
	s_lshl_b64 s[22:23], s[42:43], 3
	s_delay_alu instid0(VALU_DEP_1) | instskip(NEXT) | instid1(VALU_DEP_4)
	v_add_nc_u64_e32 v[6:7], v[6:7], v[2:3]
	v_lshl_add_u64 v[10:11], s[18:19], 3, v[14:15]
	s_lshl_b64 s[18:19], s[24:25], 3
	s_branch .LBB18_3
.LBB18_2:                               ;   in Loop: Header=BB18_3 Depth=1
	s_add_co_i32 s2, s2, 0x10000
	s_delay_alu instid0(SALU_CYCLE_1)
	s_cmp_lt_i32 s2, s28
	s_cbranch_scc0 .LBB18_11
.LBB18_3:                               ; =>This Loop Header: Depth=1
                                        ;     Child Loop BB18_5 Depth 2
	s_wait_xcnt 0x0
	v_mov_b32_e32 v2, s2
	s_and_b32 vcc_lo, exec_lo, s0
	s_clause 0x1
	global_load_b64 v[12:13], v2, s[38:39] scale_offset
	global_load_b64 v[22:23], v2, s[20:21] scale_offset
	s_cbranch_vccnz .LBB18_6
; %bb.4:                                ;   in Loop: Header=BB18_3 Depth=1
	s_lshl_b64 s[24:25], s[2:3], 3
	v_mov_b64_e32 v[14:15], 0
	s_add_nc_u64 s[26:27], s[14:15], s[24:25]
	s_add_nc_u64 s[24:25], s[8:9], s[24:25]
	s_clause 0x1
	global_load_b64 v[20:21], v3, s[26:27]
	global_load_b64 v[26:27], v3, s[24:25]
	v_mov_b64_e32 v[16:17], 0
	v_mov_b64_e32 v[18:19], 0
	s_wait_xcnt 0x0
	s_mov_b64 s[24:25], 0
	s_wait_loadcnt 0x1
	v_add_nc_u64_e32 v[24:25], v[20:21], v[10:11]
	s_wait_loadcnt 0x0
	v_add_nc_u64_e32 v[26:27], v[26:27], v[6:7]
	v_mov_b64_e32 v[20:21], 0
.LBB18_5:                               ;   Parent Loop BB18_3 Depth=1
                                        ; =>  This Inner Loop Header: Depth=2
	flat_load_b64 v[32:33], v[26:27]
	s_add_nc_u64 s[24:25], s[24:25], 8
	s_wait_xcnt 0x0
	v_add_nc_u64_e32 v[26:27], 64, v[26:27]
	v_cmp_lt_i64_e64 s26, s[24:25], s[4:5]
	s_and_b32 vcc_lo, exec_lo, s26
	s_wait_loadcnt_dscnt 0x0
	ds_store_b64 v30, v[32:33]
	flat_load_b64 v[32:33], v[24:25]
	s_wait_xcnt 0x0
	v_add_nc_u64_e32 v[24:25], s[16:17], v[24:25]
	s_wait_loadcnt_dscnt 0x0
	ds_store_b64 v31, v[32:33]
	s_wait_dscnt 0x0
	s_barrier_signal -1
	s_barrier_wait -1
	ds_load_b128 v[32:35], v29
	ds_load_2addr_b64 v[36:39], v28 offset1:16
	ds_load_b128 v[40:43], v29 offset:1024
	ds_load_b128 v[44:47], v29 offset:16
	;; [unrolled: 1-line block ×3, first 2 shown]
	s_wait_dscnt 0x3
	v_fmac_f64_e32 v[20:21], v[36:37], v[32:33]
	v_fmac_f64_e32 v[18:19], v[38:39], v[32:33]
	s_wait_dscnt 0x2
	v_fmac_f64_e32 v[16:17], v[36:37], v[40:41]
	v_fmac_f64_e32 v[14:15], v[38:39], v[40:41]
	ds_load_2addr_b64 v[36:39], v28 offset0:32 offset1:48
	s_wait_dscnt 0x0
	v_fmac_f64_e32 v[20:21], v[36:37], v[34:35]
	v_fmac_f64_e32 v[18:19], v[38:39], v[34:35]
	v_fmac_f64_e32 v[16:17], v[36:37], v[42:43]
	v_fmac_f64_e32 v[14:15], v[38:39], v[42:43]
	ds_load_2addr_b64 v[32:35], v28 offset0:64 offset1:80
	s_wait_dscnt 0x0
	v_fmac_f64_e32 v[20:21], v[32:33], v[44:45]
	v_fmac_f64_e32 v[18:19], v[34:35], v[44:45]
	;; [unrolled: 6-line block ×3, first 2 shown]
	v_fmac_f64_e32 v[16:17], v[32:33], v[50:51]
	v_fmac_f64_e32 v[14:15], v[34:35], v[50:51]
	ds_load_b128 v[32:35], v29 offset:32
	ds_load_2addr_b64 v[36:39], v28 offset0:128 offset1:144
	ds_load_b128 v[40:43], v29 offset:1056
	ds_load_b128 v[44:47], v29 offset:48
	;; [unrolled: 1-line block ×3, first 2 shown]
	s_wait_dscnt 0x3
	v_fmac_f64_e32 v[20:21], v[36:37], v[32:33]
	v_fmac_f64_e32 v[18:19], v[38:39], v[32:33]
	s_wait_dscnt 0x2
	v_fmac_f64_e32 v[16:17], v[36:37], v[40:41]
	v_fmac_f64_e32 v[14:15], v[38:39], v[40:41]
	ds_load_2addr_b64 v[36:39], v28 offset0:160 offset1:176
	s_wait_dscnt 0x0
	v_fmac_f64_e32 v[20:21], v[36:37], v[34:35]
	v_fmac_f64_e32 v[18:19], v[38:39], v[34:35]
	;; [unrolled: 1-line block ×4, first 2 shown]
	ds_load_2addr_b64 v[32:35], v28 offset0:192 offset1:208
	s_wait_dscnt 0x0
	v_fmac_f64_e32 v[20:21], v[32:33], v[44:45]
	v_fmac_f64_e32 v[18:19], v[34:35], v[44:45]
	;; [unrolled: 1-line block ×4, first 2 shown]
	ds_load_2addr_b64 v[32:35], v28 offset0:224 offset1:240
	s_wait_dscnt 0x0
	s_barrier_signal -1
	s_barrier_wait -1
	v_fmac_f64_e32 v[20:21], v[32:33], v[46:47]
	v_fmac_f64_e32 v[18:19], v[34:35], v[46:47]
	;; [unrolled: 1-line block ×4, first 2 shown]
	s_cbranch_vccnz .LBB18_5
	s_branch .LBB18_7
.LBB18_6:                               ;   in Loop: Header=BB18_3 Depth=1
	v_mov_b64_e32 v[20:21], 0
	v_mov_b64_e32 v[18:19], 0
	;; [unrolled: 1-line block ×4, first 2 shown]
.LBB18_7:                               ;   in Loop: Header=BB18_3 Depth=1
	s_wait_loadcnt 0x0
	v_add_nc_u64_e32 v[22:23], s[18:19], v[22:23]
	s_and_not1_b32 vcc_lo, exec_lo, s1
	s_delay_alu instid0(VALU_DEP_1) | instskip(NEXT) | instid1(VALU_DEP_1)
	v_lshl_add_u64 v[22:23], v[0:1], 3, v[22:23]
	v_add_nc_u64_e32 v[24:25], v[22:23], v[8:9]
	v_lshl_add_u64 v[22:23], s[10:11], 3, v[22:23]
	s_cbranch_vccnz .LBB18_9
; %bb.8:                                ;   in Loop: Header=BB18_3 Depth=1
	v_mul_f64_e32 v[26:27], s[6:7], v[20:21]
	v_mul_f64_e32 v[32:33], s[6:7], v[18:19]
	;; [unrolled: 1-line block ×4, first 2 shown]
	v_add_nc_u64_e32 v[38:39], v[22:23], v[8:9]
	s_clause 0x3
	flat_store_b64 v[24:25], v[26:27]
	flat_store_b64 v[24:25], v[32:33] offset:128
	flat_store_b64 v[38:39], v[34:35]
	flat_store_b64 v[38:39], v[36:37] offset:128
	s_cbranch_execnz .LBB18_2
	s_branch .LBB18_10
.LBB18_9:                               ;   in Loop: Header=BB18_3 Depth=1
.LBB18_10:                              ;   in Loop: Header=BB18_3 Depth=1
	v_add_nc_u64_e32 v[12:13], s[22:23], v[12:13]
	s_delay_alu instid0(VALU_DEP_1) | instskip(SKIP_1) | instid1(VALU_DEP_1)
	v_lshl_add_u64 v[12:13], v[4:5], 3, v[12:13]
	s_wait_xcnt 0x3
	v_add_nc_u64_e32 v[26:27], v[12:13], v[8:9]
	v_lshl_add_u64 v[12:13], s[12:13], 3, v[12:13]
	s_delay_alu instid0(VALU_DEP_1) | instskip(SKIP_3) | instid1(VALU_DEP_1)
	v_add_nc_u64_e32 v[12:13], v[12:13], v[8:9]
	flat_load_b64 v[32:33], v[26:27]
	s_wait_loadcnt_dscnt 0x0
	v_mul_f64_e32 v[32:33], s[36:37], v[32:33]
	v_fmac_f64_e32 v[32:33], s[6:7], v[20:21]
	flat_store_b64 v[24:25], v[32:33]
	flat_load_b64 v[20:21], v[26:27] offset:128
	s_wait_loadcnt_dscnt 0x0
	v_mul_f64_e32 v[20:21], s[36:37], v[20:21]
	s_delay_alu instid0(VALU_DEP_1) | instskip(SKIP_4) | instid1(VALU_DEP_1)
	v_fmac_f64_e32 v[20:21], s[6:7], v[18:19]
	flat_store_b64 v[24:25], v[20:21] offset:128
	flat_load_b64 v[18:19], v[12:13]
	s_wait_loadcnt_dscnt 0x0
	v_mul_f64_e32 v[18:19], s[36:37], v[18:19]
	v_fmac_f64_e32 v[18:19], s[6:7], v[16:17]
	v_add_nc_u64_e32 v[16:17], v[22:23], v[8:9]
	flat_store_b64 v[16:17], v[18:19]
	flat_load_b64 v[12:13], v[12:13] offset:128
	s_wait_loadcnt_dscnt 0x0
	s_wait_xcnt 0x0
	v_mul_f64_e32 v[12:13], s[36:37], v[12:13]
	s_delay_alu instid0(VALU_DEP_1)
	v_fmac_f64_e32 v[12:13], s[6:7], v[14:15]
	flat_store_b64 v[16:17], v[12:13] offset:128
	s_branch .LBB18_2
.LBB18_11:
	s_endpgm
	.section	.rodata,"a",@progbits
	.p2align	6, 0x0
	.amdhsa_kernel _ZN12_GLOBAL__N_127rocblas_gemm_batched_kernelIdLi16ELi16ELi32ELi32ELi8ELi32ELi8ELi8ELi32ELc84ELc67EKPKdS3_KPdEEvlllT_PT11_llS8_llS6_PT12_llPT13_lli
		.amdhsa_group_segment_fixed_size 4096
		.amdhsa_private_segment_fixed_size 0
		.amdhsa_kernarg_size 140
		.amdhsa_user_sgpr_count 2
		.amdhsa_user_sgpr_dispatch_ptr 0
		.amdhsa_user_sgpr_queue_ptr 0
		.amdhsa_user_sgpr_kernarg_segment_ptr 1
		.amdhsa_user_sgpr_dispatch_id 0
		.amdhsa_user_sgpr_kernarg_preload_length 0
		.amdhsa_user_sgpr_kernarg_preload_offset 0
		.amdhsa_user_sgpr_private_segment_size 0
		.amdhsa_wavefront_size32 1
		.amdhsa_uses_dynamic_stack 0
		.amdhsa_enable_private_segment 0
		.amdhsa_system_sgpr_workgroup_id_x 1
		.amdhsa_system_sgpr_workgroup_id_y 1
		.amdhsa_system_sgpr_workgroup_id_z 1
		.amdhsa_system_sgpr_workgroup_info 0
		.amdhsa_system_vgpr_workitem_id 1
		.amdhsa_next_free_vgpr 52
		.amdhsa_next_free_sgpr 44
		.amdhsa_named_barrier_count 0
		.amdhsa_reserve_vcc 1
		.amdhsa_float_round_mode_32 0
		.amdhsa_float_round_mode_16_64 0
		.amdhsa_float_denorm_mode_32 3
		.amdhsa_float_denorm_mode_16_64 3
		.amdhsa_fp16_overflow 0
		.amdhsa_memory_ordered 1
		.amdhsa_forward_progress 1
		.amdhsa_inst_pref_size 11
		.amdhsa_round_robin_scheduling 0
		.amdhsa_exception_fp_ieee_invalid_op 0
		.amdhsa_exception_fp_denorm_src 0
		.amdhsa_exception_fp_ieee_div_zero 0
		.amdhsa_exception_fp_ieee_overflow 0
		.amdhsa_exception_fp_ieee_underflow 0
		.amdhsa_exception_fp_ieee_inexact 0
		.amdhsa_exception_int_div_zero 0
	.end_amdhsa_kernel
	.section	.text._ZN12_GLOBAL__N_127rocblas_gemm_batched_kernelIdLi16ELi16ELi32ELi32ELi8ELi32ELi8ELi8ELi32ELc84ELc67EKPKdS3_KPdEEvlllT_PT11_llS8_llS6_PT12_llPT13_lli,"axG",@progbits,_ZN12_GLOBAL__N_127rocblas_gemm_batched_kernelIdLi16ELi16ELi32ELi32ELi8ELi32ELi8ELi8ELi32ELc84ELc67EKPKdS3_KPdEEvlllT_PT11_llS8_llS6_PT12_llPT13_lli,comdat
.Lfunc_end18:
	.size	_ZN12_GLOBAL__N_127rocblas_gemm_batched_kernelIdLi16ELi16ELi32ELi32ELi8ELi32ELi8ELi8ELi32ELc84ELc67EKPKdS3_KPdEEvlllT_PT11_llS8_llS6_PT12_llPT13_lli, .Lfunc_end18-_ZN12_GLOBAL__N_127rocblas_gemm_batched_kernelIdLi16ELi16ELi32ELi32ELi8ELi32ELi8ELi8ELi32ELc84ELc67EKPKdS3_KPdEEvlllT_PT11_llS8_llS6_PT12_llPT13_lli
                                        ; -- End function
	.set _ZN12_GLOBAL__N_127rocblas_gemm_batched_kernelIdLi16ELi16ELi32ELi32ELi8ELi32ELi8ELi8ELi32ELc84ELc67EKPKdS3_KPdEEvlllT_PT11_llS8_llS6_PT12_llPT13_lli.num_vgpr, 52
	.set _ZN12_GLOBAL__N_127rocblas_gemm_batched_kernelIdLi16ELi16ELi32ELi32ELi8ELi32ELi8ELi8ELi32ELc84ELc67EKPKdS3_KPdEEvlllT_PT11_llS8_llS6_PT12_llPT13_lli.num_agpr, 0
	.set _ZN12_GLOBAL__N_127rocblas_gemm_batched_kernelIdLi16ELi16ELi32ELi32ELi8ELi32ELi8ELi8ELi32ELc84ELc67EKPKdS3_KPdEEvlllT_PT11_llS8_llS6_PT12_llPT13_lli.numbered_sgpr, 44
	.set _ZN12_GLOBAL__N_127rocblas_gemm_batched_kernelIdLi16ELi16ELi32ELi32ELi8ELi32ELi8ELi8ELi32ELc84ELc67EKPKdS3_KPdEEvlllT_PT11_llS8_llS6_PT12_llPT13_lli.num_named_barrier, 0
	.set _ZN12_GLOBAL__N_127rocblas_gemm_batched_kernelIdLi16ELi16ELi32ELi32ELi8ELi32ELi8ELi8ELi32ELc84ELc67EKPKdS3_KPdEEvlllT_PT11_llS8_llS6_PT12_llPT13_lli.private_seg_size, 0
	.set _ZN12_GLOBAL__N_127rocblas_gemm_batched_kernelIdLi16ELi16ELi32ELi32ELi8ELi32ELi8ELi8ELi32ELc84ELc67EKPKdS3_KPdEEvlllT_PT11_llS8_llS6_PT12_llPT13_lli.uses_vcc, 1
	.set _ZN12_GLOBAL__N_127rocblas_gemm_batched_kernelIdLi16ELi16ELi32ELi32ELi8ELi32ELi8ELi8ELi32ELc84ELc67EKPKdS3_KPdEEvlllT_PT11_llS8_llS6_PT12_llPT13_lli.uses_flat_scratch, 1
	.set _ZN12_GLOBAL__N_127rocblas_gemm_batched_kernelIdLi16ELi16ELi32ELi32ELi8ELi32ELi8ELi8ELi32ELc84ELc67EKPKdS3_KPdEEvlllT_PT11_llS8_llS6_PT12_llPT13_lli.has_dyn_sized_stack, 0
	.set _ZN12_GLOBAL__N_127rocblas_gemm_batched_kernelIdLi16ELi16ELi32ELi32ELi8ELi32ELi8ELi8ELi32ELc84ELc67EKPKdS3_KPdEEvlllT_PT11_llS8_llS6_PT12_llPT13_lli.has_recursion, 0
	.set _ZN12_GLOBAL__N_127rocblas_gemm_batched_kernelIdLi16ELi16ELi32ELi32ELi8ELi32ELi8ELi8ELi32ELc84ELc67EKPKdS3_KPdEEvlllT_PT11_llS8_llS6_PT12_llPT13_lli.has_indirect_call, 0
	.section	.AMDGPU.csdata,"",@progbits
; Kernel info:
; codeLenInByte = 1364
; TotalNumSgprs: 46
; NumVgprs: 52
; ScratchSize: 0
; MemoryBound: 0
; FloatMode: 240
; IeeeMode: 1
; LDSByteSize: 4096 bytes/workgroup (compile time only)
; SGPRBlocks: 0
; VGPRBlocks: 3
; NumSGPRsForWavesPerEU: 46
; NumVGPRsForWavesPerEU: 52
; NamedBarCnt: 0
; Occupancy: 16
; WaveLimiterHint : 1
; COMPUTE_PGM_RSRC2:SCRATCH_EN: 0
; COMPUTE_PGM_RSRC2:USER_SGPR: 2
; COMPUTE_PGM_RSRC2:TRAP_HANDLER: 0
; COMPUTE_PGM_RSRC2:TGID_X_EN: 1
; COMPUTE_PGM_RSRC2:TGID_Y_EN: 1
; COMPUTE_PGM_RSRC2:TGID_Z_EN: 1
; COMPUTE_PGM_RSRC2:TIDIG_COMP_CNT: 1
	.section	.text._ZN12_GLOBAL__N_135rocblas_gemm_batched_general_kernelIdLi16ELi16ELi32ELi32ELi8ELi32ELi8ELi8ELi32ELc78ELc78EKPKdS3_KPdEEvlllT_PT11_llS8_llS6_PT12_llPT13_lli,"axG",@progbits,_ZN12_GLOBAL__N_135rocblas_gemm_batched_general_kernelIdLi16ELi16ELi32ELi32ELi8ELi32ELi8ELi8ELi32ELc78ELc78EKPKdS3_KPdEEvlllT_PT11_llS8_llS6_PT12_llPT13_lli,comdat
	.globl	_ZN12_GLOBAL__N_135rocblas_gemm_batched_general_kernelIdLi16ELi16ELi32ELi32ELi8ELi32ELi8ELi8ELi32ELc78ELc78EKPKdS3_KPdEEvlllT_PT11_llS8_llS6_PT12_llPT13_lli ; -- Begin function _ZN12_GLOBAL__N_135rocblas_gemm_batched_general_kernelIdLi16ELi16ELi32ELi32ELi8ELi32ELi8ELi8ELi32ELc78ELc78EKPKdS3_KPdEEvlllT_PT11_llS8_llS6_PT12_llPT13_lli
	.p2align	8
	.type	_ZN12_GLOBAL__N_135rocblas_gemm_batched_general_kernelIdLi16ELi16ELi32ELi32ELi8ELi32ELi8ELi8ELi32ELc78ELc78EKPKdS3_KPdEEvlllT_PT11_llS8_llS6_PT12_llPT13_lli,@function
_ZN12_GLOBAL__N_135rocblas_gemm_batched_general_kernelIdLi16ELi16ELi32ELi32ELi8ELi32ELi8ELi8ELi32ELc78ELc78EKPKdS3_KPdEEvlllT_PT11_llS8_llS6_PT12_llPT13_lli: ; @_ZN12_GLOBAL__N_135rocblas_gemm_batched_general_kernelIdLi16ELi16ELi32ELi32ELi8ELi32ELi8ELi8ELi32ELc78ELc78EKPKdS3_KPdEEvlllT_PT11_llS8_llS6_PT12_llPT13_lli
; %bb.0:
	s_load_b32 s28, s[0:1], 0x88
	s_bfe_u32 s2, ttmp6, 0x40014
	s_lshr_b32 s3, ttmp7, 16
	s_add_co_i32 s2, s2, 1
	s_bfe_u32 s5, ttmp6, 0x40008
	s_mul_i32 s4, s3, s2
	s_getreg_b32 s2, hwreg(HW_REG_IB_STS2, 6, 4)
	s_add_co_i32 s5, s5, s4
	s_cmp_eq_u32 s2, 0
	s_mov_b32 s21, 0
	s_cselect_b32 s20, s3, s5
	s_wait_kmcnt 0x0
	s_cmp_ge_i32 s20, s28
	s_cbranch_scc1 .LBB19_35
; %bb.1:
	v_bfe_u32 v10, v0, 10, 10
	v_and_b32_e32 v12, 0x3ff, v0
	s_clause 0x1
	s_load_b512 s[4:19], s[0:1], 0x0
	s_load_b512 s[36:51], s[0:1], 0x40
	s_bfe_u32 s22, ttmp6, 0x4000c
	s_bfe_u32 s23, ttmp6, 0x40010
	s_add_co_i32 s22, s22, 1
	s_and_b32 s24, ttmp7, 0xffff
	s_add_co_i32 s23, s23, 1
	v_lshl_add_u32 v1, v10, 4, v12
	v_mov_b32_e32 v3, 0
	s_and_b32 s3, ttmp6, 15
	s_mul_i32 s22, ttmp9, s22
	s_mul_i32 s23, s24, s23
	s_bfe_u32 s25, ttmp6, 0x40004
	s_add_co_i32 s3, s3, s22
	s_add_co_i32 s25, s25, s23
	s_cmp_eq_u32 s2, 0
	v_dual_mov_b32 v15, v3 :: v_dual_lshrrev_b32 v14, 3, v1
	v_lshrrev_b32_e32 v2, 5, v1
	s_cselect_b32 s2, s24, s25
	s_cselect_b32 s22, ttmp9, s3
	s_lshl_b32 s2, s2, 5
	s_mov_b32 s3, s21
	v_dual_mov_b32 v11, v3 :: v_dual_bitop2_b32 v4, 31, v1 bitop3:0x40
	v_add_nc_u64_e32 v[16:17], s[2:3], v[14:15]
	s_wait_kmcnt 0x0
	v_mul_u64_e32 v[20:21], s[14:15], v[2:3]
	v_cmp_eq_f64_e64 s29, s[40:41], 0
	v_add_nc_u64_e32 v[24:25], s[2:3], v[10:11]
	v_dual_mov_b32 v13, v3 :: v_dual_bitop2_b32 v0, 7, v0 bitop3:0x40
	s_ashr_i32 s23, s22, 31
	v_mul_u64_e32 v[18:19], s[36:37], v[16:17]
	s_load_b64 s[24:25], s[0:1], 0x80
	s_wait_xcnt 0x0
	s_lshl_b64 s[0:1], s[22:23], 5
	v_mul_u64_e32 v[6:7], s[50:51], v[24:25]
	v_mul_u64_e32 v[8:9], s[44:45], v[24:25]
	v_dual_mov_b32 v23, s1 :: v_dual_bitop2_b32 v22, s0, v4 bitop3:0x54
	v_dual_mov_b32 v1, v3 :: v_dual_lshlrev_b32 v26, 3, v4
	v_add_nc_u64_e32 v[4:5], s[0:1], v[12:13]
	v_dual_mov_b32 v29, v3 :: v_dual_lshlrev_b32 v28, 3, v0
	s_lshl_b64 s[22:23], s[22:23], 8
	s_lshl_b64 s[16:17], s[16:17], 3
	v_lshl_add_u32 v37, v10, 6, 0x800
	s_delay_alu instid0(VALU_DEP_2) | instskip(NEXT) | instid1(VALU_DEP_4)
	v_lshl_or_b32 v11, v14, 6, v28
	v_add_nc_u64_e32 v[14:15], 16, v[4:5]
	s_lshl_b64 s[26:27], s[38:39], 3
	s_add_nc_u64 s[16:17], s[16:17], s[22:23]
	v_cmp_gt_i64_e64 s0, s[4:5], v[22:23]
	v_add_nc_u32_e32 v35, 0x800, v11
	v_add_nc_u64_e32 v[10:11], 16, v[24:25]
	v_dual_mov_b32 v27, v3 :: v_dual_lshlrev_b32 v36, 3, v12
	v_cmp_gt_i64_e64 s3, s[4:5], v[4:5]
	v_cmp_gt_i64_e64 s4, s[4:5], v[14:15]
	v_lshl_add_u64 v[14:15], v[20:21], 3, s[16:17]
	v_cmp_gt_i64_e64 s1, s[6:7], v[16:17]
	v_cmp_gt_i64_e64 s2, s[6:7], v[24:25]
	;; [unrolled: 1-line block ×4, first 2 shown]
	v_lshl_or_b32 v34, v2, 8, v26
	v_lshl_add_u64 v[12:13], v[18:19], 3, s[26:27]
	s_lshl_b64 s[6:7], s[50:51], 4
	s_lshl_b64 s[16:17], s[44:45], 4
	;; [unrolled: 1-line block ×3, first 2 shown]
	s_wait_kmcnt 0x0
	s_lshl_b64 s[22:23], s[24:25], 3
	v_add_nc_u64_e32 v[10:11], v[12:13], v[28:29]
	v_add_nc_u64_e32 v[12:13], v[14:15], v[26:27]
	s_lshl_b64 s[24:25], s[46:47], 3
	s_branch .LBB19_4
.LBB19_2:                               ;   in Loop: Header=BB19_4 Depth=1
	s_wait_xcnt 0x0
	s_or_b32 exec_lo, exec_lo, s26
.LBB19_3:                               ;   in Loop: Header=BB19_4 Depth=1
	s_add_co_i32 s20, s20, 0x10000
	s_delay_alu instid0(SALU_CYCLE_1)
	s_cmp_lt_i32 s20, s28
	s_cbranch_scc0 .LBB19_35
.LBB19_4:                               ; =>This Loop Header: Depth=1
                                        ;     Child Loop BB19_7 Depth 2
	v_mov_b32_e32 v14, s20
	s_and_not1_b32 vcc_lo, exec_lo, s30
	s_clause 0x1
	global_load_b64 v[20:21], v14, s[42:43] scale_offset
	global_load_b64 v[24:25], v14, s[48:49] scale_offset
	s_cbranch_vccnz .LBB19_11
; %bb.5:                                ;   in Loop: Header=BB19_4 Depth=1
	s_lshl_b64 s[26:27], s[20:21], 3
	s_wait_xcnt 0x0
	v_mov_b64_e32 v[14:15], 0
	s_add_nc_u64 s[34:35], s[18:19], s[26:27]
	s_add_nc_u64 s[26:27], s[12:13], s[26:27]
	s_clause 0x1
	global_load_b64 v[22:23], v3, s[34:35]
	global_load_b64 v[28:29], v3, s[26:27]
	v_mov_b64_e32 v[16:17], 0
	v_mov_b64_e32 v[18:19], 0
	s_wait_xcnt 0x0
	s_mov_b64 s[26:27], 0
	s_wait_loadcnt 0x1
	v_add_nc_u64_e32 v[26:27], v[22:23], v[10:11]
	s_wait_loadcnt 0x0
	v_add_nc_u64_e32 v[28:29], v[28:29], v[12:13]
	v_mov_b64_e32 v[22:23], 0
	s_branch .LBB19_7
.LBB19_6:                               ;   in Loop: Header=BB19_7 Depth=2
	s_wait_xcnt 0x0
	s_or_b32 exec_lo, exec_lo, s31
	s_wait_loadcnt_dscnt 0x0
	ds_store_b64 v35, v[32:33]
	s_wait_dscnt 0x0
	s_barrier_signal -1
	s_barrier_wait -1
	ds_load_b128 v[30:33], v37
	ds_load_2addr_b64 v[38:41], v36 offset1:16
	ds_load_b128 v[42:45], v37 offset:1024
	ds_load_b128 v[46:49], v37 offset:16
	;; [unrolled: 1-line block ×3, first 2 shown]
	s_add_nc_u64 s[26:27], s[26:27], 8
	v_add_nc_u64_e32 v[26:27], 64, v[26:27]
	v_cmp_lt_i64_e64 s31, s[26:27], s[8:9]
	v_add_nc_u64_e32 v[28:29], s[14:15], v[28:29]
	s_and_b32 vcc_lo, exec_lo, s31
	s_wait_dscnt 0x3
	v_fmac_f64_e32 v[22:23], v[38:39], v[30:31]
	v_fmac_f64_e32 v[18:19], v[40:41], v[30:31]
	s_wait_dscnt 0x2
	v_fmac_f64_e32 v[16:17], v[38:39], v[42:43]
	v_fmac_f64_e32 v[14:15], v[40:41], v[42:43]
	ds_load_2addr_b64 v[38:41], v36 offset0:32 offset1:48
	s_wait_dscnt 0x0
	v_fmac_f64_e32 v[22:23], v[38:39], v[32:33]
	v_fmac_f64_e32 v[18:19], v[40:41], v[32:33]
	v_fmac_f64_e32 v[16:17], v[38:39], v[44:45]
	v_fmac_f64_e32 v[14:15], v[40:41], v[44:45]
	ds_load_2addr_b64 v[30:33], v36 offset0:64 offset1:80
	s_wait_dscnt 0x0
	v_fmac_f64_e32 v[22:23], v[30:31], v[46:47]
	v_fmac_f64_e32 v[18:19], v[32:33], v[46:47]
	;; [unrolled: 6-line block ×3, first 2 shown]
	v_fmac_f64_e32 v[16:17], v[30:31], v[52:53]
	v_fmac_f64_e32 v[14:15], v[32:33], v[52:53]
	ds_load_b128 v[30:33], v37 offset:32
	ds_load_2addr_b64 v[38:41], v36 offset0:128 offset1:144
	ds_load_b128 v[42:45], v37 offset:1056
	ds_load_b128 v[46:49], v37 offset:48
	;; [unrolled: 1-line block ×3, first 2 shown]
	s_wait_dscnt 0x3
	v_fmac_f64_e32 v[22:23], v[38:39], v[30:31]
	v_fmac_f64_e32 v[18:19], v[40:41], v[30:31]
	s_wait_dscnt 0x2
	v_fmac_f64_e32 v[16:17], v[38:39], v[42:43]
	v_fmac_f64_e32 v[14:15], v[40:41], v[42:43]
	ds_load_2addr_b64 v[38:41], v36 offset0:160 offset1:176
	s_wait_dscnt 0x0
	v_fmac_f64_e32 v[22:23], v[38:39], v[32:33]
	v_fmac_f64_e32 v[18:19], v[40:41], v[32:33]
	;; [unrolled: 1-line block ×4, first 2 shown]
	ds_load_2addr_b64 v[30:33], v36 offset0:192 offset1:208
	s_wait_dscnt 0x0
	v_fmac_f64_e32 v[22:23], v[30:31], v[46:47]
	v_fmac_f64_e32 v[18:19], v[32:33], v[46:47]
	;; [unrolled: 1-line block ×4, first 2 shown]
	ds_load_2addr_b64 v[30:33], v36 offset0:224 offset1:240
	s_wait_dscnt 0x0
	s_barrier_signal -1
	s_barrier_wait -1
	v_fmac_f64_e32 v[22:23], v[30:31], v[48:49]
	v_fmac_f64_e32 v[18:19], v[32:33], v[48:49]
	;; [unrolled: 1-line block ×4, first 2 shown]
	s_cbranch_vccz .LBB19_12
.LBB19_7:                               ;   Parent Loop BB19_4 Depth=1
                                        ; =>  This Inner Loop Header: Depth=2
	v_add_nc_u64_e32 v[30:31], s[26:27], v[2:3]
	s_delay_alu instid0(VALU_DEP_1) | instskip(SKIP_2) | instid1(SALU_CYCLE_1)
	v_cmp_gt_i64_e32 vcc_lo, s[8:9], v[30:31]
	v_mov_b64_e32 v[30:31], 0
	s_and_b32 s33, s0, vcc_lo
	s_and_saveexec_b32 s31, s33
	s_cbranch_execz .LBB19_9
; %bb.8:                                ;   in Loop: Header=BB19_7 Depth=2
	flat_load_b64 v[30:31], v[28:29]
.LBB19_9:                               ;   in Loop: Header=BB19_7 Depth=2
	s_wait_xcnt 0x0
	s_or_b32 exec_lo, exec_lo, s31
	v_add_nc_u64_e32 v[32:33], s[26:27], v[0:1]
	s_wait_loadcnt_dscnt 0x0
	ds_store_b64 v34, v[30:31]
	v_cmp_gt_i64_e32 vcc_lo, s[8:9], v[32:33]
	v_mov_b64_e32 v[32:33], 0
	s_and_b32 s33, vcc_lo, s1
	s_delay_alu instid0(SALU_CYCLE_1)
	s_and_saveexec_b32 s31, s33
	s_cbranch_execz .LBB19_6
; %bb.10:                               ;   in Loop: Header=BB19_7 Depth=2
	flat_load_b64 v[32:33], v[26:27]
	s_branch .LBB19_6
.LBB19_11:                              ;   in Loop: Header=BB19_4 Depth=1
	v_mov_b64_e32 v[22:23], 0
	v_mov_b64_e32 v[18:19], 0
	;; [unrolled: 1-line block ×3, first 2 shown]
	s_wait_xcnt 0x0
	v_mov_b64_e32 v[14:15], 0
.LBB19_12:                              ;   in Loop: Header=BB19_4 Depth=1
	s_wait_loadcnt 0x0
	v_add_nc_u64_e32 v[24:25], s[22:23], v[24:25]
	s_and_not1_b32 vcc_lo, exec_lo, s29
	s_cbranch_vccnz .LBB19_17
; %bb.13:                               ;   in Loop: Header=BB19_4 Depth=1
	s_and_saveexec_b32 s26, s2
	s_cbranch_execz .LBB19_24
; %bb.14:                               ;   in Loop: Header=BB19_4 Depth=1
	s_delay_alu instid0(VALU_DEP_1) | instskip(NEXT) | instid1(VALU_DEP_1)
	v_lshl_add_u64 v[26:27], v[6:7], 3, v[24:25]
	v_lshl_add_u64 v[28:29], v[4:5], 3, v[26:27]
	s_and_saveexec_b32 s27, s3
	s_cbranch_execnz .LBB19_18
; %bb.15:                               ;   in Loop: Header=BB19_4 Depth=1
	s_or_b32 exec_lo, exec_lo, s27
	s_and_saveexec_b32 s27, s4
	s_cbranch_execnz .LBB19_19
.LBB19_16:                              ;   in Loop: Header=BB19_4 Depth=1
	s_or_b32 exec_lo, exec_lo, s27
	s_delay_alu instid0(SALU_CYCLE_1)
	s_and_b32 exec_lo, exec_lo, s5
	s_cbranch_execnz .LBB19_20
	s_branch .LBB19_24
.LBB19_17:                              ;   in Loop: Header=BB19_4 Depth=1
	s_branch .LBB19_25
.LBB19_18:                              ;   in Loop: Header=BB19_4 Depth=1
	v_mul_f64_e32 v[30:31], s[10:11], v[22:23]
	flat_store_b64 v[28:29], v[30:31]
	s_wait_xcnt 0x0
	s_or_b32 exec_lo, exec_lo, s27
	s_and_saveexec_b32 s27, s4
	s_cbranch_execz .LBB19_16
.LBB19_19:                              ;   in Loop: Header=BB19_4 Depth=1
	v_mul_f64_e32 v[30:31], s[10:11], v[18:19]
	flat_store_b64 v[28:29], v[30:31] offset:128
	s_wait_xcnt 0x0
	s_or_b32 exec_lo, exec_lo, s27
	s_delay_alu instid0(SALU_CYCLE_1)
	s_and_b32 exec_lo, exec_lo, s5
	s_cbranch_execz .LBB19_24
.LBB19_20:                              ;   in Loop: Header=BB19_4 Depth=1
	v_lshl_add_u64 v[26:27], s[6:7], 3, v[26:27]
	s_delay_alu instid0(VALU_DEP_1)
	v_lshl_add_u64 v[26:27], v[4:5], 3, v[26:27]
	s_and_saveexec_b32 s27, s3
	s_cbranch_execz .LBB19_22
; %bb.21:                               ;   in Loop: Header=BB19_4 Depth=1
	v_mul_f64_e32 v[28:29], s[10:11], v[16:17]
	flat_store_b64 v[26:27], v[28:29]
.LBB19_22:                              ;   in Loop: Header=BB19_4 Depth=1
	s_wait_xcnt 0x0
	s_or_b32 exec_lo, exec_lo, s27
	s_delay_alu instid0(SALU_CYCLE_1)
	s_and_b32 exec_lo, exec_lo, s4
	s_cbranch_execz .LBB19_24
; %bb.23:                               ;   in Loop: Header=BB19_4 Depth=1
	v_mul_f64_e32 v[28:29], s[10:11], v[14:15]
	flat_store_b64 v[26:27], v[28:29] offset:128
.LBB19_24:                              ;   in Loop: Header=BB19_4 Depth=1
	s_wait_xcnt 0x0
	s_or_b32 exec_lo, exec_lo, s26
	s_cbranch_execnz .LBB19_3
.LBB19_25:                              ;   in Loop: Header=BB19_4 Depth=1
	s_and_saveexec_b32 s26, s2
	s_cbranch_execz .LBB19_2
; %bb.26:                               ;   in Loop: Header=BB19_4 Depth=1
	v_add_nc_u64_e32 v[26:27], s[24:25], v[20:21]
	v_lshlrev_b64_e32 v[20:21], 3, v[4:5]
	v_lshl_add_u64 v[24:25], v[6:7], 3, v[24:25]
	s_delay_alu instid0(VALU_DEP_3) | instskip(NEXT) | instid1(VALU_DEP_2)
	v_lshl_add_u64 v[26:27], v[8:9], 3, v[26:27]
	v_add_nc_u64_e32 v[28:29], v[24:25], v[20:21]
	s_delay_alu instid0(VALU_DEP_2)
	v_add_nc_u64_e32 v[30:31], v[26:27], v[20:21]
	s_and_saveexec_b32 s27, s3
	s_cbranch_execnz .LBB19_29
; %bb.27:                               ;   in Loop: Header=BB19_4 Depth=1
	s_or_b32 exec_lo, exec_lo, s27
	s_and_saveexec_b32 s27, s4
	s_cbranch_execnz .LBB19_30
.LBB19_28:                              ;   in Loop: Header=BB19_4 Depth=1
	s_or_b32 exec_lo, exec_lo, s27
	s_delay_alu instid0(SALU_CYCLE_1)
	s_and_b32 exec_lo, exec_lo, s5
	s_cbranch_execz .LBB19_2
	s_branch .LBB19_31
.LBB19_29:                              ;   in Loop: Header=BB19_4 Depth=1
	flat_load_b64 v[32:33], v[30:31]
	s_wait_loadcnt_dscnt 0x0
	v_mul_f64_e32 v[32:33], s[40:41], v[32:33]
	s_delay_alu instid0(VALU_DEP_1)
	v_fmac_f64_e32 v[32:33], s[10:11], v[22:23]
	flat_store_b64 v[28:29], v[32:33]
	s_wait_xcnt 0x0
	s_or_b32 exec_lo, exec_lo, s27
	s_and_saveexec_b32 s27, s4
	s_cbranch_execz .LBB19_28
.LBB19_30:                              ;   in Loop: Header=BB19_4 Depth=1
	flat_load_b64 v[22:23], v[30:31] offset:128
	s_wait_loadcnt_dscnt 0x0
	v_mul_f64_e32 v[22:23], s[40:41], v[22:23]
	s_delay_alu instid0(VALU_DEP_1) | instskip(SKIP_3) | instid1(SALU_CYCLE_1)
	v_fmac_f64_e32 v[22:23], s[10:11], v[18:19]
	flat_store_b64 v[28:29], v[22:23] offset:128
	s_wait_xcnt 0x0
	s_or_b32 exec_lo, exec_lo, s27
	s_and_b32 exec_lo, exec_lo, s5
	s_cbranch_execz .LBB19_2
.LBB19_31:                              ;   in Loop: Header=BB19_4 Depth=1
	v_lshl_add_u64 v[18:19], s[16:17], 3, v[26:27]
	v_lshl_add_u64 v[24:25], s[6:7], 3, v[24:25]
	s_delay_alu instid0(VALU_DEP_2) | instskip(NEXT) | instid1(VALU_DEP_2)
	v_add_nc_u64_e32 v[22:23], v[18:19], v[20:21]
	v_add_nc_u64_e32 v[18:19], v[24:25], v[20:21]
	s_and_saveexec_b32 s27, s3
	s_cbranch_execz .LBB19_33
; %bb.32:                               ;   in Loop: Header=BB19_4 Depth=1
	flat_load_b64 v[20:21], v[22:23]
	s_wait_loadcnt_dscnt 0x0
	v_mul_f64_e32 v[20:21], s[40:41], v[20:21]
	s_delay_alu instid0(VALU_DEP_1)
	v_fmac_f64_e32 v[20:21], s[10:11], v[16:17]
	flat_store_b64 v[18:19], v[20:21]
.LBB19_33:                              ;   in Loop: Header=BB19_4 Depth=1
	s_wait_xcnt 0x0
	s_or_b32 exec_lo, exec_lo, s27
	s_delay_alu instid0(SALU_CYCLE_1)
	s_and_b32 exec_lo, exec_lo, s4
	s_cbranch_execz .LBB19_2
; %bb.34:                               ;   in Loop: Header=BB19_4 Depth=1
	flat_load_b64 v[16:17], v[22:23] offset:128
	s_wait_loadcnt_dscnt 0x0
	v_mul_f64_e32 v[16:17], s[40:41], v[16:17]
	s_delay_alu instid0(VALU_DEP_1)
	v_fmac_f64_e32 v[16:17], s[10:11], v[14:15]
	flat_store_b64 v[18:19], v[16:17] offset:128
	s_branch .LBB19_2
.LBB19_35:
	s_endpgm
	.section	.rodata,"a",@progbits
	.p2align	6, 0x0
	.amdhsa_kernel _ZN12_GLOBAL__N_135rocblas_gemm_batched_general_kernelIdLi16ELi16ELi32ELi32ELi8ELi32ELi8ELi8ELi32ELc78ELc78EKPKdS3_KPdEEvlllT_PT11_llS8_llS6_PT12_llPT13_lli
		.amdhsa_group_segment_fixed_size 4096
		.amdhsa_private_segment_fixed_size 0
		.amdhsa_kernarg_size 140
		.amdhsa_user_sgpr_count 2
		.amdhsa_user_sgpr_dispatch_ptr 0
		.amdhsa_user_sgpr_queue_ptr 0
		.amdhsa_user_sgpr_kernarg_segment_ptr 1
		.amdhsa_user_sgpr_dispatch_id 0
		.amdhsa_user_sgpr_kernarg_preload_length 0
		.amdhsa_user_sgpr_kernarg_preload_offset 0
		.amdhsa_user_sgpr_private_segment_size 0
		.amdhsa_wavefront_size32 1
		.amdhsa_uses_dynamic_stack 0
		.amdhsa_enable_private_segment 0
		.amdhsa_system_sgpr_workgroup_id_x 1
		.amdhsa_system_sgpr_workgroup_id_y 1
		.amdhsa_system_sgpr_workgroup_id_z 1
		.amdhsa_system_sgpr_workgroup_info 0
		.amdhsa_system_vgpr_workitem_id 1
		.amdhsa_next_free_vgpr 54
		.amdhsa_next_free_sgpr 52
		.amdhsa_named_barrier_count 0
		.amdhsa_reserve_vcc 1
		.amdhsa_float_round_mode_32 0
		.amdhsa_float_round_mode_16_64 0
		.amdhsa_float_denorm_mode_32 3
		.amdhsa_float_denorm_mode_16_64 3
		.amdhsa_fp16_overflow 0
		.amdhsa_memory_ordered 1
		.amdhsa_forward_progress 1
		.amdhsa_inst_pref_size 14
		.amdhsa_round_robin_scheduling 0
		.amdhsa_exception_fp_ieee_invalid_op 0
		.amdhsa_exception_fp_denorm_src 0
		.amdhsa_exception_fp_ieee_div_zero 0
		.amdhsa_exception_fp_ieee_overflow 0
		.amdhsa_exception_fp_ieee_underflow 0
		.amdhsa_exception_fp_ieee_inexact 0
		.amdhsa_exception_int_div_zero 0
	.end_amdhsa_kernel
	.section	.text._ZN12_GLOBAL__N_135rocblas_gemm_batched_general_kernelIdLi16ELi16ELi32ELi32ELi8ELi32ELi8ELi8ELi32ELc78ELc78EKPKdS3_KPdEEvlllT_PT11_llS8_llS6_PT12_llPT13_lli,"axG",@progbits,_ZN12_GLOBAL__N_135rocblas_gemm_batched_general_kernelIdLi16ELi16ELi32ELi32ELi8ELi32ELi8ELi8ELi32ELc78ELc78EKPKdS3_KPdEEvlllT_PT11_llS8_llS6_PT12_llPT13_lli,comdat
.Lfunc_end19:
	.size	_ZN12_GLOBAL__N_135rocblas_gemm_batched_general_kernelIdLi16ELi16ELi32ELi32ELi8ELi32ELi8ELi8ELi32ELc78ELc78EKPKdS3_KPdEEvlllT_PT11_llS8_llS6_PT12_llPT13_lli, .Lfunc_end19-_ZN12_GLOBAL__N_135rocblas_gemm_batched_general_kernelIdLi16ELi16ELi32ELi32ELi8ELi32ELi8ELi8ELi32ELc78ELc78EKPKdS3_KPdEEvlllT_PT11_llS8_llS6_PT12_llPT13_lli
                                        ; -- End function
	.set _ZN12_GLOBAL__N_135rocblas_gemm_batched_general_kernelIdLi16ELi16ELi32ELi32ELi8ELi32ELi8ELi8ELi32ELc78ELc78EKPKdS3_KPdEEvlllT_PT11_llS8_llS6_PT12_llPT13_lli.num_vgpr, 54
	.set _ZN12_GLOBAL__N_135rocblas_gemm_batched_general_kernelIdLi16ELi16ELi32ELi32ELi8ELi32ELi8ELi8ELi32ELc78ELc78EKPKdS3_KPdEEvlllT_PT11_llS8_llS6_PT12_llPT13_lli.num_agpr, 0
	.set _ZN12_GLOBAL__N_135rocblas_gemm_batched_general_kernelIdLi16ELi16ELi32ELi32ELi8ELi32ELi8ELi8ELi32ELc78ELc78EKPKdS3_KPdEEvlllT_PT11_llS8_llS6_PT12_llPT13_lli.numbered_sgpr, 52
	.set _ZN12_GLOBAL__N_135rocblas_gemm_batched_general_kernelIdLi16ELi16ELi32ELi32ELi8ELi32ELi8ELi8ELi32ELc78ELc78EKPKdS3_KPdEEvlllT_PT11_llS8_llS6_PT12_llPT13_lli.num_named_barrier, 0
	.set _ZN12_GLOBAL__N_135rocblas_gemm_batched_general_kernelIdLi16ELi16ELi32ELi32ELi8ELi32ELi8ELi8ELi32ELc78ELc78EKPKdS3_KPdEEvlllT_PT11_llS8_llS6_PT12_llPT13_lli.private_seg_size, 0
	.set _ZN12_GLOBAL__N_135rocblas_gemm_batched_general_kernelIdLi16ELi16ELi32ELi32ELi8ELi32ELi8ELi8ELi32ELc78ELc78EKPKdS3_KPdEEvlllT_PT11_llS8_llS6_PT12_llPT13_lli.uses_vcc, 1
	.set _ZN12_GLOBAL__N_135rocblas_gemm_batched_general_kernelIdLi16ELi16ELi32ELi32ELi8ELi32ELi8ELi8ELi32ELc78ELc78EKPKdS3_KPdEEvlllT_PT11_llS8_llS6_PT12_llPT13_lli.uses_flat_scratch, 0
	.set _ZN12_GLOBAL__N_135rocblas_gemm_batched_general_kernelIdLi16ELi16ELi32ELi32ELi8ELi32ELi8ELi8ELi32ELc78ELc78EKPKdS3_KPdEEvlllT_PT11_llS8_llS6_PT12_llPT13_lli.has_dyn_sized_stack, 0
	.set _ZN12_GLOBAL__N_135rocblas_gemm_batched_general_kernelIdLi16ELi16ELi32ELi32ELi8ELi32ELi8ELi8ELi32ELc78ELc78EKPKdS3_KPdEEvlllT_PT11_llS8_llS6_PT12_llPT13_lli.has_recursion, 0
	.set _ZN12_GLOBAL__N_135rocblas_gemm_batched_general_kernelIdLi16ELi16ELi32ELi32ELi8ELi32ELi8ELi8ELi32ELc78ELc78EKPKdS3_KPdEEvlllT_PT11_llS8_llS6_PT12_llPT13_lli.has_indirect_call, 0
	.section	.AMDGPU.csdata,"",@progbits
; Kernel info:
; codeLenInByte = 1736
; TotalNumSgprs: 54
; NumVgprs: 54
; ScratchSize: 0
; MemoryBound: 0
; FloatMode: 240
; IeeeMode: 1
; LDSByteSize: 4096 bytes/workgroup (compile time only)
; SGPRBlocks: 0
; VGPRBlocks: 3
; NumSGPRsForWavesPerEU: 54
; NumVGPRsForWavesPerEU: 54
; NamedBarCnt: 0
; Occupancy: 16
; WaveLimiterHint : 1
; COMPUTE_PGM_RSRC2:SCRATCH_EN: 0
; COMPUTE_PGM_RSRC2:USER_SGPR: 2
; COMPUTE_PGM_RSRC2:TRAP_HANDLER: 0
; COMPUTE_PGM_RSRC2:TGID_X_EN: 1
; COMPUTE_PGM_RSRC2:TGID_Y_EN: 1
; COMPUTE_PGM_RSRC2:TGID_Z_EN: 1
; COMPUTE_PGM_RSRC2:TIDIG_COMP_CNT: 1
	.section	.text._ZN12_GLOBAL__N_135rocblas_gemm_batched_general_kernelIdLi16ELi16ELi32ELi32ELi8ELi32ELi8ELi8ELi32ELc84ELc78EKPKdS3_KPdEEvlllT_PT11_llS8_llS6_PT12_llPT13_lli,"axG",@progbits,_ZN12_GLOBAL__N_135rocblas_gemm_batched_general_kernelIdLi16ELi16ELi32ELi32ELi8ELi32ELi8ELi8ELi32ELc84ELc78EKPKdS3_KPdEEvlllT_PT11_llS8_llS6_PT12_llPT13_lli,comdat
	.globl	_ZN12_GLOBAL__N_135rocblas_gemm_batched_general_kernelIdLi16ELi16ELi32ELi32ELi8ELi32ELi8ELi8ELi32ELc84ELc78EKPKdS3_KPdEEvlllT_PT11_llS8_llS6_PT12_llPT13_lli ; -- Begin function _ZN12_GLOBAL__N_135rocblas_gemm_batched_general_kernelIdLi16ELi16ELi32ELi32ELi8ELi32ELi8ELi8ELi32ELc84ELc78EKPKdS3_KPdEEvlllT_PT11_llS8_llS6_PT12_llPT13_lli
	.p2align	8
	.type	_ZN12_GLOBAL__N_135rocblas_gemm_batched_general_kernelIdLi16ELi16ELi32ELi32ELi8ELi32ELi8ELi8ELi32ELc84ELc78EKPKdS3_KPdEEvlllT_PT11_llS8_llS6_PT12_llPT13_lli,@function
_ZN12_GLOBAL__N_135rocblas_gemm_batched_general_kernelIdLi16ELi16ELi32ELi32ELi8ELi32ELi8ELi8ELi32ELc84ELc78EKPKdS3_KPdEEvlllT_PT11_llS8_llS6_PT12_llPT13_lli: ; @_ZN12_GLOBAL__N_135rocblas_gemm_batched_general_kernelIdLi16ELi16ELi32ELi32ELi8ELi32ELi8ELi8ELi32ELc84ELc78EKPKdS3_KPdEEvlllT_PT11_llS8_llS6_PT12_llPT13_lli
; %bb.0:
	s_load_b32 s26, s[0:1], 0x88
	s_bfe_u32 s2, ttmp6, 0x40014
	s_lshr_b32 s3, ttmp7, 16
	s_add_co_i32 s2, s2, 1
	s_bfe_u32 s5, ttmp6, 0x40008
	s_mul_i32 s4, s3, s2
	s_getreg_b32 s2, hwreg(HW_REG_IB_STS2, 6, 4)
	s_add_co_i32 s5, s5, s4
	s_cmp_eq_u32 s2, 0
	s_mov_b32 s21, 0
	s_cselect_b32 s20, s3, s5
	s_wait_kmcnt 0x0
	s_cmp_ge_i32 s20, s26
	s_cbranch_scc1 .LBB20_35
; %bb.1:
	v_bfe_u32 v10, v0, 10, 10
	v_and_b32_e32 v12, 0x3ff, v0
	s_clause 0x1
	s_load_b512 s[4:19], s[0:1], 0x0
	s_load_b512 s[36:51], s[0:1], 0x40
	s_bfe_u32 s3, ttmp6, 0x4000c
	s_bfe_u32 s23, ttmp6, 0x40010
	s_add_co_i32 s3, s3, 1
	s_and_b32 s24, ttmp7, 0xffff
	s_add_co_i32 s23, s23, 1
	v_lshl_add_u32 v3, v10, 4, v12
	v_mov_b32_e32 v1, 0
	s_and_b32 s22, ttmp6, 15
	s_mul_i32 s3, ttmp9, s3
	s_mul_i32 s23, s24, s23
	s_bfe_u32 s25, ttmp6, 0x40004
	s_add_co_i32 s22, s22, s3
	s_add_co_i32 s25, s25, s23
	s_cmp_eq_u32 s2, 0
	v_dual_lshrrev_b32 v8, 3, v3 :: v_dual_bitop2_b32 v4, 31, v3 bitop3:0x40
	v_mov_b32_e32 v9, v1
	s_cselect_b32 s3, s24, s25
	s_cselect_b32 s2, ttmp9, s22
	s_lshl_b32 s22, s3, 5
	s_mov_b32 s23, s21
	s_ashr_i32 s3, s2, 31
	v_add_nc_u64_e32 v[14:15], s[22:23], v[8:9]
	s_lshl_b64 s[2:3], s[2:3], 5
	v_dual_mov_b32 v11, v1 :: v_dual_bitop2_b32 v2, 7, v0 bitop3:0x40
	v_dual_mov_b32 v17, s3 :: v_dual_bitop2_b32 v16, s2, v4 bitop3:0x54
	s_wait_kmcnt 0x0
	v_cmp_eq_f64_e64 s27, s[40:41], 0
	s_delay_alu instid0(VALU_DEP_4)
	v_mul_u64_e32 v[18:19], s[36:37], v[14:15]
	v_add_nc_u64_e32 v[22:23], s[22:23], v[10:11]
	v_dual_lshlrev_b32 v11, 3, v4 :: v_dual_lshlrev_b32 v24, 3, v2
	v_mul_u64_e32 v[20:21], s[14:15], v[16:17]
	v_dual_mov_b32 v13, v1 :: v_dual_lshrrev_b32 v0, 5, v3
	s_load_b64 s[22:23], s[0:1], 0x80
	s_delay_alu instid0(VALU_DEP_4)
	v_mul_u64_e32 v[4:5], s[50:51], v[22:23]
	v_mul_u64_e32 v[6:7], s[44:45], v[22:23]
	v_lshl_or_b32 v25, v8, 6, v24
	v_add_nc_u64_e32 v[8:9], s[2:3], v[12:13]
	s_lshl_b64 s[14:15], s[38:39], 3
	v_dual_mov_b32 v3, v1 :: v_dual_lshlrev_b32 v36, 3, v12
	v_lshl_or_b32 v34, v0, 8, v11
	s_wait_xcnt 0x0
	v_cmp_gt_i64_e64 s1, s[6:7], v[14:15]
	v_lshl_add_u32 v37, v10, 6, 0x800
	v_add_nc_u64_e32 v[10:11], 16, v[8:9]
	v_add_nc_u64_e32 v[12:13], 16, v[22:23]
	v_cmp_gt_i64_e64 s0, s[4:5], v[16:17]
	v_add_nc_u32_e32 v35, 0x800, v25
	v_mov_b32_e32 v25, v1
	v_cmp_gt_i64_e64 s2, s[6:7], v[22:23]
	v_cmp_gt_i64_e64 s3, s[4:5], v[8:9]
	v_cmp_gt_i64_e64 s4, s[4:5], v[10:11]
	v_cmp_gt_i64_e64 s5, s[6:7], v[12:13]
	v_cmp_gt_i64_e64 s28, s[8:9], 0
	s_lshl_b64 s[6:7], s[50:51], 4
	v_lshl_add_u64 v[14:15], v[18:19], 3, s[14:15]
	s_lshl_b64 s[14:15], s[16:17], 3
	v_dual_mov_b32 v19, v1 :: v_dual_lshlrev_b32 v18, 3, v0
	v_lshl_add_u64 v[16:17], v[20:21], 3, s[14:15]
	s_delay_alu instid0(VALU_DEP_3)
	v_add_nc_u64_e32 v[10:11], v[14:15], v[24:25]
	s_lshl_b64 s[14:15], s[44:45], 4
	s_wait_kmcnt 0x0
	s_lshl_b64 s[16:17], s[22:23], 3
	s_lshl_b64 s[22:23], s[46:47], 3
	v_add_nc_u64_e32 v[12:13], v[16:17], v[18:19]
	s_branch .LBB20_4
.LBB20_2:                               ;   in Loop: Header=BB20_4 Depth=1
	s_wait_xcnt 0x0
	s_or_b32 exec_lo, exec_lo, s24
.LBB20_3:                               ;   in Loop: Header=BB20_4 Depth=1
	s_add_co_i32 s20, s20, 0x10000
	s_delay_alu instid0(SALU_CYCLE_1)
	s_cmp_lt_i32 s20, s26
	s_cbranch_scc0 .LBB20_35
.LBB20_4:                               ; =>This Loop Header: Depth=1
                                        ;     Child Loop BB20_7 Depth 2
	v_mov_b32_e32 v14, s20
	s_and_not1_b32 vcc_lo, exec_lo, s28
	s_clause 0x1
	global_load_b64 v[20:21], v14, s[42:43] scale_offset
	global_load_b64 v[24:25], v14, s[48:49] scale_offset
	s_cbranch_vccnz .LBB20_11
; %bb.5:                                ;   in Loop: Header=BB20_4 Depth=1
	s_lshl_b64 s[24:25], s[20:21], 3
	s_wait_xcnt 0x0
	v_mov_b64_e32 v[14:15], 0
	s_add_nc_u64 s[30:31], s[18:19], s[24:25]
	s_add_nc_u64 s[24:25], s[12:13], s[24:25]
	s_clause 0x1
	global_load_b64 v[22:23], v1, s[30:31]
	global_load_b64 v[28:29], v1, s[24:25]
	v_mov_b64_e32 v[16:17], 0
	v_mov_b64_e32 v[18:19], 0
	s_wait_xcnt 0x0
	s_mov_b64 s[24:25], 0
	s_wait_loadcnt 0x1
	v_add_nc_u64_e32 v[26:27], v[22:23], v[10:11]
	s_wait_loadcnt 0x0
	v_add_nc_u64_e32 v[28:29], v[28:29], v[12:13]
	v_mov_b64_e32 v[22:23], 0
	s_branch .LBB20_7
.LBB20_6:                               ;   in Loop: Header=BB20_7 Depth=2
	s_wait_xcnt 0x0
	s_or_b32 exec_lo, exec_lo, s29
	s_wait_loadcnt_dscnt 0x0
	ds_store_b64 v35, v[32:33]
	s_wait_dscnt 0x0
	s_barrier_signal -1
	s_barrier_wait -1
	ds_load_b128 v[30:33], v37
	ds_load_2addr_b64 v[38:41], v36 offset1:16
	ds_load_b128 v[42:45], v37 offset:1024
	ds_load_b128 v[46:49], v37 offset:16
	;; [unrolled: 1-line block ×3, first 2 shown]
	s_add_nc_u64 s[24:25], s[24:25], 8
	v_add_nc_u64_e32 v[26:27], 64, v[26:27]
	v_cmp_lt_i64_e64 s29, s[24:25], s[8:9]
	v_add_nc_u64_e32 v[28:29], 64, v[28:29]
	s_and_b32 vcc_lo, exec_lo, s29
	s_wait_dscnt 0x3
	v_fmac_f64_e32 v[22:23], v[38:39], v[30:31]
	v_fmac_f64_e32 v[18:19], v[40:41], v[30:31]
	s_wait_dscnt 0x2
	v_fmac_f64_e32 v[16:17], v[38:39], v[42:43]
	v_fmac_f64_e32 v[14:15], v[40:41], v[42:43]
	ds_load_2addr_b64 v[38:41], v36 offset0:32 offset1:48
	s_wait_dscnt 0x0
	v_fmac_f64_e32 v[22:23], v[38:39], v[32:33]
	v_fmac_f64_e32 v[18:19], v[40:41], v[32:33]
	v_fmac_f64_e32 v[16:17], v[38:39], v[44:45]
	v_fmac_f64_e32 v[14:15], v[40:41], v[44:45]
	ds_load_2addr_b64 v[30:33], v36 offset0:64 offset1:80
	s_wait_dscnt 0x0
	v_fmac_f64_e32 v[22:23], v[30:31], v[46:47]
	v_fmac_f64_e32 v[18:19], v[32:33], v[46:47]
	;; [unrolled: 6-line block ×3, first 2 shown]
	v_fmac_f64_e32 v[16:17], v[30:31], v[52:53]
	v_fmac_f64_e32 v[14:15], v[32:33], v[52:53]
	ds_load_b128 v[30:33], v37 offset:32
	ds_load_2addr_b64 v[38:41], v36 offset0:128 offset1:144
	ds_load_b128 v[42:45], v37 offset:1056
	ds_load_b128 v[46:49], v37 offset:48
	;; [unrolled: 1-line block ×3, first 2 shown]
	s_wait_dscnt 0x3
	v_fmac_f64_e32 v[22:23], v[38:39], v[30:31]
	v_fmac_f64_e32 v[18:19], v[40:41], v[30:31]
	s_wait_dscnt 0x2
	v_fmac_f64_e32 v[16:17], v[38:39], v[42:43]
	v_fmac_f64_e32 v[14:15], v[40:41], v[42:43]
	ds_load_2addr_b64 v[38:41], v36 offset0:160 offset1:176
	s_wait_dscnt 0x0
	v_fmac_f64_e32 v[22:23], v[38:39], v[32:33]
	v_fmac_f64_e32 v[18:19], v[40:41], v[32:33]
	;; [unrolled: 1-line block ×4, first 2 shown]
	ds_load_2addr_b64 v[30:33], v36 offset0:192 offset1:208
	s_wait_dscnt 0x0
	v_fmac_f64_e32 v[22:23], v[30:31], v[46:47]
	v_fmac_f64_e32 v[18:19], v[32:33], v[46:47]
	;; [unrolled: 1-line block ×4, first 2 shown]
	ds_load_2addr_b64 v[30:33], v36 offset0:224 offset1:240
	s_wait_dscnt 0x0
	s_barrier_signal -1
	s_barrier_wait -1
	v_fmac_f64_e32 v[22:23], v[30:31], v[48:49]
	v_fmac_f64_e32 v[18:19], v[32:33], v[48:49]
	;; [unrolled: 1-line block ×4, first 2 shown]
	s_cbranch_vccz .LBB20_12
.LBB20_7:                               ;   Parent Loop BB20_4 Depth=1
                                        ; =>  This Inner Loop Header: Depth=2
	v_add_nc_u64_e32 v[30:31], s[24:25], v[0:1]
	s_delay_alu instid0(VALU_DEP_1) | instskip(SKIP_2) | instid1(SALU_CYCLE_1)
	v_cmp_gt_i64_e32 vcc_lo, s[8:9], v[30:31]
	v_mov_b64_e32 v[30:31], 0
	s_and_b32 s30, s0, vcc_lo
	s_and_saveexec_b32 s29, s30
	s_cbranch_execz .LBB20_9
; %bb.8:                                ;   in Loop: Header=BB20_7 Depth=2
	flat_load_b64 v[30:31], v[28:29]
.LBB20_9:                               ;   in Loop: Header=BB20_7 Depth=2
	s_wait_xcnt 0x0
	s_or_b32 exec_lo, exec_lo, s29
	v_add_nc_u64_e32 v[32:33], s[24:25], v[2:3]
	s_wait_loadcnt_dscnt 0x0
	ds_store_b64 v34, v[30:31]
	v_cmp_gt_i64_e32 vcc_lo, s[8:9], v[32:33]
	v_mov_b64_e32 v[32:33], 0
	s_and_b32 s30, vcc_lo, s1
	s_delay_alu instid0(SALU_CYCLE_1)
	s_and_saveexec_b32 s29, s30
	s_cbranch_execz .LBB20_6
; %bb.10:                               ;   in Loop: Header=BB20_7 Depth=2
	flat_load_b64 v[32:33], v[26:27]
	s_branch .LBB20_6
.LBB20_11:                              ;   in Loop: Header=BB20_4 Depth=1
	v_mov_b64_e32 v[22:23], 0
	v_mov_b64_e32 v[18:19], 0
	;; [unrolled: 1-line block ×3, first 2 shown]
	s_wait_xcnt 0x0
	v_mov_b64_e32 v[14:15], 0
.LBB20_12:                              ;   in Loop: Header=BB20_4 Depth=1
	s_wait_loadcnt 0x0
	v_add_nc_u64_e32 v[24:25], s[16:17], v[24:25]
	s_and_not1_b32 vcc_lo, exec_lo, s27
	s_cbranch_vccnz .LBB20_17
; %bb.13:                               ;   in Loop: Header=BB20_4 Depth=1
	s_and_saveexec_b32 s24, s2
	s_cbranch_execz .LBB20_24
; %bb.14:                               ;   in Loop: Header=BB20_4 Depth=1
	s_delay_alu instid0(VALU_DEP_1) | instskip(NEXT) | instid1(VALU_DEP_1)
	v_lshl_add_u64 v[26:27], v[4:5], 3, v[24:25]
	v_lshl_add_u64 v[28:29], v[8:9], 3, v[26:27]
	s_and_saveexec_b32 s25, s3
	s_cbranch_execnz .LBB20_18
; %bb.15:                               ;   in Loop: Header=BB20_4 Depth=1
	s_or_b32 exec_lo, exec_lo, s25
	s_and_saveexec_b32 s25, s4
	s_cbranch_execnz .LBB20_19
.LBB20_16:                              ;   in Loop: Header=BB20_4 Depth=1
	s_or_b32 exec_lo, exec_lo, s25
	s_delay_alu instid0(SALU_CYCLE_1)
	s_and_b32 exec_lo, exec_lo, s5
	s_cbranch_execnz .LBB20_20
	s_branch .LBB20_24
.LBB20_17:                              ;   in Loop: Header=BB20_4 Depth=1
	s_branch .LBB20_25
.LBB20_18:                              ;   in Loop: Header=BB20_4 Depth=1
	v_mul_f64_e32 v[30:31], s[10:11], v[22:23]
	flat_store_b64 v[28:29], v[30:31]
	s_wait_xcnt 0x0
	s_or_b32 exec_lo, exec_lo, s25
	s_and_saveexec_b32 s25, s4
	s_cbranch_execz .LBB20_16
.LBB20_19:                              ;   in Loop: Header=BB20_4 Depth=1
	v_mul_f64_e32 v[30:31], s[10:11], v[18:19]
	flat_store_b64 v[28:29], v[30:31] offset:128
	s_wait_xcnt 0x0
	s_or_b32 exec_lo, exec_lo, s25
	s_delay_alu instid0(SALU_CYCLE_1)
	s_and_b32 exec_lo, exec_lo, s5
	s_cbranch_execz .LBB20_24
.LBB20_20:                              ;   in Loop: Header=BB20_4 Depth=1
	v_lshl_add_u64 v[26:27], s[6:7], 3, v[26:27]
	s_delay_alu instid0(VALU_DEP_1)
	v_lshl_add_u64 v[26:27], v[8:9], 3, v[26:27]
	s_and_saveexec_b32 s25, s3
	s_cbranch_execz .LBB20_22
; %bb.21:                               ;   in Loop: Header=BB20_4 Depth=1
	v_mul_f64_e32 v[28:29], s[10:11], v[16:17]
	flat_store_b64 v[26:27], v[28:29]
.LBB20_22:                              ;   in Loop: Header=BB20_4 Depth=1
	s_wait_xcnt 0x0
	s_or_b32 exec_lo, exec_lo, s25
	s_delay_alu instid0(SALU_CYCLE_1)
	s_and_b32 exec_lo, exec_lo, s4
	s_cbranch_execz .LBB20_24
; %bb.23:                               ;   in Loop: Header=BB20_4 Depth=1
	v_mul_f64_e32 v[28:29], s[10:11], v[14:15]
	flat_store_b64 v[26:27], v[28:29] offset:128
.LBB20_24:                              ;   in Loop: Header=BB20_4 Depth=1
	s_wait_xcnt 0x0
	s_or_b32 exec_lo, exec_lo, s24
	s_cbranch_execnz .LBB20_3
.LBB20_25:                              ;   in Loop: Header=BB20_4 Depth=1
	s_and_saveexec_b32 s24, s2
	s_cbranch_execz .LBB20_2
; %bb.26:                               ;   in Loop: Header=BB20_4 Depth=1
	v_add_nc_u64_e32 v[26:27], s[22:23], v[20:21]
	v_lshlrev_b64_e32 v[20:21], 3, v[8:9]
	v_lshl_add_u64 v[24:25], v[4:5], 3, v[24:25]
	s_delay_alu instid0(VALU_DEP_3) | instskip(NEXT) | instid1(VALU_DEP_2)
	v_lshl_add_u64 v[26:27], v[6:7], 3, v[26:27]
	v_add_nc_u64_e32 v[28:29], v[24:25], v[20:21]
	s_delay_alu instid0(VALU_DEP_2)
	v_add_nc_u64_e32 v[30:31], v[26:27], v[20:21]
	s_and_saveexec_b32 s25, s3
	s_cbranch_execnz .LBB20_29
; %bb.27:                               ;   in Loop: Header=BB20_4 Depth=1
	s_or_b32 exec_lo, exec_lo, s25
	s_and_saveexec_b32 s25, s4
	s_cbranch_execnz .LBB20_30
.LBB20_28:                              ;   in Loop: Header=BB20_4 Depth=1
	s_or_b32 exec_lo, exec_lo, s25
	s_delay_alu instid0(SALU_CYCLE_1)
	s_and_b32 exec_lo, exec_lo, s5
	s_cbranch_execz .LBB20_2
	s_branch .LBB20_31
.LBB20_29:                              ;   in Loop: Header=BB20_4 Depth=1
	flat_load_b64 v[32:33], v[30:31]
	s_wait_loadcnt_dscnt 0x0
	v_mul_f64_e32 v[32:33], s[40:41], v[32:33]
	s_delay_alu instid0(VALU_DEP_1)
	v_fmac_f64_e32 v[32:33], s[10:11], v[22:23]
	flat_store_b64 v[28:29], v[32:33]
	s_wait_xcnt 0x0
	s_or_b32 exec_lo, exec_lo, s25
	s_and_saveexec_b32 s25, s4
	s_cbranch_execz .LBB20_28
.LBB20_30:                              ;   in Loop: Header=BB20_4 Depth=1
	flat_load_b64 v[22:23], v[30:31] offset:128
	s_wait_loadcnt_dscnt 0x0
	v_mul_f64_e32 v[22:23], s[40:41], v[22:23]
	s_delay_alu instid0(VALU_DEP_1) | instskip(SKIP_3) | instid1(SALU_CYCLE_1)
	v_fmac_f64_e32 v[22:23], s[10:11], v[18:19]
	flat_store_b64 v[28:29], v[22:23] offset:128
	s_wait_xcnt 0x0
	s_or_b32 exec_lo, exec_lo, s25
	s_and_b32 exec_lo, exec_lo, s5
	s_cbranch_execz .LBB20_2
.LBB20_31:                              ;   in Loop: Header=BB20_4 Depth=1
	v_lshl_add_u64 v[18:19], s[14:15], 3, v[26:27]
	v_lshl_add_u64 v[24:25], s[6:7], 3, v[24:25]
	s_delay_alu instid0(VALU_DEP_2) | instskip(NEXT) | instid1(VALU_DEP_2)
	v_add_nc_u64_e32 v[22:23], v[18:19], v[20:21]
	v_add_nc_u64_e32 v[18:19], v[24:25], v[20:21]
	s_and_saveexec_b32 s25, s3
	s_cbranch_execz .LBB20_33
; %bb.32:                               ;   in Loop: Header=BB20_4 Depth=1
	flat_load_b64 v[20:21], v[22:23]
	s_wait_loadcnt_dscnt 0x0
	v_mul_f64_e32 v[20:21], s[40:41], v[20:21]
	s_delay_alu instid0(VALU_DEP_1)
	v_fmac_f64_e32 v[20:21], s[10:11], v[16:17]
	flat_store_b64 v[18:19], v[20:21]
.LBB20_33:                              ;   in Loop: Header=BB20_4 Depth=1
	s_wait_xcnt 0x0
	s_or_b32 exec_lo, exec_lo, s25
	s_delay_alu instid0(SALU_CYCLE_1)
	s_and_b32 exec_lo, exec_lo, s4
	s_cbranch_execz .LBB20_2
; %bb.34:                               ;   in Loop: Header=BB20_4 Depth=1
	flat_load_b64 v[16:17], v[22:23] offset:128
	s_wait_loadcnt_dscnt 0x0
	v_mul_f64_e32 v[16:17], s[40:41], v[16:17]
	s_delay_alu instid0(VALU_DEP_1)
	v_fmac_f64_e32 v[16:17], s[10:11], v[14:15]
	flat_store_b64 v[18:19], v[16:17] offset:128
	s_branch .LBB20_2
.LBB20_35:
	s_endpgm
	.section	.rodata,"a",@progbits
	.p2align	6, 0x0
	.amdhsa_kernel _ZN12_GLOBAL__N_135rocblas_gemm_batched_general_kernelIdLi16ELi16ELi32ELi32ELi8ELi32ELi8ELi8ELi32ELc84ELc78EKPKdS3_KPdEEvlllT_PT11_llS8_llS6_PT12_llPT13_lli
		.amdhsa_group_segment_fixed_size 4096
		.amdhsa_private_segment_fixed_size 0
		.amdhsa_kernarg_size 140
		.amdhsa_user_sgpr_count 2
		.amdhsa_user_sgpr_dispatch_ptr 0
		.amdhsa_user_sgpr_queue_ptr 0
		.amdhsa_user_sgpr_kernarg_segment_ptr 1
		.amdhsa_user_sgpr_dispatch_id 0
		.amdhsa_user_sgpr_kernarg_preload_length 0
		.amdhsa_user_sgpr_kernarg_preload_offset 0
		.amdhsa_user_sgpr_private_segment_size 0
		.amdhsa_wavefront_size32 1
		.amdhsa_uses_dynamic_stack 0
		.amdhsa_enable_private_segment 0
		.amdhsa_system_sgpr_workgroup_id_x 1
		.amdhsa_system_sgpr_workgroup_id_y 1
		.amdhsa_system_sgpr_workgroup_id_z 1
		.amdhsa_system_sgpr_workgroup_info 0
		.amdhsa_system_vgpr_workitem_id 1
		.amdhsa_next_free_vgpr 54
		.amdhsa_next_free_sgpr 52
		.amdhsa_named_barrier_count 0
		.amdhsa_reserve_vcc 1
		.amdhsa_float_round_mode_32 0
		.amdhsa_float_round_mode_16_64 0
		.amdhsa_float_denorm_mode_32 3
		.amdhsa_float_denorm_mode_16_64 3
		.amdhsa_fp16_overflow 0
		.amdhsa_memory_ordered 1
		.amdhsa_forward_progress 1
		.amdhsa_inst_pref_size 14
		.amdhsa_round_robin_scheduling 0
		.amdhsa_exception_fp_ieee_invalid_op 0
		.amdhsa_exception_fp_denorm_src 0
		.amdhsa_exception_fp_ieee_div_zero 0
		.amdhsa_exception_fp_ieee_overflow 0
		.amdhsa_exception_fp_ieee_underflow 0
		.amdhsa_exception_fp_ieee_inexact 0
		.amdhsa_exception_int_div_zero 0
	.end_amdhsa_kernel
	.section	.text._ZN12_GLOBAL__N_135rocblas_gemm_batched_general_kernelIdLi16ELi16ELi32ELi32ELi8ELi32ELi8ELi8ELi32ELc84ELc78EKPKdS3_KPdEEvlllT_PT11_llS8_llS6_PT12_llPT13_lli,"axG",@progbits,_ZN12_GLOBAL__N_135rocblas_gemm_batched_general_kernelIdLi16ELi16ELi32ELi32ELi8ELi32ELi8ELi8ELi32ELc84ELc78EKPKdS3_KPdEEvlllT_PT11_llS8_llS6_PT12_llPT13_lli,comdat
.Lfunc_end20:
	.size	_ZN12_GLOBAL__N_135rocblas_gemm_batched_general_kernelIdLi16ELi16ELi32ELi32ELi8ELi32ELi8ELi8ELi32ELc84ELc78EKPKdS3_KPdEEvlllT_PT11_llS8_llS6_PT12_llPT13_lli, .Lfunc_end20-_ZN12_GLOBAL__N_135rocblas_gemm_batched_general_kernelIdLi16ELi16ELi32ELi32ELi8ELi32ELi8ELi8ELi32ELc84ELc78EKPKdS3_KPdEEvlllT_PT11_llS8_llS6_PT12_llPT13_lli
                                        ; -- End function
	.set _ZN12_GLOBAL__N_135rocblas_gemm_batched_general_kernelIdLi16ELi16ELi32ELi32ELi8ELi32ELi8ELi8ELi32ELc84ELc78EKPKdS3_KPdEEvlllT_PT11_llS8_llS6_PT12_llPT13_lli.num_vgpr, 54
	.set _ZN12_GLOBAL__N_135rocblas_gemm_batched_general_kernelIdLi16ELi16ELi32ELi32ELi8ELi32ELi8ELi8ELi32ELc84ELc78EKPKdS3_KPdEEvlllT_PT11_llS8_llS6_PT12_llPT13_lli.num_agpr, 0
	.set _ZN12_GLOBAL__N_135rocblas_gemm_batched_general_kernelIdLi16ELi16ELi32ELi32ELi8ELi32ELi8ELi8ELi32ELc84ELc78EKPKdS3_KPdEEvlllT_PT11_llS8_llS6_PT12_llPT13_lli.numbered_sgpr, 52
	.set _ZN12_GLOBAL__N_135rocblas_gemm_batched_general_kernelIdLi16ELi16ELi32ELi32ELi8ELi32ELi8ELi8ELi32ELc84ELc78EKPKdS3_KPdEEvlllT_PT11_llS8_llS6_PT12_llPT13_lli.num_named_barrier, 0
	.set _ZN12_GLOBAL__N_135rocblas_gemm_batched_general_kernelIdLi16ELi16ELi32ELi32ELi8ELi32ELi8ELi8ELi32ELc84ELc78EKPKdS3_KPdEEvlllT_PT11_llS8_llS6_PT12_llPT13_lli.private_seg_size, 0
	.set _ZN12_GLOBAL__N_135rocblas_gemm_batched_general_kernelIdLi16ELi16ELi32ELi32ELi8ELi32ELi8ELi8ELi32ELc84ELc78EKPKdS3_KPdEEvlllT_PT11_llS8_llS6_PT12_llPT13_lli.uses_vcc, 1
	.set _ZN12_GLOBAL__N_135rocblas_gemm_batched_general_kernelIdLi16ELi16ELi32ELi32ELi8ELi32ELi8ELi8ELi32ELc84ELc78EKPKdS3_KPdEEvlllT_PT11_llS8_llS6_PT12_llPT13_lli.uses_flat_scratch, 0
	.set _ZN12_GLOBAL__N_135rocblas_gemm_batched_general_kernelIdLi16ELi16ELi32ELi32ELi8ELi32ELi8ELi8ELi32ELc84ELc78EKPKdS3_KPdEEvlllT_PT11_llS8_llS6_PT12_llPT13_lli.has_dyn_sized_stack, 0
	.set _ZN12_GLOBAL__N_135rocblas_gemm_batched_general_kernelIdLi16ELi16ELi32ELi32ELi8ELi32ELi8ELi8ELi32ELc84ELc78EKPKdS3_KPdEEvlllT_PT11_llS8_llS6_PT12_llPT13_lli.has_recursion, 0
	.set _ZN12_GLOBAL__N_135rocblas_gemm_batched_general_kernelIdLi16ELi16ELi32ELi32ELi8ELi32ELi8ELi8ELi32ELc84ELc78EKPKdS3_KPdEEvlllT_PT11_llS8_llS6_PT12_llPT13_lli.has_indirect_call, 0
	.section	.AMDGPU.csdata,"",@progbits
; Kernel info:
; codeLenInByte = 1740
; TotalNumSgprs: 54
; NumVgprs: 54
; ScratchSize: 0
; MemoryBound: 0
; FloatMode: 240
; IeeeMode: 1
; LDSByteSize: 4096 bytes/workgroup (compile time only)
; SGPRBlocks: 0
; VGPRBlocks: 3
; NumSGPRsForWavesPerEU: 54
; NumVGPRsForWavesPerEU: 54
; NamedBarCnt: 0
; Occupancy: 16
; WaveLimiterHint : 1
; COMPUTE_PGM_RSRC2:SCRATCH_EN: 0
; COMPUTE_PGM_RSRC2:USER_SGPR: 2
; COMPUTE_PGM_RSRC2:TRAP_HANDLER: 0
; COMPUTE_PGM_RSRC2:TGID_X_EN: 1
; COMPUTE_PGM_RSRC2:TGID_Y_EN: 1
; COMPUTE_PGM_RSRC2:TGID_Z_EN: 1
; COMPUTE_PGM_RSRC2:TIDIG_COMP_CNT: 1
	.section	.text._ZN12_GLOBAL__N_135rocblas_gemm_batched_general_kernelIdLi16ELi16ELi32ELi32ELi8ELi32ELi8ELi8ELi32ELc78ELc84EKPKdS3_KPdEEvlllT_PT11_llS8_llS6_PT12_llPT13_lli,"axG",@progbits,_ZN12_GLOBAL__N_135rocblas_gemm_batched_general_kernelIdLi16ELi16ELi32ELi32ELi8ELi32ELi8ELi8ELi32ELc78ELc84EKPKdS3_KPdEEvlllT_PT11_llS8_llS6_PT12_llPT13_lli,comdat
	.globl	_ZN12_GLOBAL__N_135rocblas_gemm_batched_general_kernelIdLi16ELi16ELi32ELi32ELi8ELi32ELi8ELi8ELi32ELc78ELc84EKPKdS3_KPdEEvlllT_PT11_llS8_llS6_PT12_llPT13_lli ; -- Begin function _ZN12_GLOBAL__N_135rocblas_gemm_batched_general_kernelIdLi16ELi16ELi32ELi32ELi8ELi32ELi8ELi8ELi32ELc78ELc84EKPKdS3_KPdEEvlllT_PT11_llS8_llS6_PT12_llPT13_lli
	.p2align	8
	.type	_ZN12_GLOBAL__N_135rocblas_gemm_batched_general_kernelIdLi16ELi16ELi32ELi32ELi8ELi32ELi8ELi8ELi32ELc78ELc84EKPKdS3_KPdEEvlllT_PT11_llS8_llS6_PT12_llPT13_lli,@function
_ZN12_GLOBAL__N_135rocblas_gemm_batched_general_kernelIdLi16ELi16ELi32ELi32ELi8ELi32ELi8ELi8ELi32ELc78ELc84EKPKdS3_KPdEEvlllT_PT11_llS8_llS6_PT12_llPT13_lli: ; @_ZN12_GLOBAL__N_135rocblas_gemm_batched_general_kernelIdLi16ELi16ELi32ELi32ELi8ELi32ELi8ELi8ELi32ELc78ELc84EKPKdS3_KPdEEvlllT_PT11_llS8_llS6_PT12_llPT13_lli
; %bb.0:
	s_load_b32 s30, s[0:1], 0x88
	s_bfe_u32 s2, ttmp6, 0x40014
	s_lshr_b32 s3, ttmp7, 16
	s_add_co_i32 s2, s2, 1
	s_bfe_u32 s5, ttmp6, 0x40008
	s_mul_i32 s4, s3, s2
	s_getreg_b32 s2, hwreg(HW_REG_IB_STS2, 6, 4)
	s_add_co_i32 s5, s5, s4
	s_cmp_eq_u32 s2, 0
	s_mov_b32 s21, 0
	s_cselect_b32 s20, s3, s5
	s_wait_kmcnt 0x0
	s_cmp_ge_i32 s20, s30
	s_cbranch_scc1 .LBB21_35
; %bb.1:
	s_clause 0x2
	s_load_b512 s[4:19], s[0:1], 0x0
	s_load_b512 s[36:51], s[0:1], 0x40
	s_load_b64 s[24:25], s[0:1], 0x80
	v_bfe_u32 v10, v0, 10, 10
	v_and_b32_e32 v12, 0x3ff, v0
	v_dual_mov_b32 v1, 0 :: v_dual_bitop2_b32 v2, 7, v0 bitop3:0x40
	s_wait_xcnt 0x0
	s_bfe_u32 s0, ttmp6, 0x4000c
	s_bfe_u32 s3, ttmp6, 0x40010
	v_lshl_add_u32 v19, v10, 4, v12
	s_add_co_i32 s0, s0, 1
	s_and_b32 s23, ttmp7, 0xffff
	s_add_co_i32 s3, s3, 1
	v_dual_mov_b32 v3, v1 :: v_dual_mov_b32 v5, v1
	v_dual_lshrrev_b32 v0, 5, v19 :: v_dual_lshrrev_b32 v4, 3, v19
	s_and_b32 s1, ttmp6, 15
	s_mul_i32 s0, ttmp9, s0
	s_mul_i32 s3, s23, s3
	s_bfe_u32 s22, ttmp6, 0x40004
	s_add_co_i32 s1, s1, s0
	s_add_co_i32 s0, s22, s3
	s_cmp_eq_u32 s2, 0
	v_dual_mov_b32 v11, v1 :: v_dual_bitop2_b32 v13, 31, v19 bitop3:0x40
	s_wait_kmcnt 0x0
	v_mul_u64_e32 v[14:15], s[36:37], v[2:3]
	v_lshlrev_b32_e32 v20, 3, v2
	v_mul_u64_e32 v[16:17], s[14:15], v[0:1]
	s_cselect_b32 s22, ttmp9, s1
	s_cselect_b32 s26, s23, s0
	s_ashr_i32 s23, s22, 31
	s_lshl_b32 s0, s26, 5
	s_mov_b32 s1, s21
	s_lshl_b64 s[2:3], s[22:23], 5
	v_add_nc_u64_e32 v[8:9], s[0:1], v[4:5]
	v_lshlrev_b32_e32 v18, 3, v13
	v_lshl_or_b32 v22, v4, 6, v20
	v_add_nc_u64_e32 v[20:21], s[0:1], v[10:11]
	v_dual_mov_b32 v7, s3 :: v_dual_bitop2_b32 v6, s2, v13 bitop3:0x54
	v_dual_mov_b32 v13, v1 :: v_dual_lshlrev_b32 v36, 3, v12
	v_cmp_gt_i64_e64 s1, s[6:7], v[8:9]
	v_cmp_eq_f64_e64 s31, s[40:41], 0
	s_delay_alu instid0(VALU_DEP_4)
	v_cmp_gt_i64_e64 s0, s[4:5], v[6:7]
	v_mul_u64_e32 v[6:7], s[50:51], v[20:21]
	v_mul_u64_e32 v[8:9], s[44:45], v[20:21]
	v_add_nc_u64_e32 v[4:5], s[2:3], v[12:13]
	v_lshl_add_u32 v37, v10, 6, 0x800
	v_add_nc_u64_e32 v[12:13], 16, v[20:21]
	v_cmp_gt_i64_e64 s2, s[6:7], v[20:21]
	s_lshl_b32 s26, s26, 8
	s_mov_b32 s27, s21
	s_lshl_b64 s[28:29], s[38:39], 3
	v_add_nc_u64_e32 v[10:11], 16, v[4:5]
	v_cmp_gt_i64_e64 s3, s[4:5], v[4:5]
	s_lshl_b64 s[16:17], s[16:17], 3
	s_add_nc_u64 s[26:27], s[28:29], s[26:27]
	v_cmp_gt_i64_e64 s33, s[8:9], 0
	v_lshl_or_b32 v34, v0, 8, v18
	v_add_nc_u32_e32 v35, 0x800, v22
	v_cmp_gt_i64_e64 s4, s[4:5], v[10:11]
	v_cmp_gt_i64_e64 s5, s[6:7], v[12:13]
	s_lshl_b64 s[6:7], s[22:23], 8
	v_lshl_add_u64 v[10:11], v[14:15], 3, s[26:27]
	s_add_nc_u64 s[6:7], s[16:17], s[6:7]
	v_and_b32_e32 v12, 0x1ff8, v19
	v_dual_mov_b32 v13, v1 :: v_dual_mov_b32 v19, v1
	v_lshl_add_u64 v[14:15], v[16:17], 3, s[6:7]
	s_lshl_b64 s[6:7], s[50:51], 4
	s_lshl_b64 s[16:17], s[44:45], 4
	s_delay_alu instid0(VALU_DEP_2)
	v_add_nc_u64_e32 v[10:11], v[10:11], v[12:13]
	s_lshl_b64 s[22:23], s[36:37], 6
	v_add_nc_u64_e32 v[12:13], v[14:15], v[18:19]
	s_lshl_b64 s[14:15], s[14:15], 6
	s_lshl_b64 s[24:25], s[24:25], 3
	;; [unrolled: 1-line block ×3, first 2 shown]
	s_branch .LBB21_4
.LBB21_2:                               ;   in Loop: Header=BB21_4 Depth=1
	s_wait_xcnt 0x0
	s_or_b32 exec_lo, exec_lo, s28
.LBB21_3:                               ;   in Loop: Header=BB21_4 Depth=1
	s_add_co_i32 s20, s20, 0x10000
	s_delay_alu instid0(SALU_CYCLE_1)
	s_cmp_lt_i32 s20, s30
	s_cbranch_scc0 .LBB21_35
.LBB21_4:                               ; =>This Loop Header: Depth=1
                                        ;     Child Loop BB21_7 Depth 2
	v_mov_b32_e32 v14, s20
	s_and_not1_b32 vcc_lo, exec_lo, s33
	s_clause 0x1
	global_load_b64 v[20:21], v14, s[42:43] scale_offset
	global_load_b64 v[24:25], v14, s[48:49] scale_offset
	s_cbranch_vccnz .LBB21_11
; %bb.5:                                ;   in Loop: Header=BB21_4 Depth=1
	s_lshl_b64 s[28:29], s[20:21], 3
	s_wait_xcnt 0x0
	v_mov_b64_e32 v[14:15], 0
	s_add_nc_u64 s[34:35], s[18:19], s[28:29]
	s_add_nc_u64 s[28:29], s[12:13], s[28:29]
	s_clause 0x1
	global_load_b64 v[22:23], v1, s[34:35]
	global_load_b64 v[28:29], v1, s[28:29]
	v_mov_b64_e32 v[16:17], 0
	v_mov_b64_e32 v[18:19], 0
	s_wait_xcnt 0x0
	s_mov_b64 s[28:29], 0
	s_wait_loadcnt 0x1
	v_add_nc_u64_e32 v[26:27], v[22:23], v[10:11]
	s_wait_loadcnt 0x0
	v_add_nc_u64_e32 v[28:29], v[28:29], v[12:13]
	v_mov_b64_e32 v[22:23], 0
	s_branch .LBB21_7
.LBB21_6:                               ;   in Loop: Header=BB21_7 Depth=2
	s_wait_xcnt 0x0
	s_or_b32 exec_lo, exec_lo, s34
	s_wait_loadcnt_dscnt 0x0
	ds_store_b64 v35, v[32:33]
	s_wait_dscnt 0x0
	s_barrier_signal -1
	s_barrier_wait -1
	ds_load_b128 v[30:33], v37
	ds_load_2addr_b64 v[38:41], v36 offset1:16
	ds_load_b128 v[42:45], v37 offset:1024
	ds_load_b128 v[46:49], v37 offset:16
	;; [unrolled: 1-line block ×3, first 2 shown]
	s_add_nc_u64 s[28:29], s[28:29], 8
	v_add_nc_u64_e32 v[26:27], s[22:23], v[26:27]
	v_cmp_lt_i64_e64 s34, s[28:29], s[8:9]
	v_add_nc_u64_e32 v[28:29], s[14:15], v[28:29]
	s_and_b32 vcc_lo, exec_lo, s34
	s_wait_dscnt 0x3
	v_fmac_f64_e32 v[22:23], v[38:39], v[30:31]
	v_fmac_f64_e32 v[18:19], v[40:41], v[30:31]
	s_wait_dscnt 0x2
	v_fmac_f64_e32 v[16:17], v[38:39], v[42:43]
	v_fmac_f64_e32 v[14:15], v[40:41], v[42:43]
	ds_load_2addr_b64 v[38:41], v36 offset0:32 offset1:48
	s_wait_dscnt 0x0
	v_fmac_f64_e32 v[22:23], v[38:39], v[32:33]
	v_fmac_f64_e32 v[18:19], v[40:41], v[32:33]
	v_fmac_f64_e32 v[16:17], v[38:39], v[44:45]
	v_fmac_f64_e32 v[14:15], v[40:41], v[44:45]
	ds_load_2addr_b64 v[30:33], v36 offset0:64 offset1:80
	s_wait_dscnt 0x0
	v_fmac_f64_e32 v[22:23], v[30:31], v[46:47]
	v_fmac_f64_e32 v[18:19], v[32:33], v[46:47]
	;; [unrolled: 6-line block ×3, first 2 shown]
	v_fmac_f64_e32 v[16:17], v[30:31], v[52:53]
	v_fmac_f64_e32 v[14:15], v[32:33], v[52:53]
	ds_load_b128 v[30:33], v37 offset:32
	ds_load_2addr_b64 v[38:41], v36 offset0:128 offset1:144
	ds_load_b128 v[42:45], v37 offset:1056
	ds_load_b128 v[46:49], v37 offset:48
	;; [unrolled: 1-line block ×3, first 2 shown]
	s_wait_dscnt 0x3
	v_fmac_f64_e32 v[22:23], v[38:39], v[30:31]
	v_fmac_f64_e32 v[18:19], v[40:41], v[30:31]
	s_wait_dscnt 0x2
	v_fmac_f64_e32 v[16:17], v[38:39], v[42:43]
	v_fmac_f64_e32 v[14:15], v[40:41], v[42:43]
	ds_load_2addr_b64 v[38:41], v36 offset0:160 offset1:176
	s_wait_dscnt 0x0
	v_fmac_f64_e32 v[22:23], v[38:39], v[32:33]
	v_fmac_f64_e32 v[18:19], v[40:41], v[32:33]
	;; [unrolled: 1-line block ×4, first 2 shown]
	ds_load_2addr_b64 v[30:33], v36 offset0:192 offset1:208
	s_wait_dscnt 0x0
	v_fmac_f64_e32 v[22:23], v[30:31], v[46:47]
	v_fmac_f64_e32 v[18:19], v[32:33], v[46:47]
	;; [unrolled: 1-line block ×4, first 2 shown]
	ds_load_2addr_b64 v[30:33], v36 offset0:224 offset1:240
	s_wait_dscnt 0x0
	s_barrier_signal -1
	s_barrier_wait -1
	v_fmac_f64_e32 v[22:23], v[30:31], v[48:49]
	v_fmac_f64_e32 v[18:19], v[32:33], v[48:49]
	;; [unrolled: 1-line block ×4, first 2 shown]
	s_cbranch_vccz .LBB21_12
.LBB21_7:                               ;   Parent Loop BB21_4 Depth=1
                                        ; =>  This Inner Loop Header: Depth=2
	v_add_nc_u64_e32 v[30:31], s[28:29], v[0:1]
	s_delay_alu instid0(VALU_DEP_1) | instskip(SKIP_2) | instid1(SALU_CYCLE_1)
	v_cmp_gt_i64_e32 vcc_lo, s[8:9], v[30:31]
	v_mov_b64_e32 v[30:31], 0
	s_and_b32 s35, s0, vcc_lo
	s_and_saveexec_b32 s34, s35
	s_cbranch_execz .LBB21_9
; %bb.8:                                ;   in Loop: Header=BB21_7 Depth=2
	flat_load_b64 v[30:31], v[28:29]
.LBB21_9:                               ;   in Loop: Header=BB21_7 Depth=2
	s_wait_xcnt 0x0
	s_or_b32 exec_lo, exec_lo, s34
	v_add_nc_u64_e32 v[32:33], s[28:29], v[2:3]
	s_wait_loadcnt_dscnt 0x0
	ds_store_b64 v34, v[30:31]
	v_cmp_gt_i64_e32 vcc_lo, s[8:9], v[32:33]
	v_mov_b64_e32 v[32:33], 0
	s_and_b32 s35, vcc_lo, s1
	s_delay_alu instid0(SALU_CYCLE_1)
	s_and_saveexec_b32 s34, s35
	s_cbranch_execz .LBB21_6
; %bb.10:                               ;   in Loop: Header=BB21_7 Depth=2
	flat_load_b64 v[32:33], v[26:27]
	s_branch .LBB21_6
.LBB21_11:                              ;   in Loop: Header=BB21_4 Depth=1
	v_mov_b64_e32 v[22:23], 0
	v_mov_b64_e32 v[18:19], 0
	;; [unrolled: 1-line block ×3, first 2 shown]
	s_wait_xcnt 0x0
	v_mov_b64_e32 v[14:15], 0
.LBB21_12:                              ;   in Loop: Header=BB21_4 Depth=1
	s_wait_loadcnt 0x0
	v_add_nc_u64_e32 v[24:25], s[24:25], v[24:25]
	s_and_not1_b32 vcc_lo, exec_lo, s31
	s_cbranch_vccnz .LBB21_17
; %bb.13:                               ;   in Loop: Header=BB21_4 Depth=1
	s_and_saveexec_b32 s28, s2
	s_cbranch_execz .LBB21_24
; %bb.14:                               ;   in Loop: Header=BB21_4 Depth=1
	s_delay_alu instid0(VALU_DEP_1) | instskip(NEXT) | instid1(VALU_DEP_1)
	v_lshl_add_u64 v[26:27], v[6:7], 3, v[24:25]
	v_lshl_add_u64 v[28:29], v[4:5], 3, v[26:27]
	s_and_saveexec_b32 s29, s3
	s_cbranch_execnz .LBB21_18
; %bb.15:                               ;   in Loop: Header=BB21_4 Depth=1
	s_or_b32 exec_lo, exec_lo, s29
	s_and_saveexec_b32 s29, s4
	s_cbranch_execnz .LBB21_19
.LBB21_16:                              ;   in Loop: Header=BB21_4 Depth=1
	s_or_b32 exec_lo, exec_lo, s29
	s_delay_alu instid0(SALU_CYCLE_1)
	s_and_b32 exec_lo, exec_lo, s5
	s_cbranch_execnz .LBB21_20
	s_branch .LBB21_24
.LBB21_17:                              ;   in Loop: Header=BB21_4 Depth=1
	s_branch .LBB21_25
.LBB21_18:                              ;   in Loop: Header=BB21_4 Depth=1
	v_mul_f64_e32 v[30:31], s[10:11], v[22:23]
	flat_store_b64 v[28:29], v[30:31]
	s_wait_xcnt 0x0
	s_or_b32 exec_lo, exec_lo, s29
	s_and_saveexec_b32 s29, s4
	s_cbranch_execz .LBB21_16
.LBB21_19:                              ;   in Loop: Header=BB21_4 Depth=1
	v_mul_f64_e32 v[30:31], s[10:11], v[18:19]
	flat_store_b64 v[28:29], v[30:31] offset:128
	s_wait_xcnt 0x0
	s_or_b32 exec_lo, exec_lo, s29
	s_delay_alu instid0(SALU_CYCLE_1)
	s_and_b32 exec_lo, exec_lo, s5
	s_cbranch_execz .LBB21_24
.LBB21_20:                              ;   in Loop: Header=BB21_4 Depth=1
	v_lshl_add_u64 v[26:27], s[6:7], 3, v[26:27]
	s_delay_alu instid0(VALU_DEP_1)
	v_lshl_add_u64 v[26:27], v[4:5], 3, v[26:27]
	s_and_saveexec_b32 s29, s3
	s_cbranch_execz .LBB21_22
; %bb.21:                               ;   in Loop: Header=BB21_4 Depth=1
	v_mul_f64_e32 v[28:29], s[10:11], v[16:17]
	flat_store_b64 v[26:27], v[28:29]
.LBB21_22:                              ;   in Loop: Header=BB21_4 Depth=1
	s_wait_xcnt 0x0
	s_or_b32 exec_lo, exec_lo, s29
	s_delay_alu instid0(SALU_CYCLE_1)
	s_and_b32 exec_lo, exec_lo, s4
	s_cbranch_execz .LBB21_24
; %bb.23:                               ;   in Loop: Header=BB21_4 Depth=1
	v_mul_f64_e32 v[28:29], s[10:11], v[14:15]
	flat_store_b64 v[26:27], v[28:29] offset:128
.LBB21_24:                              ;   in Loop: Header=BB21_4 Depth=1
	s_wait_xcnt 0x0
	s_or_b32 exec_lo, exec_lo, s28
	s_cbranch_execnz .LBB21_3
.LBB21_25:                              ;   in Loop: Header=BB21_4 Depth=1
	s_and_saveexec_b32 s28, s2
	s_cbranch_execz .LBB21_2
; %bb.26:                               ;   in Loop: Header=BB21_4 Depth=1
	v_add_nc_u64_e32 v[26:27], s[26:27], v[20:21]
	v_lshlrev_b64_e32 v[20:21], 3, v[4:5]
	v_lshl_add_u64 v[24:25], v[6:7], 3, v[24:25]
	s_delay_alu instid0(VALU_DEP_3) | instskip(NEXT) | instid1(VALU_DEP_2)
	v_lshl_add_u64 v[26:27], v[8:9], 3, v[26:27]
	v_add_nc_u64_e32 v[28:29], v[24:25], v[20:21]
	s_delay_alu instid0(VALU_DEP_2)
	v_add_nc_u64_e32 v[30:31], v[26:27], v[20:21]
	s_and_saveexec_b32 s29, s3
	s_cbranch_execnz .LBB21_29
; %bb.27:                               ;   in Loop: Header=BB21_4 Depth=1
	s_or_b32 exec_lo, exec_lo, s29
	s_and_saveexec_b32 s29, s4
	s_cbranch_execnz .LBB21_30
.LBB21_28:                              ;   in Loop: Header=BB21_4 Depth=1
	s_or_b32 exec_lo, exec_lo, s29
	s_delay_alu instid0(SALU_CYCLE_1)
	s_and_b32 exec_lo, exec_lo, s5
	s_cbranch_execz .LBB21_2
	s_branch .LBB21_31
.LBB21_29:                              ;   in Loop: Header=BB21_4 Depth=1
	flat_load_b64 v[32:33], v[30:31]
	s_wait_loadcnt_dscnt 0x0
	v_mul_f64_e32 v[32:33], s[40:41], v[32:33]
	s_delay_alu instid0(VALU_DEP_1)
	v_fmac_f64_e32 v[32:33], s[10:11], v[22:23]
	flat_store_b64 v[28:29], v[32:33]
	s_wait_xcnt 0x0
	s_or_b32 exec_lo, exec_lo, s29
	s_and_saveexec_b32 s29, s4
	s_cbranch_execz .LBB21_28
.LBB21_30:                              ;   in Loop: Header=BB21_4 Depth=1
	flat_load_b64 v[22:23], v[30:31] offset:128
	s_wait_loadcnt_dscnt 0x0
	v_mul_f64_e32 v[22:23], s[40:41], v[22:23]
	s_delay_alu instid0(VALU_DEP_1) | instskip(SKIP_3) | instid1(SALU_CYCLE_1)
	v_fmac_f64_e32 v[22:23], s[10:11], v[18:19]
	flat_store_b64 v[28:29], v[22:23] offset:128
	s_wait_xcnt 0x0
	s_or_b32 exec_lo, exec_lo, s29
	s_and_b32 exec_lo, exec_lo, s5
	s_cbranch_execz .LBB21_2
.LBB21_31:                              ;   in Loop: Header=BB21_4 Depth=1
	v_lshl_add_u64 v[18:19], s[16:17], 3, v[26:27]
	v_lshl_add_u64 v[24:25], s[6:7], 3, v[24:25]
	s_delay_alu instid0(VALU_DEP_2) | instskip(NEXT) | instid1(VALU_DEP_2)
	v_add_nc_u64_e32 v[22:23], v[18:19], v[20:21]
	v_add_nc_u64_e32 v[18:19], v[24:25], v[20:21]
	s_and_saveexec_b32 s29, s3
	s_cbranch_execz .LBB21_33
; %bb.32:                               ;   in Loop: Header=BB21_4 Depth=1
	flat_load_b64 v[20:21], v[22:23]
	s_wait_loadcnt_dscnt 0x0
	v_mul_f64_e32 v[20:21], s[40:41], v[20:21]
	s_delay_alu instid0(VALU_DEP_1)
	v_fmac_f64_e32 v[20:21], s[10:11], v[16:17]
	flat_store_b64 v[18:19], v[20:21]
.LBB21_33:                              ;   in Loop: Header=BB21_4 Depth=1
	s_wait_xcnt 0x0
	s_or_b32 exec_lo, exec_lo, s29
	s_delay_alu instid0(SALU_CYCLE_1)
	s_and_b32 exec_lo, exec_lo, s4
	s_cbranch_execz .LBB21_2
; %bb.34:                               ;   in Loop: Header=BB21_4 Depth=1
	flat_load_b64 v[16:17], v[22:23] offset:128
	s_wait_loadcnt_dscnt 0x0
	v_mul_f64_e32 v[16:17], s[40:41], v[16:17]
	s_delay_alu instid0(VALU_DEP_1)
	v_fmac_f64_e32 v[16:17], s[10:11], v[14:15]
	flat_store_b64 v[18:19], v[16:17] offset:128
	s_branch .LBB21_2
.LBB21_35:
	s_endpgm
	.section	.rodata,"a",@progbits
	.p2align	6, 0x0
	.amdhsa_kernel _ZN12_GLOBAL__N_135rocblas_gemm_batched_general_kernelIdLi16ELi16ELi32ELi32ELi8ELi32ELi8ELi8ELi32ELc78ELc84EKPKdS3_KPdEEvlllT_PT11_llS8_llS6_PT12_llPT13_lli
		.amdhsa_group_segment_fixed_size 4096
		.amdhsa_private_segment_fixed_size 0
		.amdhsa_kernarg_size 140
		.amdhsa_user_sgpr_count 2
		.amdhsa_user_sgpr_dispatch_ptr 0
		.amdhsa_user_sgpr_queue_ptr 0
		.amdhsa_user_sgpr_kernarg_segment_ptr 1
		.amdhsa_user_sgpr_dispatch_id 0
		.amdhsa_user_sgpr_kernarg_preload_length 0
		.amdhsa_user_sgpr_kernarg_preload_offset 0
		.amdhsa_user_sgpr_private_segment_size 0
		.amdhsa_wavefront_size32 1
		.amdhsa_uses_dynamic_stack 0
		.amdhsa_enable_private_segment 0
		.amdhsa_system_sgpr_workgroup_id_x 1
		.amdhsa_system_sgpr_workgroup_id_y 1
		.amdhsa_system_sgpr_workgroup_id_z 1
		.amdhsa_system_sgpr_workgroup_info 0
		.amdhsa_system_vgpr_workitem_id 1
		.amdhsa_next_free_vgpr 54
		.amdhsa_next_free_sgpr 52
		.amdhsa_named_barrier_count 0
		.amdhsa_reserve_vcc 1
		.amdhsa_float_round_mode_32 0
		.amdhsa_float_round_mode_16_64 0
		.amdhsa_float_denorm_mode_32 3
		.amdhsa_float_denorm_mode_16_64 3
		.amdhsa_fp16_overflow 0
		.amdhsa_memory_ordered 1
		.amdhsa_forward_progress 1
		.amdhsa_inst_pref_size 14
		.amdhsa_round_robin_scheduling 0
		.amdhsa_exception_fp_ieee_invalid_op 0
		.amdhsa_exception_fp_denorm_src 0
		.amdhsa_exception_fp_ieee_div_zero 0
		.amdhsa_exception_fp_ieee_overflow 0
		.amdhsa_exception_fp_ieee_underflow 0
		.amdhsa_exception_fp_ieee_inexact 0
		.amdhsa_exception_int_div_zero 0
	.end_amdhsa_kernel
	.section	.text._ZN12_GLOBAL__N_135rocblas_gemm_batched_general_kernelIdLi16ELi16ELi32ELi32ELi8ELi32ELi8ELi8ELi32ELc78ELc84EKPKdS3_KPdEEvlllT_PT11_llS8_llS6_PT12_llPT13_lli,"axG",@progbits,_ZN12_GLOBAL__N_135rocblas_gemm_batched_general_kernelIdLi16ELi16ELi32ELi32ELi8ELi32ELi8ELi8ELi32ELc78ELc84EKPKdS3_KPdEEvlllT_PT11_llS8_llS6_PT12_llPT13_lli,comdat
.Lfunc_end21:
	.size	_ZN12_GLOBAL__N_135rocblas_gemm_batched_general_kernelIdLi16ELi16ELi32ELi32ELi8ELi32ELi8ELi8ELi32ELc78ELc84EKPKdS3_KPdEEvlllT_PT11_llS8_llS6_PT12_llPT13_lli, .Lfunc_end21-_ZN12_GLOBAL__N_135rocblas_gemm_batched_general_kernelIdLi16ELi16ELi32ELi32ELi8ELi32ELi8ELi8ELi32ELc78ELc84EKPKdS3_KPdEEvlllT_PT11_llS8_llS6_PT12_llPT13_lli
                                        ; -- End function
	.set _ZN12_GLOBAL__N_135rocblas_gemm_batched_general_kernelIdLi16ELi16ELi32ELi32ELi8ELi32ELi8ELi8ELi32ELc78ELc84EKPKdS3_KPdEEvlllT_PT11_llS8_llS6_PT12_llPT13_lli.num_vgpr, 54
	.set _ZN12_GLOBAL__N_135rocblas_gemm_batched_general_kernelIdLi16ELi16ELi32ELi32ELi8ELi32ELi8ELi8ELi32ELc78ELc84EKPKdS3_KPdEEvlllT_PT11_llS8_llS6_PT12_llPT13_lli.num_agpr, 0
	.set _ZN12_GLOBAL__N_135rocblas_gemm_batched_general_kernelIdLi16ELi16ELi32ELi32ELi8ELi32ELi8ELi8ELi32ELc78ELc84EKPKdS3_KPdEEvlllT_PT11_llS8_llS6_PT12_llPT13_lli.numbered_sgpr, 52
	.set _ZN12_GLOBAL__N_135rocblas_gemm_batched_general_kernelIdLi16ELi16ELi32ELi32ELi8ELi32ELi8ELi8ELi32ELc78ELc84EKPKdS3_KPdEEvlllT_PT11_llS8_llS6_PT12_llPT13_lli.num_named_barrier, 0
	.set _ZN12_GLOBAL__N_135rocblas_gemm_batched_general_kernelIdLi16ELi16ELi32ELi32ELi8ELi32ELi8ELi8ELi32ELc78ELc84EKPKdS3_KPdEEvlllT_PT11_llS8_llS6_PT12_llPT13_lli.private_seg_size, 0
	.set _ZN12_GLOBAL__N_135rocblas_gemm_batched_general_kernelIdLi16ELi16ELi32ELi32ELi8ELi32ELi8ELi8ELi32ELc78ELc84EKPKdS3_KPdEEvlllT_PT11_llS8_llS6_PT12_llPT13_lli.uses_vcc, 1
	.set _ZN12_GLOBAL__N_135rocblas_gemm_batched_general_kernelIdLi16ELi16ELi32ELi32ELi8ELi32ELi8ELi8ELi32ELc78ELc84EKPKdS3_KPdEEvlllT_PT11_llS8_llS6_PT12_llPT13_lli.uses_flat_scratch, 0
	.set _ZN12_GLOBAL__N_135rocblas_gemm_batched_general_kernelIdLi16ELi16ELi32ELi32ELi8ELi32ELi8ELi8ELi32ELc78ELc84EKPKdS3_KPdEEvlllT_PT11_llS8_llS6_PT12_llPT13_lli.has_dyn_sized_stack, 0
	.set _ZN12_GLOBAL__N_135rocblas_gemm_batched_general_kernelIdLi16ELi16ELi32ELi32ELi8ELi32ELi8ELi8ELi32ELc78ELc84EKPKdS3_KPdEEvlllT_PT11_llS8_llS6_PT12_llPT13_lli.has_recursion, 0
	.set _ZN12_GLOBAL__N_135rocblas_gemm_batched_general_kernelIdLi16ELi16ELi32ELi32ELi8ELi32ELi8ELi8ELi32ELc78ELc84EKPKdS3_KPdEEvlllT_PT11_llS8_llS6_PT12_llPT13_lli.has_indirect_call, 0
	.section	.AMDGPU.csdata,"",@progbits
; Kernel info:
; codeLenInByte = 1772
; TotalNumSgprs: 54
; NumVgprs: 54
; ScratchSize: 0
; MemoryBound: 0
; FloatMode: 240
; IeeeMode: 1
; LDSByteSize: 4096 bytes/workgroup (compile time only)
; SGPRBlocks: 0
; VGPRBlocks: 3
; NumSGPRsForWavesPerEU: 54
; NumVGPRsForWavesPerEU: 54
; NamedBarCnt: 0
; Occupancy: 16
; WaveLimiterHint : 1
; COMPUTE_PGM_RSRC2:SCRATCH_EN: 0
; COMPUTE_PGM_RSRC2:USER_SGPR: 2
; COMPUTE_PGM_RSRC2:TRAP_HANDLER: 0
; COMPUTE_PGM_RSRC2:TGID_X_EN: 1
; COMPUTE_PGM_RSRC2:TGID_Y_EN: 1
; COMPUTE_PGM_RSRC2:TGID_Z_EN: 1
; COMPUTE_PGM_RSRC2:TIDIG_COMP_CNT: 1
	.section	.text._ZN12_GLOBAL__N_135rocblas_gemm_batched_general_kernelIdLi16ELi16ELi32ELi32ELi8ELi32ELi8ELi8ELi32ELc84ELc84EKPKdS3_KPdEEvlllT_PT11_llS8_llS6_PT12_llPT13_lli,"axG",@progbits,_ZN12_GLOBAL__N_135rocblas_gemm_batched_general_kernelIdLi16ELi16ELi32ELi32ELi8ELi32ELi8ELi8ELi32ELc84ELc84EKPKdS3_KPdEEvlllT_PT11_llS8_llS6_PT12_llPT13_lli,comdat
	.globl	_ZN12_GLOBAL__N_135rocblas_gemm_batched_general_kernelIdLi16ELi16ELi32ELi32ELi8ELi32ELi8ELi8ELi32ELc84ELc84EKPKdS3_KPdEEvlllT_PT11_llS8_llS6_PT12_llPT13_lli ; -- Begin function _ZN12_GLOBAL__N_135rocblas_gemm_batched_general_kernelIdLi16ELi16ELi32ELi32ELi8ELi32ELi8ELi8ELi32ELc84ELc84EKPKdS3_KPdEEvlllT_PT11_llS8_llS6_PT12_llPT13_lli
	.p2align	8
	.type	_ZN12_GLOBAL__N_135rocblas_gemm_batched_general_kernelIdLi16ELi16ELi32ELi32ELi8ELi32ELi8ELi8ELi32ELc84ELc84EKPKdS3_KPdEEvlllT_PT11_llS8_llS6_PT12_llPT13_lli,@function
_ZN12_GLOBAL__N_135rocblas_gemm_batched_general_kernelIdLi16ELi16ELi32ELi32ELi8ELi32ELi8ELi8ELi32ELc84ELc84EKPKdS3_KPdEEvlllT_PT11_llS8_llS6_PT12_llPT13_lli: ; @_ZN12_GLOBAL__N_135rocblas_gemm_batched_general_kernelIdLi16ELi16ELi32ELi32ELi8ELi32ELi8ELi8ELi32ELc84ELc84EKPKdS3_KPdEEvlllT_PT11_llS8_llS6_PT12_llPT13_lli
; %bb.0:
	s_load_b32 s28, s[0:1], 0x88
	s_bfe_u32 s2, ttmp6, 0x40014
	s_lshr_b32 s3, ttmp7, 16
	s_add_co_i32 s2, s2, 1
	s_bfe_u32 s5, ttmp6, 0x40008
	s_mul_i32 s4, s3, s2
	s_getreg_b32 s2, hwreg(HW_REG_IB_STS2, 6, 4)
	s_add_co_i32 s5, s5, s4
	s_cmp_eq_u32 s2, 0
	s_mov_b32 s21, 0
	s_cselect_b32 s20, s3, s5
	s_wait_kmcnt 0x0
	s_cmp_ge_i32 s20, s28
	s_cbranch_scc1 .LBB22_35
; %bb.1:
	s_clause 0x2
	s_load_b512 s[4:19], s[0:1], 0x0
	s_load_b512 s[36:51], s[0:1], 0x40
	s_load_b64 s[22:23], s[0:1], 0x80
	v_bfe_u32 v10, v0, 10, 10
	v_and_b32_e32 v12, 0x3ff, v0
	s_wait_xcnt 0x0
	s_bfe_u32 s0, ttmp6, 0x4000c
	s_bfe_u32 s3, ttmp6, 0x40010
	s_add_co_i32 s0, s0, 1
	s_and_b32 s24, ttmp7, 0xffff
	s_add_co_i32 s3, s3, 1
	s_and_b32 s1, ttmp6, 15
	s_mul_i32 s0, ttmp9, s0
	s_mul_i32 s3, s24, s3
	s_bfe_u32 s25, ttmp6, 0x40004
	v_lshl_add_u32 v22, v10, 4, v12
	s_add_co_i32 s1, s1, s0
	s_add_co_i32 s25, s25, s3
	s_cmp_eq_u32 s2, 0
	s_delay_alu instid0(VALU_DEP_1) | instskip(SKIP_3) | instid1(VALU_DEP_1)
	v_dual_mov_b32 v1, 0 :: v_dual_bitop2_b32 v8, 31, v22 bitop3:0x40
	s_cselect_b32 s0, ttmp9, s1
	s_cselect_b32 s24, s24, s25
	s_ashr_i32 s1, s0, 31
	v_dual_mov_b32 v3, v1 :: v_dual_bitop2_b32 v2, 7, v0 bitop3:0x40
	s_lshl_b64 s[2:3], s[0:1], 5
	s_delay_alu instid0(SALU_CYCLE_1)
	v_dual_mov_b32 v11, v1 :: v_dual_bitop2_b32 v4, s2, v8 bitop3:0x54
	v_dual_mov_b32 v5, s3 :: v_dual_mov_b32 v13, v1
	s_wait_kmcnt 0x0
	v_mul_u64_e32 v[14:15], s[36:37], v[2:3]
	s_lshl_b32 s0, s24, 5
	s_mov_b32 s1, s21
	v_mul_u64_e32 v[16:17], s[14:15], v[4:5]
	v_add_nc_u64_e32 v[18:19], s[0:1], v[10:11]
	v_dual_lshrrev_b32 v0, 5, v22 :: v_dual_lshrrev_b32 v6, 3, v22
	v_dual_mov_b32 v7, v1 :: v_dual_lshlrev_b32 v8, 3, v8
	v_dual_lshlrev_b32 v9, 3, v2 :: v_dual_lshlrev_b32 v36, 3, v12
	v_cmp_eq_f64_e64 s29, s[40:41], 0
	s_delay_alu instid0(VALU_DEP_3) | instskip(NEXT) | instid1(VALU_DEP_4)
	v_add_nc_u64_e32 v[20:21], s[0:1], v[6:7]
	v_lshl_or_b32 v34, v0, 8, v8
	s_delay_alu instid0(VALU_DEP_4)
	v_lshl_or_b32 v11, v6, 6, v9
	v_mul_u64_e32 v[6:7], s[50:51], v[18:19]
	v_mul_u64_e32 v[8:9], s[44:45], v[18:19]
	v_cmp_gt_i64_e64 s0, s[4:5], v[4:5]
	v_add_nc_u64_e32 v[4:5], s[2:3], v[12:13]
	s_lshl_b32 s14, s24, 8
	s_mov_b32 s15, s21
	s_lshl_b64 s[24:25], s[38:39], 3
	v_add_nc_u32_e32 v35, 0x800, v11
	s_add_nc_u64 s[14:15], s[24:25], s[14:15]
	v_lshl_add_u32 v37, v10, 6, 0x800
	v_add_nc_u64_e32 v[12:13], 16, v[4:5]
	v_cmp_gt_i64_e64 s3, s[4:5], v[4:5]
	v_add_nc_u64_e32 v[10:11], 16, v[18:19]
	v_cmp_gt_i64_e64 s2, s[6:7], v[18:19]
	v_dual_mov_b32 v19, v1 :: v_dual_lshlrev_b32 v18, 3, v0
	v_cmp_gt_i64_e64 s1, s[6:7], v[20:21]
	v_cmp_gt_i64_e64 s4, s[4:5], v[12:13]
	v_lshl_add_u64 v[12:13], v[14:15], 3, s[14:15]
	s_lshl_b64 s[14:15], s[16:17], 3
	v_and_b32_e32 v14, 0x1ff8, v22
	v_mov_b32_e32 v15, v1
	v_lshl_add_u64 v[16:17], v[16:17], 3, s[14:15]
	v_cmp_gt_i64_e64 s5, s[6:7], v[10:11]
	v_cmp_gt_i64_e64 s30, s[8:9], 0
	s_lshl_b64 s[6:7], s[50:51], 4
	v_add_nc_u64_e32 v[10:11], v[12:13], v[14:15]
	v_add_nc_u64_e32 v[12:13], v[16:17], v[18:19]
	s_lshl_b64 s[14:15], s[44:45], 4
	s_lshl_b64 s[16:17], s[36:37], 6
	;; [unrolled: 1-line block ×4, first 2 shown]
	s_branch .LBB22_4
.LBB22_2:                               ;   in Loop: Header=BB22_4 Depth=1
	s_wait_xcnt 0x0
	s_or_b32 exec_lo, exec_lo, s26
.LBB22_3:                               ;   in Loop: Header=BB22_4 Depth=1
	s_add_co_i32 s20, s20, 0x10000
	s_delay_alu instid0(SALU_CYCLE_1)
	s_cmp_lt_i32 s20, s28
	s_cbranch_scc0 .LBB22_35
.LBB22_4:                               ; =>This Loop Header: Depth=1
                                        ;     Child Loop BB22_7 Depth 2
	v_mov_b32_e32 v14, s20
	s_and_not1_b32 vcc_lo, exec_lo, s30
	s_clause 0x1
	global_load_b64 v[20:21], v14, s[42:43] scale_offset
	global_load_b64 v[24:25], v14, s[48:49] scale_offset
	s_cbranch_vccnz .LBB22_11
; %bb.5:                                ;   in Loop: Header=BB22_4 Depth=1
	s_lshl_b64 s[26:27], s[20:21], 3
	s_wait_xcnt 0x0
	v_mov_b64_e32 v[14:15], 0
	s_add_nc_u64 s[34:35], s[18:19], s[26:27]
	s_add_nc_u64 s[26:27], s[12:13], s[26:27]
	s_clause 0x1
	global_load_b64 v[22:23], v1, s[34:35]
	global_load_b64 v[28:29], v1, s[26:27]
	v_mov_b64_e32 v[16:17], 0
	v_mov_b64_e32 v[18:19], 0
	s_wait_xcnt 0x0
	s_mov_b64 s[26:27], 0
	s_wait_loadcnt 0x1
	v_add_nc_u64_e32 v[26:27], v[22:23], v[10:11]
	s_wait_loadcnt 0x0
	v_add_nc_u64_e32 v[28:29], v[28:29], v[12:13]
	v_mov_b64_e32 v[22:23], 0
	s_branch .LBB22_7
.LBB22_6:                               ;   in Loop: Header=BB22_7 Depth=2
	s_wait_xcnt 0x0
	s_or_b32 exec_lo, exec_lo, s31
	s_wait_loadcnt_dscnt 0x0
	ds_store_b64 v35, v[32:33]
	s_wait_dscnt 0x0
	s_barrier_signal -1
	s_barrier_wait -1
	ds_load_b128 v[30:33], v37
	ds_load_2addr_b64 v[38:41], v36 offset1:16
	ds_load_b128 v[42:45], v37 offset:1024
	ds_load_b128 v[46:49], v37 offset:16
	;; [unrolled: 1-line block ×3, first 2 shown]
	s_add_nc_u64 s[26:27], s[26:27], 8
	v_add_nc_u64_e32 v[26:27], s[16:17], v[26:27]
	v_cmp_lt_i64_e64 s31, s[26:27], s[8:9]
	v_add_nc_u64_e32 v[28:29], 64, v[28:29]
	s_and_b32 vcc_lo, exec_lo, s31
	s_wait_dscnt 0x3
	v_fmac_f64_e32 v[22:23], v[38:39], v[30:31]
	v_fmac_f64_e32 v[18:19], v[40:41], v[30:31]
	s_wait_dscnt 0x2
	v_fmac_f64_e32 v[16:17], v[38:39], v[42:43]
	v_fmac_f64_e32 v[14:15], v[40:41], v[42:43]
	ds_load_2addr_b64 v[38:41], v36 offset0:32 offset1:48
	s_wait_dscnt 0x0
	v_fmac_f64_e32 v[22:23], v[38:39], v[32:33]
	v_fmac_f64_e32 v[18:19], v[40:41], v[32:33]
	v_fmac_f64_e32 v[16:17], v[38:39], v[44:45]
	v_fmac_f64_e32 v[14:15], v[40:41], v[44:45]
	ds_load_2addr_b64 v[30:33], v36 offset0:64 offset1:80
	s_wait_dscnt 0x0
	v_fmac_f64_e32 v[22:23], v[30:31], v[46:47]
	v_fmac_f64_e32 v[18:19], v[32:33], v[46:47]
	;; [unrolled: 6-line block ×3, first 2 shown]
	v_fmac_f64_e32 v[16:17], v[30:31], v[52:53]
	v_fmac_f64_e32 v[14:15], v[32:33], v[52:53]
	ds_load_b128 v[30:33], v37 offset:32
	ds_load_2addr_b64 v[38:41], v36 offset0:128 offset1:144
	ds_load_b128 v[42:45], v37 offset:1056
	ds_load_b128 v[46:49], v37 offset:48
	;; [unrolled: 1-line block ×3, first 2 shown]
	s_wait_dscnt 0x3
	v_fmac_f64_e32 v[22:23], v[38:39], v[30:31]
	v_fmac_f64_e32 v[18:19], v[40:41], v[30:31]
	s_wait_dscnt 0x2
	v_fmac_f64_e32 v[16:17], v[38:39], v[42:43]
	v_fmac_f64_e32 v[14:15], v[40:41], v[42:43]
	ds_load_2addr_b64 v[38:41], v36 offset0:160 offset1:176
	s_wait_dscnt 0x0
	v_fmac_f64_e32 v[22:23], v[38:39], v[32:33]
	v_fmac_f64_e32 v[18:19], v[40:41], v[32:33]
	;; [unrolled: 1-line block ×4, first 2 shown]
	ds_load_2addr_b64 v[30:33], v36 offset0:192 offset1:208
	s_wait_dscnt 0x0
	v_fmac_f64_e32 v[22:23], v[30:31], v[46:47]
	v_fmac_f64_e32 v[18:19], v[32:33], v[46:47]
	;; [unrolled: 1-line block ×4, first 2 shown]
	ds_load_2addr_b64 v[30:33], v36 offset0:224 offset1:240
	s_wait_dscnt 0x0
	s_barrier_signal -1
	s_barrier_wait -1
	v_fmac_f64_e32 v[22:23], v[30:31], v[48:49]
	v_fmac_f64_e32 v[18:19], v[32:33], v[48:49]
	;; [unrolled: 1-line block ×4, first 2 shown]
	s_cbranch_vccz .LBB22_12
.LBB22_7:                               ;   Parent Loop BB22_4 Depth=1
                                        ; =>  This Inner Loop Header: Depth=2
	v_add_nc_u64_e32 v[30:31], s[26:27], v[0:1]
	s_delay_alu instid0(VALU_DEP_1) | instskip(SKIP_2) | instid1(SALU_CYCLE_1)
	v_cmp_gt_i64_e32 vcc_lo, s[8:9], v[30:31]
	v_mov_b64_e32 v[30:31], 0
	s_and_b32 s33, s0, vcc_lo
	s_and_saveexec_b32 s31, s33
	s_cbranch_execz .LBB22_9
; %bb.8:                                ;   in Loop: Header=BB22_7 Depth=2
	flat_load_b64 v[30:31], v[28:29]
.LBB22_9:                               ;   in Loop: Header=BB22_7 Depth=2
	s_wait_xcnt 0x0
	s_or_b32 exec_lo, exec_lo, s31
	v_add_nc_u64_e32 v[32:33], s[26:27], v[2:3]
	s_wait_loadcnt_dscnt 0x0
	ds_store_b64 v34, v[30:31]
	v_cmp_gt_i64_e32 vcc_lo, s[8:9], v[32:33]
	v_mov_b64_e32 v[32:33], 0
	s_and_b32 s33, vcc_lo, s1
	s_delay_alu instid0(SALU_CYCLE_1)
	s_and_saveexec_b32 s31, s33
	s_cbranch_execz .LBB22_6
; %bb.10:                               ;   in Loop: Header=BB22_7 Depth=2
	flat_load_b64 v[32:33], v[26:27]
	s_branch .LBB22_6
.LBB22_11:                              ;   in Loop: Header=BB22_4 Depth=1
	v_mov_b64_e32 v[22:23], 0
	v_mov_b64_e32 v[18:19], 0
	;; [unrolled: 1-line block ×3, first 2 shown]
	s_wait_xcnt 0x0
	v_mov_b64_e32 v[14:15], 0
.LBB22_12:                              ;   in Loop: Header=BB22_4 Depth=1
	s_wait_loadcnt 0x0
	v_add_nc_u64_e32 v[24:25], s[22:23], v[24:25]
	s_and_not1_b32 vcc_lo, exec_lo, s29
	s_cbranch_vccnz .LBB22_17
; %bb.13:                               ;   in Loop: Header=BB22_4 Depth=1
	s_and_saveexec_b32 s26, s2
	s_cbranch_execz .LBB22_24
; %bb.14:                               ;   in Loop: Header=BB22_4 Depth=1
	s_delay_alu instid0(VALU_DEP_1) | instskip(NEXT) | instid1(VALU_DEP_1)
	v_lshl_add_u64 v[26:27], v[6:7], 3, v[24:25]
	v_lshl_add_u64 v[28:29], v[4:5], 3, v[26:27]
	s_and_saveexec_b32 s27, s3
	s_cbranch_execnz .LBB22_18
; %bb.15:                               ;   in Loop: Header=BB22_4 Depth=1
	s_or_b32 exec_lo, exec_lo, s27
	s_and_saveexec_b32 s27, s4
	s_cbranch_execnz .LBB22_19
.LBB22_16:                              ;   in Loop: Header=BB22_4 Depth=1
	s_or_b32 exec_lo, exec_lo, s27
	s_delay_alu instid0(SALU_CYCLE_1)
	s_and_b32 exec_lo, exec_lo, s5
	s_cbranch_execnz .LBB22_20
	s_branch .LBB22_24
.LBB22_17:                              ;   in Loop: Header=BB22_4 Depth=1
	s_branch .LBB22_25
.LBB22_18:                              ;   in Loop: Header=BB22_4 Depth=1
	v_mul_f64_e32 v[30:31], s[10:11], v[22:23]
	flat_store_b64 v[28:29], v[30:31]
	s_wait_xcnt 0x0
	s_or_b32 exec_lo, exec_lo, s27
	s_and_saveexec_b32 s27, s4
	s_cbranch_execz .LBB22_16
.LBB22_19:                              ;   in Loop: Header=BB22_4 Depth=1
	v_mul_f64_e32 v[30:31], s[10:11], v[18:19]
	flat_store_b64 v[28:29], v[30:31] offset:128
	s_wait_xcnt 0x0
	s_or_b32 exec_lo, exec_lo, s27
	s_delay_alu instid0(SALU_CYCLE_1)
	s_and_b32 exec_lo, exec_lo, s5
	s_cbranch_execz .LBB22_24
.LBB22_20:                              ;   in Loop: Header=BB22_4 Depth=1
	v_lshl_add_u64 v[26:27], s[6:7], 3, v[26:27]
	s_delay_alu instid0(VALU_DEP_1)
	v_lshl_add_u64 v[26:27], v[4:5], 3, v[26:27]
	s_and_saveexec_b32 s27, s3
	s_cbranch_execz .LBB22_22
; %bb.21:                               ;   in Loop: Header=BB22_4 Depth=1
	v_mul_f64_e32 v[28:29], s[10:11], v[16:17]
	flat_store_b64 v[26:27], v[28:29]
.LBB22_22:                              ;   in Loop: Header=BB22_4 Depth=1
	s_wait_xcnt 0x0
	s_or_b32 exec_lo, exec_lo, s27
	s_delay_alu instid0(SALU_CYCLE_1)
	s_and_b32 exec_lo, exec_lo, s4
	s_cbranch_execz .LBB22_24
; %bb.23:                               ;   in Loop: Header=BB22_4 Depth=1
	v_mul_f64_e32 v[28:29], s[10:11], v[14:15]
	flat_store_b64 v[26:27], v[28:29] offset:128
.LBB22_24:                              ;   in Loop: Header=BB22_4 Depth=1
	s_wait_xcnt 0x0
	s_or_b32 exec_lo, exec_lo, s26
	s_cbranch_execnz .LBB22_3
.LBB22_25:                              ;   in Loop: Header=BB22_4 Depth=1
	s_and_saveexec_b32 s26, s2
	s_cbranch_execz .LBB22_2
; %bb.26:                               ;   in Loop: Header=BB22_4 Depth=1
	v_add_nc_u64_e32 v[26:27], s[24:25], v[20:21]
	v_lshlrev_b64_e32 v[20:21], 3, v[4:5]
	v_lshl_add_u64 v[24:25], v[6:7], 3, v[24:25]
	s_delay_alu instid0(VALU_DEP_3) | instskip(NEXT) | instid1(VALU_DEP_2)
	v_lshl_add_u64 v[26:27], v[8:9], 3, v[26:27]
	v_add_nc_u64_e32 v[28:29], v[24:25], v[20:21]
	s_delay_alu instid0(VALU_DEP_2)
	v_add_nc_u64_e32 v[30:31], v[26:27], v[20:21]
	s_and_saveexec_b32 s27, s3
	s_cbranch_execnz .LBB22_29
; %bb.27:                               ;   in Loop: Header=BB22_4 Depth=1
	s_or_b32 exec_lo, exec_lo, s27
	s_and_saveexec_b32 s27, s4
	s_cbranch_execnz .LBB22_30
.LBB22_28:                              ;   in Loop: Header=BB22_4 Depth=1
	s_or_b32 exec_lo, exec_lo, s27
	s_delay_alu instid0(SALU_CYCLE_1)
	s_and_b32 exec_lo, exec_lo, s5
	s_cbranch_execz .LBB22_2
	s_branch .LBB22_31
.LBB22_29:                              ;   in Loop: Header=BB22_4 Depth=1
	flat_load_b64 v[32:33], v[30:31]
	s_wait_loadcnt_dscnt 0x0
	v_mul_f64_e32 v[32:33], s[40:41], v[32:33]
	s_delay_alu instid0(VALU_DEP_1)
	v_fmac_f64_e32 v[32:33], s[10:11], v[22:23]
	flat_store_b64 v[28:29], v[32:33]
	s_wait_xcnt 0x0
	s_or_b32 exec_lo, exec_lo, s27
	s_and_saveexec_b32 s27, s4
	s_cbranch_execz .LBB22_28
.LBB22_30:                              ;   in Loop: Header=BB22_4 Depth=1
	flat_load_b64 v[22:23], v[30:31] offset:128
	s_wait_loadcnt_dscnt 0x0
	v_mul_f64_e32 v[22:23], s[40:41], v[22:23]
	s_delay_alu instid0(VALU_DEP_1) | instskip(SKIP_3) | instid1(SALU_CYCLE_1)
	v_fmac_f64_e32 v[22:23], s[10:11], v[18:19]
	flat_store_b64 v[28:29], v[22:23] offset:128
	s_wait_xcnt 0x0
	s_or_b32 exec_lo, exec_lo, s27
	s_and_b32 exec_lo, exec_lo, s5
	s_cbranch_execz .LBB22_2
.LBB22_31:                              ;   in Loop: Header=BB22_4 Depth=1
	v_lshl_add_u64 v[18:19], s[14:15], 3, v[26:27]
	v_lshl_add_u64 v[24:25], s[6:7], 3, v[24:25]
	s_delay_alu instid0(VALU_DEP_2) | instskip(NEXT) | instid1(VALU_DEP_2)
	v_add_nc_u64_e32 v[22:23], v[18:19], v[20:21]
	v_add_nc_u64_e32 v[18:19], v[24:25], v[20:21]
	s_and_saveexec_b32 s27, s3
	s_cbranch_execz .LBB22_33
; %bb.32:                               ;   in Loop: Header=BB22_4 Depth=1
	flat_load_b64 v[20:21], v[22:23]
	s_wait_loadcnt_dscnt 0x0
	v_mul_f64_e32 v[20:21], s[40:41], v[20:21]
	s_delay_alu instid0(VALU_DEP_1)
	v_fmac_f64_e32 v[20:21], s[10:11], v[16:17]
	flat_store_b64 v[18:19], v[20:21]
.LBB22_33:                              ;   in Loop: Header=BB22_4 Depth=1
	s_wait_xcnt 0x0
	s_or_b32 exec_lo, exec_lo, s27
	s_delay_alu instid0(SALU_CYCLE_1)
	s_and_b32 exec_lo, exec_lo, s4
	s_cbranch_execz .LBB22_2
; %bb.34:                               ;   in Loop: Header=BB22_4 Depth=1
	flat_load_b64 v[16:17], v[22:23] offset:128
	s_wait_loadcnt_dscnt 0x0
	v_mul_f64_e32 v[16:17], s[40:41], v[16:17]
	s_delay_alu instid0(VALU_DEP_1)
	v_fmac_f64_e32 v[16:17], s[10:11], v[14:15]
	flat_store_b64 v[18:19], v[16:17] offset:128
	s_branch .LBB22_2
.LBB22_35:
	s_endpgm
	.section	.rodata,"a",@progbits
	.p2align	6, 0x0
	.amdhsa_kernel _ZN12_GLOBAL__N_135rocblas_gemm_batched_general_kernelIdLi16ELi16ELi32ELi32ELi8ELi32ELi8ELi8ELi32ELc84ELc84EKPKdS3_KPdEEvlllT_PT11_llS8_llS6_PT12_llPT13_lli
		.amdhsa_group_segment_fixed_size 4096
		.amdhsa_private_segment_fixed_size 0
		.amdhsa_kernarg_size 140
		.amdhsa_user_sgpr_count 2
		.amdhsa_user_sgpr_dispatch_ptr 0
		.amdhsa_user_sgpr_queue_ptr 0
		.amdhsa_user_sgpr_kernarg_segment_ptr 1
		.amdhsa_user_sgpr_dispatch_id 0
		.amdhsa_user_sgpr_kernarg_preload_length 0
		.amdhsa_user_sgpr_kernarg_preload_offset 0
		.amdhsa_user_sgpr_private_segment_size 0
		.amdhsa_wavefront_size32 1
		.amdhsa_uses_dynamic_stack 0
		.amdhsa_enable_private_segment 0
		.amdhsa_system_sgpr_workgroup_id_x 1
		.amdhsa_system_sgpr_workgroup_id_y 1
		.amdhsa_system_sgpr_workgroup_id_z 1
		.amdhsa_system_sgpr_workgroup_info 0
		.amdhsa_system_vgpr_workitem_id 1
		.amdhsa_next_free_vgpr 54
		.amdhsa_next_free_sgpr 52
		.amdhsa_named_barrier_count 0
		.amdhsa_reserve_vcc 1
		.amdhsa_float_round_mode_32 0
		.amdhsa_float_round_mode_16_64 0
		.amdhsa_float_denorm_mode_32 3
		.amdhsa_float_denorm_mode_16_64 3
		.amdhsa_fp16_overflow 0
		.amdhsa_memory_ordered 1
		.amdhsa_forward_progress 1
		.amdhsa_inst_pref_size 14
		.amdhsa_round_robin_scheduling 0
		.amdhsa_exception_fp_ieee_invalid_op 0
		.amdhsa_exception_fp_denorm_src 0
		.amdhsa_exception_fp_ieee_div_zero 0
		.amdhsa_exception_fp_ieee_overflow 0
		.amdhsa_exception_fp_ieee_underflow 0
		.amdhsa_exception_fp_ieee_inexact 0
		.amdhsa_exception_int_div_zero 0
	.end_amdhsa_kernel
	.section	.text._ZN12_GLOBAL__N_135rocblas_gemm_batched_general_kernelIdLi16ELi16ELi32ELi32ELi8ELi32ELi8ELi8ELi32ELc84ELc84EKPKdS3_KPdEEvlllT_PT11_llS8_llS6_PT12_llPT13_lli,"axG",@progbits,_ZN12_GLOBAL__N_135rocblas_gemm_batched_general_kernelIdLi16ELi16ELi32ELi32ELi8ELi32ELi8ELi8ELi32ELc84ELc84EKPKdS3_KPdEEvlllT_PT11_llS8_llS6_PT12_llPT13_lli,comdat
.Lfunc_end22:
	.size	_ZN12_GLOBAL__N_135rocblas_gemm_batched_general_kernelIdLi16ELi16ELi32ELi32ELi8ELi32ELi8ELi8ELi32ELc84ELc84EKPKdS3_KPdEEvlllT_PT11_llS8_llS6_PT12_llPT13_lli, .Lfunc_end22-_ZN12_GLOBAL__N_135rocblas_gemm_batched_general_kernelIdLi16ELi16ELi32ELi32ELi8ELi32ELi8ELi8ELi32ELc84ELc84EKPKdS3_KPdEEvlllT_PT11_llS8_llS6_PT12_llPT13_lli
                                        ; -- End function
	.set _ZN12_GLOBAL__N_135rocblas_gemm_batched_general_kernelIdLi16ELi16ELi32ELi32ELi8ELi32ELi8ELi8ELi32ELc84ELc84EKPKdS3_KPdEEvlllT_PT11_llS8_llS6_PT12_llPT13_lli.num_vgpr, 54
	.set _ZN12_GLOBAL__N_135rocblas_gemm_batched_general_kernelIdLi16ELi16ELi32ELi32ELi8ELi32ELi8ELi8ELi32ELc84ELc84EKPKdS3_KPdEEvlllT_PT11_llS8_llS6_PT12_llPT13_lli.num_agpr, 0
	.set _ZN12_GLOBAL__N_135rocblas_gemm_batched_general_kernelIdLi16ELi16ELi32ELi32ELi8ELi32ELi8ELi8ELi32ELc84ELc84EKPKdS3_KPdEEvlllT_PT11_llS8_llS6_PT12_llPT13_lli.numbered_sgpr, 52
	.set _ZN12_GLOBAL__N_135rocblas_gemm_batched_general_kernelIdLi16ELi16ELi32ELi32ELi8ELi32ELi8ELi8ELi32ELc84ELc84EKPKdS3_KPdEEvlllT_PT11_llS8_llS6_PT12_llPT13_lli.num_named_barrier, 0
	.set _ZN12_GLOBAL__N_135rocblas_gemm_batched_general_kernelIdLi16ELi16ELi32ELi32ELi8ELi32ELi8ELi8ELi32ELc84ELc84EKPKdS3_KPdEEvlllT_PT11_llS8_llS6_PT12_llPT13_lli.private_seg_size, 0
	.set _ZN12_GLOBAL__N_135rocblas_gemm_batched_general_kernelIdLi16ELi16ELi32ELi32ELi8ELi32ELi8ELi8ELi32ELc84ELc84EKPKdS3_KPdEEvlllT_PT11_llS8_llS6_PT12_llPT13_lli.uses_vcc, 1
	.set _ZN12_GLOBAL__N_135rocblas_gemm_batched_general_kernelIdLi16ELi16ELi32ELi32ELi8ELi32ELi8ELi8ELi32ELc84ELc84EKPKdS3_KPdEEvlllT_PT11_llS8_llS6_PT12_llPT13_lli.uses_flat_scratch, 0
	.set _ZN12_GLOBAL__N_135rocblas_gemm_batched_general_kernelIdLi16ELi16ELi32ELi32ELi8ELi32ELi8ELi8ELi32ELc84ELc84EKPKdS3_KPdEEvlllT_PT11_llS8_llS6_PT12_llPT13_lli.has_dyn_sized_stack, 0
	.set _ZN12_GLOBAL__N_135rocblas_gemm_batched_general_kernelIdLi16ELi16ELi32ELi32ELi8ELi32ELi8ELi8ELi32ELc84ELc84EKPKdS3_KPdEEvlllT_PT11_llS8_llS6_PT12_llPT13_lli.has_recursion, 0
	.set _ZN12_GLOBAL__N_135rocblas_gemm_batched_general_kernelIdLi16ELi16ELi32ELi32ELi8ELi32ELi8ELi8ELi32ELc84ELc84EKPKdS3_KPdEEvlllT_PT11_llS8_llS6_PT12_llPT13_lli.has_indirect_call, 0
	.section	.AMDGPU.csdata,"",@progbits
; Kernel info:
; codeLenInByte = 1772
; TotalNumSgprs: 54
; NumVgprs: 54
; ScratchSize: 0
; MemoryBound: 0
; FloatMode: 240
; IeeeMode: 1
; LDSByteSize: 4096 bytes/workgroup (compile time only)
; SGPRBlocks: 0
; VGPRBlocks: 3
; NumSGPRsForWavesPerEU: 54
; NumVGPRsForWavesPerEU: 54
; NamedBarCnt: 0
; Occupancy: 16
; WaveLimiterHint : 1
; COMPUTE_PGM_RSRC2:SCRATCH_EN: 0
; COMPUTE_PGM_RSRC2:USER_SGPR: 2
; COMPUTE_PGM_RSRC2:TRAP_HANDLER: 0
; COMPUTE_PGM_RSRC2:TGID_X_EN: 1
; COMPUTE_PGM_RSRC2:TGID_Y_EN: 1
; COMPUTE_PGM_RSRC2:TGID_Z_EN: 1
; COMPUTE_PGM_RSRC2:TIDIG_COMP_CNT: 1
	.section	.text._ZN12_GLOBAL__N_135rocblas_gemm_batched_general_kernelIdLi16ELi16ELi32ELi32ELi8ELi32ELi8ELi8ELi32ELc67ELc67EKPKdS3_KPdEEvlllT_PT11_llS8_llS6_PT12_llPT13_lli,"axG",@progbits,_ZN12_GLOBAL__N_135rocblas_gemm_batched_general_kernelIdLi16ELi16ELi32ELi32ELi8ELi32ELi8ELi8ELi32ELc67ELc67EKPKdS3_KPdEEvlllT_PT11_llS8_llS6_PT12_llPT13_lli,comdat
	.globl	_ZN12_GLOBAL__N_135rocblas_gemm_batched_general_kernelIdLi16ELi16ELi32ELi32ELi8ELi32ELi8ELi8ELi32ELc67ELc67EKPKdS3_KPdEEvlllT_PT11_llS8_llS6_PT12_llPT13_lli ; -- Begin function _ZN12_GLOBAL__N_135rocblas_gemm_batched_general_kernelIdLi16ELi16ELi32ELi32ELi8ELi32ELi8ELi8ELi32ELc67ELc67EKPKdS3_KPdEEvlllT_PT11_llS8_llS6_PT12_llPT13_lli
	.p2align	8
	.type	_ZN12_GLOBAL__N_135rocblas_gemm_batched_general_kernelIdLi16ELi16ELi32ELi32ELi8ELi32ELi8ELi8ELi32ELc67ELc67EKPKdS3_KPdEEvlllT_PT11_llS8_llS6_PT12_llPT13_lli,@function
_ZN12_GLOBAL__N_135rocblas_gemm_batched_general_kernelIdLi16ELi16ELi32ELi32ELi8ELi32ELi8ELi8ELi32ELc67ELc67EKPKdS3_KPdEEvlllT_PT11_llS8_llS6_PT12_llPT13_lli: ; @_ZN12_GLOBAL__N_135rocblas_gemm_batched_general_kernelIdLi16ELi16ELi32ELi32ELi8ELi32ELi8ELi8ELi32ELc67ELc67EKPKdS3_KPdEEvlllT_PT11_llS8_llS6_PT12_llPT13_lli
; %bb.0:
	s_load_b32 s28, s[0:1], 0x88
	s_bfe_u32 s2, ttmp6, 0x40014
	s_lshr_b32 s3, ttmp7, 16
	s_add_co_i32 s2, s2, 1
	s_bfe_u32 s5, ttmp6, 0x40008
	s_mul_i32 s4, s3, s2
	s_getreg_b32 s2, hwreg(HW_REG_IB_STS2, 6, 4)
	s_add_co_i32 s5, s5, s4
	s_cmp_eq_u32 s2, 0
	s_mov_b32 s21, 0
	s_cselect_b32 s20, s3, s5
	s_wait_kmcnt 0x0
	s_cmp_ge_i32 s20, s28
	s_cbranch_scc1 .LBB23_35
; %bb.1:
	s_clause 0x2
	s_load_b512 s[4:19], s[0:1], 0x0
	s_load_b512 s[36:51], s[0:1], 0x40
	s_load_b64 s[22:23], s[0:1], 0x80
	v_bfe_u32 v10, v0, 10, 10
	v_and_b32_e32 v12, 0x3ff, v0
	s_wait_xcnt 0x0
	s_bfe_u32 s0, ttmp6, 0x4000c
	s_bfe_u32 s3, ttmp6, 0x40010
	s_add_co_i32 s0, s0, 1
	s_and_b32 s24, ttmp7, 0xffff
	s_add_co_i32 s3, s3, 1
	s_and_b32 s1, ttmp6, 15
	s_mul_i32 s0, ttmp9, s0
	s_mul_i32 s3, s24, s3
	s_bfe_u32 s25, ttmp6, 0x40004
	v_lshl_add_u32 v22, v10, 4, v12
	s_add_co_i32 s1, s1, s0
	s_add_co_i32 s25, s25, s3
	s_cmp_eq_u32 s2, 0
	s_delay_alu instid0(VALU_DEP_1) | instskip(SKIP_3) | instid1(VALU_DEP_1)
	v_dual_mov_b32 v1, 0 :: v_dual_bitop2_b32 v8, 31, v22 bitop3:0x40
	s_cselect_b32 s0, ttmp9, s1
	s_cselect_b32 s24, s24, s25
	s_ashr_i32 s1, s0, 31
	v_dual_mov_b32 v3, v1 :: v_dual_bitop2_b32 v2, 7, v0 bitop3:0x40
	s_lshl_b64 s[2:3], s[0:1], 5
	s_delay_alu instid0(SALU_CYCLE_1)
	v_dual_mov_b32 v11, v1 :: v_dual_bitop2_b32 v4, s2, v8 bitop3:0x54
	v_dual_mov_b32 v5, s3 :: v_dual_mov_b32 v13, v1
	s_wait_kmcnt 0x0
	v_mul_u64_e32 v[14:15], s[36:37], v[2:3]
	s_lshl_b32 s0, s24, 5
	s_mov_b32 s1, s21
	v_mul_u64_e32 v[16:17], s[14:15], v[4:5]
	v_add_nc_u64_e32 v[18:19], s[0:1], v[10:11]
	v_dual_lshrrev_b32 v0, 5, v22 :: v_dual_lshrrev_b32 v6, 3, v22
	v_dual_mov_b32 v7, v1 :: v_dual_lshlrev_b32 v8, 3, v8
	v_dual_lshlrev_b32 v9, 3, v2 :: v_dual_lshlrev_b32 v36, 3, v12
	v_cmp_eq_f64_e64 s29, s[40:41], 0
	s_delay_alu instid0(VALU_DEP_3) | instskip(NEXT) | instid1(VALU_DEP_4)
	v_add_nc_u64_e32 v[20:21], s[0:1], v[6:7]
	v_lshl_or_b32 v34, v0, 8, v8
	s_delay_alu instid0(VALU_DEP_4)
	v_lshl_or_b32 v11, v6, 6, v9
	v_mul_u64_e32 v[6:7], s[50:51], v[18:19]
	v_mul_u64_e32 v[8:9], s[44:45], v[18:19]
	v_cmp_gt_i64_e64 s0, s[4:5], v[4:5]
	v_add_nc_u64_e32 v[4:5], s[2:3], v[12:13]
	s_lshl_b32 s14, s24, 8
	s_mov_b32 s15, s21
	s_lshl_b64 s[24:25], s[38:39], 3
	v_add_nc_u32_e32 v35, 0x800, v11
	s_add_nc_u64 s[14:15], s[24:25], s[14:15]
	v_lshl_add_u32 v37, v10, 6, 0x800
	v_add_nc_u64_e32 v[12:13], 16, v[4:5]
	v_cmp_gt_i64_e64 s3, s[4:5], v[4:5]
	v_add_nc_u64_e32 v[10:11], 16, v[18:19]
	v_cmp_gt_i64_e64 s2, s[6:7], v[18:19]
	v_dual_mov_b32 v19, v1 :: v_dual_lshlrev_b32 v18, 3, v0
	v_cmp_gt_i64_e64 s1, s[6:7], v[20:21]
	v_cmp_gt_i64_e64 s4, s[4:5], v[12:13]
	v_lshl_add_u64 v[12:13], v[14:15], 3, s[14:15]
	s_lshl_b64 s[14:15], s[16:17], 3
	v_and_b32_e32 v14, 0x1ff8, v22
	v_mov_b32_e32 v15, v1
	v_lshl_add_u64 v[16:17], v[16:17], 3, s[14:15]
	v_cmp_gt_i64_e64 s5, s[6:7], v[10:11]
	v_cmp_gt_i64_e64 s30, s[8:9], 0
	s_lshl_b64 s[6:7], s[50:51], 4
	v_add_nc_u64_e32 v[10:11], v[12:13], v[14:15]
	v_add_nc_u64_e32 v[12:13], v[16:17], v[18:19]
	s_lshl_b64 s[14:15], s[44:45], 4
	s_lshl_b64 s[16:17], s[36:37], 6
	s_lshl_b64 s[22:23], s[22:23], 3
	s_lshl_b64 s[24:25], s[46:47], 3
	s_branch .LBB23_4
.LBB23_2:                               ;   in Loop: Header=BB23_4 Depth=1
	s_wait_xcnt 0x0
	s_or_b32 exec_lo, exec_lo, s26
.LBB23_3:                               ;   in Loop: Header=BB23_4 Depth=1
	s_add_co_i32 s20, s20, 0x10000
	s_delay_alu instid0(SALU_CYCLE_1)
	s_cmp_lt_i32 s20, s28
	s_cbranch_scc0 .LBB23_35
.LBB23_4:                               ; =>This Loop Header: Depth=1
                                        ;     Child Loop BB23_7 Depth 2
	v_mov_b32_e32 v14, s20
	s_and_not1_b32 vcc_lo, exec_lo, s30
	s_clause 0x1
	global_load_b64 v[20:21], v14, s[42:43] scale_offset
	global_load_b64 v[24:25], v14, s[48:49] scale_offset
	s_cbranch_vccnz .LBB23_11
; %bb.5:                                ;   in Loop: Header=BB23_4 Depth=1
	s_lshl_b64 s[26:27], s[20:21], 3
	s_wait_xcnt 0x0
	v_mov_b64_e32 v[14:15], 0
	s_add_nc_u64 s[34:35], s[18:19], s[26:27]
	s_add_nc_u64 s[26:27], s[12:13], s[26:27]
	s_clause 0x1
	global_load_b64 v[22:23], v1, s[34:35]
	global_load_b64 v[28:29], v1, s[26:27]
	v_mov_b64_e32 v[16:17], 0
	v_mov_b64_e32 v[18:19], 0
	s_wait_xcnt 0x0
	s_mov_b64 s[26:27], 0
	s_wait_loadcnt 0x1
	v_add_nc_u64_e32 v[26:27], v[22:23], v[10:11]
	s_wait_loadcnt 0x0
	v_add_nc_u64_e32 v[28:29], v[28:29], v[12:13]
	v_mov_b64_e32 v[22:23], 0
	s_branch .LBB23_7
.LBB23_6:                               ;   in Loop: Header=BB23_7 Depth=2
	s_wait_xcnt 0x0
	s_or_b32 exec_lo, exec_lo, s31
	s_wait_loadcnt_dscnt 0x0
	ds_store_b64 v35, v[32:33]
	s_wait_dscnt 0x0
	s_barrier_signal -1
	s_barrier_wait -1
	ds_load_b128 v[30:33], v37
	ds_load_2addr_b64 v[38:41], v36 offset1:16
	ds_load_b128 v[42:45], v37 offset:1024
	ds_load_b128 v[46:49], v37 offset:16
	;; [unrolled: 1-line block ×3, first 2 shown]
	s_add_nc_u64 s[26:27], s[26:27], 8
	v_add_nc_u64_e32 v[26:27], s[16:17], v[26:27]
	v_cmp_lt_i64_e64 s31, s[26:27], s[8:9]
	v_add_nc_u64_e32 v[28:29], 64, v[28:29]
	s_and_b32 vcc_lo, exec_lo, s31
	s_wait_dscnt 0x3
	v_fmac_f64_e32 v[22:23], v[38:39], v[30:31]
	v_fmac_f64_e32 v[18:19], v[40:41], v[30:31]
	s_wait_dscnt 0x2
	v_fmac_f64_e32 v[16:17], v[38:39], v[42:43]
	v_fmac_f64_e32 v[14:15], v[40:41], v[42:43]
	ds_load_2addr_b64 v[38:41], v36 offset0:32 offset1:48
	s_wait_dscnt 0x0
	v_fmac_f64_e32 v[22:23], v[38:39], v[32:33]
	v_fmac_f64_e32 v[18:19], v[40:41], v[32:33]
	v_fmac_f64_e32 v[16:17], v[38:39], v[44:45]
	v_fmac_f64_e32 v[14:15], v[40:41], v[44:45]
	ds_load_2addr_b64 v[30:33], v36 offset0:64 offset1:80
	s_wait_dscnt 0x0
	v_fmac_f64_e32 v[22:23], v[30:31], v[46:47]
	v_fmac_f64_e32 v[18:19], v[32:33], v[46:47]
	;; [unrolled: 6-line block ×3, first 2 shown]
	v_fmac_f64_e32 v[16:17], v[30:31], v[52:53]
	v_fmac_f64_e32 v[14:15], v[32:33], v[52:53]
	ds_load_b128 v[30:33], v37 offset:32
	ds_load_2addr_b64 v[38:41], v36 offset0:128 offset1:144
	ds_load_b128 v[42:45], v37 offset:1056
	ds_load_b128 v[46:49], v37 offset:48
	ds_load_b128 v[50:53], v37 offset:1072
	s_wait_dscnt 0x3
	v_fmac_f64_e32 v[22:23], v[38:39], v[30:31]
	v_fmac_f64_e32 v[18:19], v[40:41], v[30:31]
	s_wait_dscnt 0x2
	v_fmac_f64_e32 v[16:17], v[38:39], v[42:43]
	v_fmac_f64_e32 v[14:15], v[40:41], v[42:43]
	ds_load_2addr_b64 v[38:41], v36 offset0:160 offset1:176
	s_wait_dscnt 0x0
	v_fmac_f64_e32 v[22:23], v[38:39], v[32:33]
	v_fmac_f64_e32 v[18:19], v[40:41], v[32:33]
	;; [unrolled: 1-line block ×4, first 2 shown]
	ds_load_2addr_b64 v[30:33], v36 offset0:192 offset1:208
	s_wait_dscnt 0x0
	v_fmac_f64_e32 v[22:23], v[30:31], v[46:47]
	v_fmac_f64_e32 v[18:19], v[32:33], v[46:47]
	;; [unrolled: 1-line block ×4, first 2 shown]
	ds_load_2addr_b64 v[30:33], v36 offset0:224 offset1:240
	s_wait_dscnt 0x0
	s_barrier_signal -1
	s_barrier_wait -1
	v_fmac_f64_e32 v[22:23], v[30:31], v[48:49]
	v_fmac_f64_e32 v[18:19], v[32:33], v[48:49]
	;; [unrolled: 1-line block ×4, first 2 shown]
	s_cbranch_vccz .LBB23_12
.LBB23_7:                               ;   Parent Loop BB23_4 Depth=1
                                        ; =>  This Inner Loop Header: Depth=2
	v_add_nc_u64_e32 v[30:31], s[26:27], v[0:1]
	s_delay_alu instid0(VALU_DEP_1) | instskip(SKIP_2) | instid1(SALU_CYCLE_1)
	v_cmp_gt_i64_e32 vcc_lo, s[8:9], v[30:31]
	v_mov_b64_e32 v[30:31], 0
	s_and_b32 s33, s0, vcc_lo
	s_and_saveexec_b32 s31, s33
	s_cbranch_execz .LBB23_9
; %bb.8:                                ;   in Loop: Header=BB23_7 Depth=2
	flat_load_b64 v[30:31], v[28:29]
.LBB23_9:                               ;   in Loop: Header=BB23_7 Depth=2
	s_wait_xcnt 0x0
	s_or_b32 exec_lo, exec_lo, s31
	v_add_nc_u64_e32 v[32:33], s[26:27], v[2:3]
	s_wait_loadcnt_dscnt 0x0
	ds_store_b64 v34, v[30:31]
	v_cmp_gt_i64_e32 vcc_lo, s[8:9], v[32:33]
	v_mov_b64_e32 v[32:33], 0
	s_and_b32 s33, vcc_lo, s1
	s_delay_alu instid0(SALU_CYCLE_1)
	s_and_saveexec_b32 s31, s33
	s_cbranch_execz .LBB23_6
; %bb.10:                               ;   in Loop: Header=BB23_7 Depth=2
	flat_load_b64 v[32:33], v[26:27]
	s_branch .LBB23_6
.LBB23_11:                              ;   in Loop: Header=BB23_4 Depth=1
	v_mov_b64_e32 v[22:23], 0
	v_mov_b64_e32 v[18:19], 0
	;; [unrolled: 1-line block ×3, first 2 shown]
	s_wait_xcnt 0x0
	v_mov_b64_e32 v[14:15], 0
.LBB23_12:                              ;   in Loop: Header=BB23_4 Depth=1
	s_wait_loadcnt 0x0
	v_add_nc_u64_e32 v[24:25], s[22:23], v[24:25]
	s_and_not1_b32 vcc_lo, exec_lo, s29
	s_cbranch_vccnz .LBB23_17
; %bb.13:                               ;   in Loop: Header=BB23_4 Depth=1
	s_and_saveexec_b32 s26, s2
	s_cbranch_execz .LBB23_24
; %bb.14:                               ;   in Loop: Header=BB23_4 Depth=1
	s_delay_alu instid0(VALU_DEP_1) | instskip(NEXT) | instid1(VALU_DEP_1)
	v_lshl_add_u64 v[26:27], v[6:7], 3, v[24:25]
	v_lshl_add_u64 v[28:29], v[4:5], 3, v[26:27]
	s_and_saveexec_b32 s27, s3
	s_cbranch_execnz .LBB23_18
; %bb.15:                               ;   in Loop: Header=BB23_4 Depth=1
	s_or_b32 exec_lo, exec_lo, s27
	s_and_saveexec_b32 s27, s4
	s_cbranch_execnz .LBB23_19
.LBB23_16:                              ;   in Loop: Header=BB23_4 Depth=1
	s_or_b32 exec_lo, exec_lo, s27
	s_delay_alu instid0(SALU_CYCLE_1)
	s_and_b32 exec_lo, exec_lo, s5
	s_cbranch_execnz .LBB23_20
	s_branch .LBB23_24
.LBB23_17:                              ;   in Loop: Header=BB23_4 Depth=1
	s_branch .LBB23_25
.LBB23_18:                              ;   in Loop: Header=BB23_4 Depth=1
	v_mul_f64_e32 v[30:31], s[10:11], v[22:23]
	flat_store_b64 v[28:29], v[30:31]
	s_wait_xcnt 0x0
	s_or_b32 exec_lo, exec_lo, s27
	s_and_saveexec_b32 s27, s4
	s_cbranch_execz .LBB23_16
.LBB23_19:                              ;   in Loop: Header=BB23_4 Depth=1
	v_mul_f64_e32 v[30:31], s[10:11], v[18:19]
	flat_store_b64 v[28:29], v[30:31] offset:128
	s_wait_xcnt 0x0
	s_or_b32 exec_lo, exec_lo, s27
	s_delay_alu instid0(SALU_CYCLE_1)
	s_and_b32 exec_lo, exec_lo, s5
	s_cbranch_execz .LBB23_24
.LBB23_20:                              ;   in Loop: Header=BB23_4 Depth=1
	v_lshl_add_u64 v[26:27], s[6:7], 3, v[26:27]
	s_delay_alu instid0(VALU_DEP_1)
	v_lshl_add_u64 v[26:27], v[4:5], 3, v[26:27]
	s_and_saveexec_b32 s27, s3
	s_cbranch_execz .LBB23_22
; %bb.21:                               ;   in Loop: Header=BB23_4 Depth=1
	v_mul_f64_e32 v[28:29], s[10:11], v[16:17]
	flat_store_b64 v[26:27], v[28:29]
.LBB23_22:                              ;   in Loop: Header=BB23_4 Depth=1
	s_wait_xcnt 0x0
	s_or_b32 exec_lo, exec_lo, s27
	s_delay_alu instid0(SALU_CYCLE_1)
	s_and_b32 exec_lo, exec_lo, s4
	s_cbranch_execz .LBB23_24
; %bb.23:                               ;   in Loop: Header=BB23_4 Depth=1
	v_mul_f64_e32 v[28:29], s[10:11], v[14:15]
	flat_store_b64 v[26:27], v[28:29] offset:128
.LBB23_24:                              ;   in Loop: Header=BB23_4 Depth=1
	s_wait_xcnt 0x0
	s_or_b32 exec_lo, exec_lo, s26
	s_cbranch_execnz .LBB23_3
.LBB23_25:                              ;   in Loop: Header=BB23_4 Depth=1
	s_and_saveexec_b32 s26, s2
	s_cbranch_execz .LBB23_2
; %bb.26:                               ;   in Loop: Header=BB23_4 Depth=1
	v_add_nc_u64_e32 v[26:27], s[24:25], v[20:21]
	v_lshlrev_b64_e32 v[20:21], 3, v[4:5]
	v_lshl_add_u64 v[24:25], v[6:7], 3, v[24:25]
	s_delay_alu instid0(VALU_DEP_3) | instskip(NEXT) | instid1(VALU_DEP_2)
	v_lshl_add_u64 v[26:27], v[8:9], 3, v[26:27]
	v_add_nc_u64_e32 v[28:29], v[24:25], v[20:21]
	s_delay_alu instid0(VALU_DEP_2)
	v_add_nc_u64_e32 v[30:31], v[26:27], v[20:21]
	s_and_saveexec_b32 s27, s3
	s_cbranch_execnz .LBB23_29
; %bb.27:                               ;   in Loop: Header=BB23_4 Depth=1
	s_or_b32 exec_lo, exec_lo, s27
	s_and_saveexec_b32 s27, s4
	s_cbranch_execnz .LBB23_30
.LBB23_28:                              ;   in Loop: Header=BB23_4 Depth=1
	s_or_b32 exec_lo, exec_lo, s27
	s_delay_alu instid0(SALU_CYCLE_1)
	s_and_b32 exec_lo, exec_lo, s5
	s_cbranch_execz .LBB23_2
	s_branch .LBB23_31
.LBB23_29:                              ;   in Loop: Header=BB23_4 Depth=1
	flat_load_b64 v[32:33], v[30:31]
	s_wait_loadcnt_dscnt 0x0
	v_mul_f64_e32 v[32:33], s[40:41], v[32:33]
	s_delay_alu instid0(VALU_DEP_1)
	v_fmac_f64_e32 v[32:33], s[10:11], v[22:23]
	flat_store_b64 v[28:29], v[32:33]
	s_wait_xcnt 0x0
	s_or_b32 exec_lo, exec_lo, s27
	s_and_saveexec_b32 s27, s4
	s_cbranch_execz .LBB23_28
.LBB23_30:                              ;   in Loop: Header=BB23_4 Depth=1
	flat_load_b64 v[22:23], v[30:31] offset:128
	s_wait_loadcnt_dscnt 0x0
	v_mul_f64_e32 v[22:23], s[40:41], v[22:23]
	s_delay_alu instid0(VALU_DEP_1) | instskip(SKIP_3) | instid1(SALU_CYCLE_1)
	v_fmac_f64_e32 v[22:23], s[10:11], v[18:19]
	flat_store_b64 v[28:29], v[22:23] offset:128
	s_wait_xcnt 0x0
	s_or_b32 exec_lo, exec_lo, s27
	s_and_b32 exec_lo, exec_lo, s5
	s_cbranch_execz .LBB23_2
.LBB23_31:                              ;   in Loop: Header=BB23_4 Depth=1
	v_lshl_add_u64 v[18:19], s[14:15], 3, v[26:27]
	v_lshl_add_u64 v[24:25], s[6:7], 3, v[24:25]
	s_delay_alu instid0(VALU_DEP_2) | instskip(NEXT) | instid1(VALU_DEP_2)
	v_add_nc_u64_e32 v[22:23], v[18:19], v[20:21]
	v_add_nc_u64_e32 v[18:19], v[24:25], v[20:21]
	s_and_saveexec_b32 s27, s3
	s_cbranch_execz .LBB23_33
; %bb.32:                               ;   in Loop: Header=BB23_4 Depth=1
	flat_load_b64 v[20:21], v[22:23]
	s_wait_loadcnt_dscnt 0x0
	v_mul_f64_e32 v[20:21], s[40:41], v[20:21]
	s_delay_alu instid0(VALU_DEP_1)
	v_fmac_f64_e32 v[20:21], s[10:11], v[16:17]
	flat_store_b64 v[18:19], v[20:21]
.LBB23_33:                              ;   in Loop: Header=BB23_4 Depth=1
	s_wait_xcnt 0x0
	s_or_b32 exec_lo, exec_lo, s27
	s_delay_alu instid0(SALU_CYCLE_1)
	s_and_b32 exec_lo, exec_lo, s4
	s_cbranch_execz .LBB23_2
; %bb.34:                               ;   in Loop: Header=BB23_4 Depth=1
	flat_load_b64 v[16:17], v[22:23] offset:128
	s_wait_loadcnt_dscnt 0x0
	v_mul_f64_e32 v[16:17], s[40:41], v[16:17]
	s_delay_alu instid0(VALU_DEP_1)
	v_fmac_f64_e32 v[16:17], s[10:11], v[14:15]
	flat_store_b64 v[18:19], v[16:17] offset:128
	s_branch .LBB23_2
.LBB23_35:
	s_endpgm
	.section	.rodata,"a",@progbits
	.p2align	6, 0x0
	.amdhsa_kernel _ZN12_GLOBAL__N_135rocblas_gemm_batched_general_kernelIdLi16ELi16ELi32ELi32ELi8ELi32ELi8ELi8ELi32ELc67ELc67EKPKdS3_KPdEEvlllT_PT11_llS8_llS6_PT12_llPT13_lli
		.amdhsa_group_segment_fixed_size 4096
		.amdhsa_private_segment_fixed_size 0
		.amdhsa_kernarg_size 140
		.amdhsa_user_sgpr_count 2
		.amdhsa_user_sgpr_dispatch_ptr 0
		.amdhsa_user_sgpr_queue_ptr 0
		.amdhsa_user_sgpr_kernarg_segment_ptr 1
		.amdhsa_user_sgpr_dispatch_id 0
		.amdhsa_user_sgpr_kernarg_preload_length 0
		.amdhsa_user_sgpr_kernarg_preload_offset 0
		.amdhsa_user_sgpr_private_segment_size 0
		.amdhsa_wavefront_size32 1
		.amdhsa_uses_dynamic_stack 0
		.amdhsa_enable_private_segment 0
		.amdhsa_system_sgpr_workgroup_id_x 1
		.amdhsa_system_sgpr_workgroup_id_y 1
		.amdhsa_system_sgpr_workgroup_id_z 1
		.amdhsa_system_sgpr_workgroup_info 0
		.amdhsa_system_vgpr_workitem_id 1
		.amdhsa_next_free_vgpr 54
		.amdhsa_next_free_sgpr 52
		.amdhsa_named_barrier_count 0
		.amdhsa_reserve_vcc 1
		.amdhsa_float_round_mode_32 0
		.amdhsa_float_round_mode_16_64 0
		.amdhsa_float_denorm_mode_32 3
		.amdhsa_float_denorm_mode_16_64 3
		.amdhsa_fp16_overflow 0
		.amdhsa_memory_ordered 1
		.amdhsa_forward_progress 1
		.amdhsa_inst_pref_size 14
		.amdhsa_round_robin_scheduling 0
		.amdhsa_exception_fp_ieee_invalid_op 0
		.amdhsa_exception_fp_denorm_src 0
		.amdhsa_exception_fp_ieee_div_zero 0
		.amdhsa_exception_fp_ieee_overflow 0
		.amdhsa_exception_fp_ieee_underflow 0
		.amdhsa_exception_fp_ieee_inexact 0
		.amdhsa_exception_int_div_zero 0
	.end_amdhsa_kernel
	.section	.text._ZN12_GLOBAL__N_135rocblas_gemm_batched_general_kernelIdLi16ELi16ELi32ELi32ELi8ELi32ELi8ELi8ELi32ELc67ELc67EKPKdS3_KPdEEvlllT_PT11_llS8_llS6_PT12_llPT13_lli,"axG",@progbits,_ZN12_GLOBAL__N_135rocblas_gemm_batched_general_kernelIdLi16ELi16ELi32ELi32ELi8ELi32ELi8ELi8ELi32ELc67ELc67EKPKdS3_KPdEEvlllT_PT11_llS8_llS6_PT12_llPT13_lli,comdat
.Lfunc_end23:
	.size	_ZN12_GLOBAL__N_135rocblas_gemm_batched_general_kernelIdLi16ELi16ELi32ELi32ELi8ELi32ELi8ELi8ELi32ELc67ELc67EKPKdS3_KPdEEvlllT_PT11_llS8_llS6_PT12_llPT13_lli, .Lfunc_end23-_ZN12_GLOBAL__N_135rocblas_gemm_batched_general_kernelIdLi16ELi16ELi32ELi32ELi8ELi32ELi8ELi8ELi32ELc67ELc67EKPKdS3_KPdEEvlllT_PT11_llS8_llS6_PT12_llPT13_lli
                                        ; -- End function
	.set _ZN12_GLOBAL__N_135rocblas_gemm_batched_general_kernelIdLi16ELi16ELi32ELi32ELi8ELi32ELi8ELi8ELi32ELc67ELc67EKPKdS3_KPdEEvlllT_PT11_llS8_llS6_PT12_llPT13_lli.num_vgpr, 54
	.set _ZN12_GLOBAL__N_135rocblas_gemm_batched_general_kernelIdLi16ELi16ELi32ELi32ELi8ELi32ELi8ELi8ELi32ELc67ELc67EKPKdS3_KPdEEvlllT_PT11_llS8_llS6_PT12_llPT13_lli.num_agpr, 0
	.set _ZN12_GLOBAL__N_135rocblas_gemm_batched_general_kernelIdLi16ELi16ELi32ELi32ELi8ELi32ELi8ELi8ELi32ELc67ELc67EKPKdS3_KPdEEvlllT_PT11_llS8_llS6_PT12_llPT13_lli.numbered_sgpr, 52
	.set _ZN12_GLOBAL__N_135rocblas_gemm_batched_general_kernelIdLi16ELi16ELi32ELi32ELi8ELi32ELi8ELi8ELi32ELc67ELc67EKPKdS3_KPdEEvlllT_PT11_llS8_llS6_PT12_llPT13_lli.num_named_barrier, 0
	.set _ZN12_GLOBAL__N_135rocblas_gemm_batched_general_kernelIdLi16ELi16ELi32ELi32ELi8ELi32ELi8ELi8ELi32ELc67ELc67EKPKdS3_KPdEEvlllT_PT11_llS8_llS6_PT12_llPT13_lli.private_seg_size, 0
	.set _ZN12_GLOBAL__N_135rocblas_gemm_batched_general_kernelIdLi16ELi16ELi32ELi32ELi8ELi32ELi8ELi8ELi32ELc67ELc67EKPKdS3_KPdEEvlllT_PT11_llS8_llS6_PT12_llPT13_lli.uses_vcc, 1
	.set _ZN12_GLOBAL__N_135rocblas_gemm_batched_general_kernelIdLi16ELi16ELi32ELi32ELi8ELi32ELi8ELi8ELi32ELc67ELc67EKPKdS3_KPdEEvlllT_PT11_llS8_llS6_PT12_llPT13_lli.uses_flat_scratch, 0
	.set _ZN12_GLOBAL__N_135rocblas_gemm_batched_general_kernelIdLi16ELi16ELi32ELi32ELi8ELi32ELi8ELi8ELi32ELc67ELc67EKPKdS3_KPdEEvlllT_PT11_llS8_llS6_PT12_llPT13_lli.has_dyn_sized_stack, 0
	.set _ZN12_GLOBAL__N_135rocblas_gemm_batched_general_kernelIdLi16ELi16ELi32ELi32ELi8ELi32ELi8ELi8ELi32ELc67ELc67EKPKdS3_KPdEEvlllT_PT11_llS8_llS6_PT12_llPT13_lli.has_recursion, 0
	.set _ZN12_GLOBAL__N_135rocblas_gemm_batched_general_kernelIdLi16ELi16ELi32ELi32ELi8ELi32ELi8ELi8ELi32ELc67ELc67EKPKdS3_KPdEEvlllT_PT11_llS8_llS6_PT12_llPT13_lli.has_indirect_call, 0
	.section	.AMDGPU.csdata,"",@progbits
; Kernel info:
; codeLenInByte = 1772
; TotalNumSgprs: 54
; NumVgprs: 54
; ScratchSize: 0
; MemoryBound: 0
; FloatMode: 240
; IeeeMode: 1
; LDSByteSize: 4096 bytes/workgroup (compile time only)
; SGPRBlocks: 0
; VGPRBlocks: 3
; NumSGPRsForWavesPerEU: 54
; NumVGPRsForWavesPerEU: 54
; NamedBarCnt: 0
; Occupancy: 16
; WaveLimiterHint : 1
; COMPUTE_PGM_RSRC2:SCRATCH_EN: 0
; COMPUTE_PGM_RSRC2:USER_SGPR: 2
; COMPUTE_PGM_RSRC2:TRAP_HANDLER: 0
; COMPUTE_PGM_RSRC2:TGID_X_EN: 1
; COMPUTE_PGM_RSRC2:TGID_Y_EN: 1
; COMPUTE_PGM_RSRC2:TGID_Z_EN: 1
; COMPUTE_PGM_RSRC2:TIDIG_COMP_CNT: 1
	.section	.text._ZN12_GLOBAL__N_135rocblas_gemm_batched_general_kernelIdLi16ELi16ELi32ELi32ELi8ELi32ELi8ELi8ELi32ELc67ELc78EKPKdS3_KPdEEvlllT_PT11_llS8_llS6_PT12_llPT13_lli,"axG",@progbits,_ZN12_GLOBAL__N_135rocblas_gemm_batched_general_kernelIdLi16ELi16ELi32ELi32ELi8ELi32ELi8ELi8ELi32ELc67ELc78EKPKdS3_KPdEEvlllT_PT11_llS8_llS6_PT12_llPT13_lli,comdat
	.globl	_ZN12_GLOBAL__N_135rocblas_gemm_batched_general_kernelIdLi16ELi16ELi32ELi32ELi8ELi32ELi8ELi8ELi32ELc67ELc78EKPKdS3_KPdEEvlllT_PT11_llS8_llS6_PT12_llPT13_lli ; -- Begin function _ZN12_GLOBAL__N_135rocblas_gemm_batched_general_kernelIdLi16ELi16ELi32ELi32ELi8ELi32ELi8ELi8ELi32ELc67ELc78EKPKdS3_KPdEEvlllT_PT11_llS8_llS6_PT12_llPT13_lli
	.p2align	8
	.type	_ZN12_GLOBAL__N_135rocblas_gemm_batched_general_kernelIdLi16ELi16ELi32ELi32ELi8ELi32ELi8ELi8ELi32ELc67ELc78EKPKdS3_KPdEEvlllT_PT11_llS8_llS6_PT12_llPT13_lli,@function
_ZN12_GLOBAL__N_135rocblas_gemm_batched_general_kernelIdLi16ELi16ELi32ELi32ELi8ELi32ELi8ELi8ELi32ELc67ELc78EKPKdS3_KPdEEvlllT_PT11_llS8_llS6_PT12_llPT13_lli: ; @_ZN12_GLOBAL__N_135rocblas_gemm_batched_general_kernelIdLi16ELi16ELi32ELi32ELi8ELi32ELi8ELi8ELi32ELc67ELc78EKPKdS3_KPdEEvlllT_PT11_llS8_llS6_PT12_llPT13_lli
; %bb.0:
	s_load_b32 s26, s[0:1], 0x88
	s_bfe_u32 s2, ttmp6, 0x40014
	s_lshr_b32 s3, ttmp7, 16
	s_add_co_i32 s2, s2, 1
	s_bfe_u32 s5, ttmp6, 0x40008
	s_mul_i32 s4, s3, s2
	s_getreg_b32 s2, hwreg(HW_REG_IB_STS2, 6, 4)
	s_add_co_i32 s5, s5, s4
	s_cmp_eq_u32 s2, 0
	s_mov_b32 s21, 0
	s_cselect_b32 s20, s3, s5
	s_wait_kmcnt 0x0
	s_cmp_ge_i32 s20, s26
	s_cbranch_scc1 .LBB24_35
; %bb.1:
	v_bfe_u32 v10, v0, 10, 10
	v_and_b32_e32 v12, 0x3ff, v0
	s_clause 0x1
	s_load_b512 s[4:19], s[0:1], 0x0
	s_load_b512 s[36:51], s[0:1], 0x40
	s_bfe_u32 s3, ttmp6, 0x4000c
	s_bfe_u32 s23, ttmp6, 0x40010
	s_add_co_i32 s3, s3, 1
	s_and_b32 s24, ttmp7, 0xffff
	s_add_co_i32 s23, s23, 1
	v_lshl_add_u32 v3, v10, 4, v12
	v_mov_b32_e32 v1, 0
	s_and_b32 s22, ttmp6, 15
	s_mul_i32 s3, ttmp9, s3
	s_mul_i32 s23, s24, s23
	s_bfe_u32 s25, ttmp6, 0x40004
	s_add_co_i32 s22, s22, s3
	s_add_co_i32 s25, s25, s23
	s_cmp_eq_u32 s2, 0
	v_dual_lshrrev_b32 v8, 3, v3 :: v_dual_bitop2_b32 v4, 31, v3 bitop3:0x40
	v_mov_b32_e32 v9, v1
	s_cselect_b32 s3, s24, s25
	s_cselect_b32 s2, ttmp9, s22
	s_lshl_b32 s22, s3, 5
	s_mov_b32 s23, s21
	s_ashr_i32 s3, s2, 31
	v_add_nc_u64_e32 v[14:15], s[22:23], v[8:9]
	s_lshl_b64 s[2:3], s[2:3], 5
	v_dual_mov_b32 v11, v1 :: v_dual_bitop2_b32 v2, 7, v0 bitop3:0x40
	v_dual_mov_b32 v17, s3 :: v_dual_bitop2_b32 v16, s2, v4 bitop3:0x54
	s_wait_kmcnt 0x0
	v_cmp_eq_f64_e64 s27, s[40:41], 0
	s_delay_alu instid0(VALU_DEP_4)
	v_mul_u64_e32 v[18:19], s[36:37], v[14:15]
	v_add_nc_u64_e32 v[22:23], s[22:23], v[10:11]
	v_dual_lshlrev_b32 v11, 3, v4 :: v_dual_lshlrev_b32 v24, 3, v2
	v_mul_u64_e32 v[20:21], s[14:15], v[16:17]
	v_dual_mov_b32 v13, v1 :: v_dual_lshrrev_b32 v0, 5, v3
	s_load_b64 s[22:23], s[0:1], 0x80
	s_delay_alu instid0(VALU_DEP_4)
	v_mul_u64_e32 v[4:5], s[50:51], v[22:23]
	v_mul_u64_e32 v[6:7], s[44:45], v[22:23]
	v_lshl_or_b32 v25, v8, 6, v24
	v_add_nc_u64_e32 v[8:9], s[2:3], v[12:13]
	s_lshl_b64 s[14:15], s[38:39], 3
	v_dual_mov_b32 v3, v1 :: v_dual_lshlrev_b32 v36, 3, v12
	v_lshl_or_b32 v34, v0, 8, v11
	s_wait_xcnt 0x0
	v_cmp_gt_i64_e64 s1, s[6:7], v[14:15]
	v_lshl_add_u32 v37, v10, 6, 0x800
	v_add_nc_u64_e32 v[10:11], 16, v[8:9]
	v_add_nc_u64_e32 v[12:13], 16, v[22:23]
	v_cmp_gt_i64_e64 s0, s[4:5], v[16:17]
	v_add_nc_u32_e32 v35, 0x800, v25
	v_mov_b32_e32 v25, v1
	v_cmp_gt_i64_e64 s2, s[6:7], v[22:23]
	v_cmp_gt_i64_e64 s3, s[4:5], v[8:9]
	;; [unrolled: 1-line block ×5, first 2 shown]
	s_lshl_b64 s[6:7], s[50:51], 4
	v_lshl_add_u64 v[14:15], v[18:19], 3, s[14:15]
	s_lshl_b64 s[14:15], s[16:17], 3
	v_dual_mov_b32 v19, v1 :: v_dual_lshlrev_b32 v18, 3, v0
	v_lshl_add_u64 v[16:17], v[20:21], 3, s[14:15]
	s_delay_alu instid0(VALU_DEP_3)
	v_add_nc_u64_e32 v[10:11], v[14:15], v[24:25]
	s_lshl_b64 s[14:15], s[44:45], 4
	s_wait_kmcnt 0x0
	s_lshl_b64 s[16:17], s[22:23], 3
	s_lshl_b64 s[22:23], s[46:47], 3
	v_add_nc_u64_e32 v[12:13], v[16:17], v[18:19]
	s_branch .LBB24_4
.LBB24_2:                               ;   in Loop: Header=BB24_4 Depth=1
	s_wait_xcnt 0x0
	s_or_b32 exec_lo, exec_lo, s24
.LBB24_3:                               ;   in Loop: Header=BB24_4 Depth=1
	s_add_co_i32 s20, s20, 0x10000
	s_delay_alu instid0(SALU_CYCLE_1)
	s_cmp_lt_i32 s20, s26
	s_cbranch_scc0 .LBB24_35
.LBB24_4:                               ; =>This Loop Header: Depth=1
                                        ;     Child Loop BB24_7 Depth 2
	v_mov_b32_e32 v14, s20
	s_and_not1_b32 vcc_lo, exec_lo, s28
	s_clause 0x1
	global_load_b64 v[20:21], v14, s[42:43] scale_offset
	global_load_b64 v[24:25], v14, s[48:49] scale_offset
	s_cbranch_vccnz .LBB24_11
; %bb.5:                                ;   in Loop: Header=BB24_4 Depth=1
	s_lshl_b64 s[24:25], s[20:21], 3
	s_wait_xcnt 0x0
	v_mov_b64_e32 v[14:15], 0
	s_add_nc_u64 s[30:31], s[18:19], s[24:25]
	s_add_nc_u64 s[24:25], s[12:13], s[24:25]
	s_clause 0x1
	global_load_b64 v[22:23], v1, s[30:31]
	global_load_b64 v[28:29], v1, s[24:25]
	v_mov_b64_e32 v[16:17], 0
	v_mov_b64_e32 v[18:19], 0
	s_wait_xcnt 0x0
	s_mov_b64 s[24:25], 0
	s_wait_loadcnt 0x1
	v_add_nc_u64_e32 v[26:27], v[22:23], v[10:11]
	s_wait_loadcnt 0x0
	v_add_nc_u64_e32 v[28:29], v[28:29], v[12:13]
	v_mov_b64_e32 v[22:23], 0
	s_branch .LBB24_7
.LBB24_6:                               ;   in Loop: Header=BB24_7 Depth=2
	s_wait_xcnt 0x0
	s_or_b32 exec_lo, exec_lo, s29
	s_wait_loadcnt_dscnt 0x0
	ds_store_b64 v35, v[32:33]
	s_wait_dscnt 0x0
	s_barrier_signal -1
	s_barrier_wait -1
	ds_load_b128 v[30:33], v37
	ds_load_2addr_b64 v[38:41], v36 offset1:16
	ds_load_b128 v[42:45], v37 offset:1024
	ds_load_b128 v[46:49], v37 offset:16
	;; [unrolled: 1-line block ×3, first 2 shown]
	s_add_nc_u64 s[24:25], s[24:25], 8
	v_add_nc_u64_e32 v[26:27], 64, v[26:27]
	v_cmp_lt_i64_e64 s29, s[24:25], s[8:9]
	v_add_nc_u64_e32 v[28:29], 64, v[28:29]
	s_and_b32 vcc_lo, exec_lo, s29
	s_wait_dscnt 0x3
	v_fmac_f64_e32 v[22:23], v[38:39], v[30:31]
	v_fmac_f64_e32 v[18:19], v[40:41], v[30:31]
	s_wait_dscnt 0x2
	v_fmac_f64_e32 v[16:17], v[38:39], v[42:43]
	v_fmac_f64_e32 v[14:15], v[40:41], v[42:43]
	ds_load_2addr_b64 v[38:41], v36 offset0:32 offset1:48
	s_wait_dscnt 0x0
	v_fmac_f64_e32 v[22:23], v[38:39], v[32:33]
	v_fmac_f64_e32 v[18:19], v[40:41], v[32:33]
	v_fmac_f64_e32 v[16:17], v[38:39], v[44:45]
	v_fmac_f64_e32 v[14:15], v[40:41], v[44:45]
	ds_load_2addr_b64 v[30:33], v36 offset0:64 offset1:80
	s_wait_dscnt 0x0
	v_fmac_f64_e32 v[22:23], v[30:31], v[46:47]
	v_fmac_f64_e32 v[18:19], v[32:33], v[46:47]
	;; [unrolled: 6-line block ×3, first 2 shown]
	v_fmac_f64_e32 v[16:17], v[30:31], v[52:53]
	v_fmac_f64_e32 v[14:15], v[32:33], v[52:53]
	ds_load_b128 v[30:33], v37 offset:32
	ds_load_2addr_b64 v[38:41], v36 offset0:128 offset1:144
	ds_load_b128 v[42:45], v37 offset:1056
	ds_load_b128 v[46:49], v37 offset:48
	;; [unrolled: 1-line block ×3, first 2 shown]
	s_wait_dscnt 0x3
	v_fmac_f64_e32 v[22:23], v[38:39], v[30:31]
	v_fmac_f64_e32 v[18:19], v[40:41], v[30:31]
	s_wait_dscnt 0x2
	v_fmac_f64_e32 v[16:17], v[38:39], v[42:43]
	v_fmac_f64_e32 v[14:15], v[40:41], v[42:43]
	ds_load_2addr_b64 v[38:41], v36 offset0:160 offset1:176
	s_wait_dscnt 0x0
	v_fmac_f64_e32 v[22:23], v[38:39], v[32:33]
	v_fmac_f64_e32 v[18:19], v[40:41], v[32:33]
	;; [unrolled: 1-line block ×4, first 2 shown]
	ds_load_2addr_b64 v[30:33], v36 offset0:192 offset1:208
	s_wait_dscnt 0x0
	v_fmac_f64_e32 v[22:23], v[30:31], v[46:47]
	v_fmac_f64_e32 v[18:19], v[32:33], v[46:47]
	;; [unrolled: 1-line block ×4, first 2 shown]
	ds_load_2addr_b64 v[30:33], v36 offset0:224 offset1:240
	s_wait_dscnt 0x0
	s_barrier_signal -1
	s_barrier_wait -1
	v_fmac_f64_e32 v[22:23], v[30:31], v[48:49]
	v_fmac_f64_e32 v[18:19], v[32:33], v[48:49]
	;; [unrolled: 1-line block ×4, first 2 shown]
	s_cbranch_vccz .LBB24_12
.LBB24_7:                               ;   Parent Loop BB24_4 Depth=1
                                        ; =>  This Inner Loop Header: Depth=2
	v_add_nc_u64_e32 v[30:31], s[24:25], v[0:1]
	s_delay_alu instid0(VALU_DEP_1) | instskip(SKIP_2) | instid1(SALU_CYCLE_1)
	v_cmp_gt_i64_e32 vcc_lo, s[8:9], v[30:31]
	v_mov_b64_e32 v[30:31], 0
	s_and_b32 s30, s0, vcc_lo
	s_and_saveexec_b32 s29, s30
	s_cbranch_execz .LBB24_9
; %bb.8:                                ;   in Loop: Header=BB24_7 Depth=2
	flat_load_b64 v[30:31], v[28:29]
.LBB24_9:                               ;   in Loop: Header=BB24_7 Depth=2
	s_wait_xcnt 0x0
	s_or_b32 exec_lo, exec_lo, s29
	v_add_nc_u64_e32 v[32:33], s[24:25], v[2:3]
	s_wait_loadcnt_dscnt 0x0
	ds_store_b64 v34, v[30:31]
	v_cmp_gt_i64_e32 vcc_lo, s[8:9], v[32:33]
	v_mov_b64_e32 v[32:33], 0
	s_and_b32 s30, vcc_lo, s1
	s_delay_alu instid0(SALU_CYCLE_1)
	s_and_saveexec_b32 s29, s30
	s_cbranch_execz .LBB24_6
; %bb.10:                               ;   in Loop: Header=BB24_7 Depth=2
	flat_load_b64 v[32:33], v[26:27]
	s_branch .LBB24_6
.LBB24_11:                              ;   in Loop: Header=BB24_4 Depth=1
	v_mov_b64_e32 v[22:23], 0
	v_mov_b64_e32 v[18:19], 0
	;; [unrolled: 1-line block ×3, first 2 shown]
	s_wait_xcnt 0x0
	v_mov_b64_e32 v[14:15], 0
.LBB24_12:                              ;   in Loop: Header=BB24_4 Depth=1
	s_wait_loadcnt 0x0
	v_add_nc_u64_e32 v[24:25], s[16:17], v[24:25]
	s_and_not1_b32 vcc_lo, exec_lo, s27
	s_cbranch_vccnz .LBB24_17
; %bb.13:                               ;   in Loop: Header=BB24_4 Depth=1
	s_and_saveexec_b32 s24, s2
	s_cbranch_execz .LBB24_24
; %bb.14:                               ;   in Loop: Header=BB24_4 Depth=1
	s_delay_alu instid0(VALU_DEP_1) | instskip(NEXT) | instid1(VALU_DEP_1)
	v_lshl_add_u64 v[26:27], v[4:5], 3, v[24:25]
	v_lshl_add_u64 v[28:29], v[8:9], 3, v[26:27]
	s_and_saveexec_b32 s25, s3
	s_cbranch_execnz .LBB24_18
; %bb.15:                               ;   in Loop: Header=BB24_4 Depth=1
	s_or_b32 exec_lo, exec_lo, s25
	s_and_saveexec_b32 s25, s4
	s_cbranch_execnz .LBB24_19
.LBB24_16:                              ;   in Loop: Header=BB24_4 Depth=1
	s_or_b32 exec_lo, exec_lo, s25
	s_delay_alu instid0(SALU_CYCLE_1)
	s_and_b32 exec_lo, exec_lo, s5
	s_cbranch_execnz .LBB24_20
	s_branch .LBB24_24
.LBB24_17:                              ;   in Loop: Header=BB24_4 Depth=1
	s_branch .LBB24_25
.LBB24_18:                              ;   in Loop: Header=BB24_4 Depth=1
	v_mul_f64_e32 v[30:31], s[10:11], v[22:23]
	flat_store_b64 v[28:29], v[30:31]
	s_wait_xcnt 0x0
	s_or_b32 exec_lo, exec_lo, s25
	s_and_saveexec_b32 s25, s4
	s_cbranch_execz .LBB24_16
.LBB24_19:                              ;   in Loop: Header=BB24_4 Depth=1
	v_mul_f64_e32 v[30:31], s[10:11], v[18:19]
	flat_store_b64 v[28:29], v[30:31] offset:128
	s_wait_xcnt 0x0
	s_or_b32 exec_lo, exec_lo, s25
	s_delay_alu instid0(SALU_CYCLE_1)
	s_and_b32 exec_lo, exec_lo, s5
	s_cbranch_execz .LBB24_24
.LBB24_20:                              ;   in Loop: Header=BB24_4 Depth=1
	v_lshl_add_u64 v[26:27], s[6:7], 3, v[26:27]
	s_delay_alu instid0(VALU_DEP_1)
	v_lshl_add_u64 v[26:27], v[8:9], 3, v[26:27]
	s_and_saveexec_b32 s25, s3
	s_cbranch_execz .LBB24_22
; %bb.21:                               ;   in Loop: Header=BB24_4 Depth=1
	v_mul_f64_e32 v[28:29], s[10:11], v[16:17]
	flat_store_b64 v[26:27], v[28:29]
.LBB24_22:                              ;   in Loop: Header=BB24_4 Depth=1
	s_wait_xcnt 0x0
	s_or_b32 exec_lo, exec_lo, s25
	s_delay_alu instid0(SALU_CYCLE_1)
	s_and_b32 exec_lo, exec_lo, s4
	s_cbranch_execz .LBB24_24
; %bb.23:                               ;   in Loop: Header=BB24_4 Depth=1
	v_mul_f64_e32 v[28:29], s[10:11], v[14:15]
	flat_store_b64 v[26:27], v[28:29] offset:128
.LBB24_24:                              ;   in Loop: Header=BB24_4 Depth=1
	s_wait_xcnt 0x0
	s_or_b32 exec_lo, exec_lo, s24
	s_cbranch_execnz .LBB24_3
.LBB24_25:                              ;   in Loop: Header=BB24_4 Depth=1
	s_and_saveexec_b32 s24, s2
	s_cbranch_execz .LBB24_2
; %bb.26:                               ;   in Loop: Header=BB24_4 Depth=1
	v_add_nc_u64_e32 v[26:27], s[22:23], v[20:21]
	v_lshlrev_b64_e32 v[20:21], 3, v[8:9]
	v_lshl_add_u64 v[24:25], v[4:5], 3, v[24:25]
	s_delay_alu instid0(VALU_DEP_3) | instskip(NEXT) | instid1(VALU_DEP_2)
	v_lshl_add_u64 v[26:27], v[6:7], 3, v[26:27]
	v_add_nc_u64_e32 v[28:29], v[24:25], v[20:21]
	s_delay_alu instid0(VALU_DEP_2)
	v_add_nc_u64_e32 v[30:31], v[26:27], v[20:21]
	s_and_saveexec_b32 s25, s3
	s_cbranch_execnz .LBB24_29
; %bb.27:                               ;   in Loop: Header=BB24_4 Depth=1
	s_or_b32 exec_lo, exec_lo, s25
	s_and_saveexec_b32 s25, s4
	s_cbranch_execnz .LBB24_30
.LBB24_28:                              ;   in Loop: Header=BB24_4 Depth=1
	s_or_b32 exec_lo, exec_lo, s25
	s_delay_alu instid0(SALU_CYCLE_1)
	s_and_b32 exec_lo, exec_lo, s5
	s_cbranch_execz .LBB24_2
	s_branch .LBB24_31
.LBB24_29:                              ;   in Loop: Header=BB24_4 Depth=1
	flat_load_b64 v[32:33], v[30:31]
	s_wait_loadcnt_dscnt 0x0
	v_mul_f64_e32 v[32:33], s[40:41], v[32:33]
	s_delay_alu instid0(VALU_DEP_1)
	v_fmac_f64_e32 v[32:33], s[10:11], v[22:23]
	flat_store_b64 v[28:29], v[32:33]
	s_wait_xcnt 0x0
	s_or_b32 exec_lo, exec_lo, s25
	s_and_saveexec_b32 s25, s4
	s_cbranch_execz .LBB24_28
.LBB24_30:                              ;   in Loop: Header=BB24_4 Depth=1
	flat_load_b64 v[22:23], v[30:31] offset:128
	s_wait_loadcnt_dscnt 0x0
	v_mul_f64_e32 v[22:23], s[40:41], v[22:23]
	s_delay_alu instid0(VALU_DEP_1) | instskip(SKIP_3) | instid1(SALU_CYCLE_1)
	v_fmac_f64_e32 v[22:23], s[10:11], v[18:19]
	flat_store_b64 v[28:29], v[22:23] offset:128
	s_wait_xcnt 0x0
	s_or_b32 exec_lo, exec_lo, s25
	s_and_b32 exec_lo, exec_lo, s5
	s_cbranch_execz .LBB24_2
.LBB24_31:                              ;   in Loop: Header=BB24_4 Depth=1
	v_lshl_add_u64 v[18:19], s[14:15], 3, v[26:27]
	v_lshl_add_u64 v[24:25], s[6:7], 3, v[24:25]
	s_delay_alu instid0(VALU_DEP_2) | instskip(NEXT) | instid1(VALU_DEP_2)
	v_add_nc_u64_e32 v[22:23], v[18:19], v[20:21]
	v_add_nc_u64_e32 v[18:19], v[24:25], v[20:21]
	s_and_saveexec_b32 s25, s3
	s_cbranch_execz .LBB24_33
; %bb.32:                               ;   in Loop: Header=BB24_4 Depth=1
	flat_load_b64 v[20:21], v[22:23]
	s_wait_loadcnt_dscnt 0x0
	v_mul_f64_e32 v[20:21], s[40:41], v[20:21]
	s_delay_alu instid0(VALU_DEP_1)
	v_fmac_f64_e32 v[20:21], s[10:11], v[16:17]
	flat_store_b64 v[18:19], v[20:21]
.LBB24_33:                              ;   in Loop: Header=BB24_4 Depth=1
	s_wait_xcnt 0x0
	s_or_b32 exec_lo, exec_lo, s25
	s_delay_alu instid0(SALU_CYCLE_1)
	s_and_b32 exec_lo, exec_lo, s4
	s_cbranch_execz .LBB24_2
; %bb.34:                               ;   in Loop: Header=BB24_4 Depth=1
	flat_load_b64 v[16:17], v[22:23] offset:128
	s_wait_loadcnt_dscnt 0x0
	v_mul_f64_e32 v[16:17], s[40:41], v[16:17]
	s_delay_alu instid0(VALU_DEP_1)
	v_fmac_f64_e32 v[16:17], s[10:11], v[14:15]
	flat_store_b64 v[18:19], v[16:17] offset:128
	s_branch .LBB24_2
.LBB24_35:
	s_endpgm
	.section	.rodata,"a",@progbits
	.p2align	6, 0x0
	.amdhsa_kernel _ZN12_GLOBAL__N_135rocblas_gemm_batched_general_kernelIdLi16ELi16ELi32ELi32ELi8ELi32ELi8ELi8ELi32ELc67ELc78EKPKdS3_KPdEEvlllT_PT11_llS8_llS6_PT12_llPT13_lli
		.amdhsa_group_segment_fixed_size 4096
		.amdhsa_private_segment_fixed_size 0
		.amdhsa_kernarg_size 140
		.amdhsa_user_sgpr_count 2
		.amdhsa_user_sgpr_dispatch_ptr 0
		.amdhsa_user_sgpr_queue_ptr 0
		.amdhsa_user_sgpr_kernarg_segment_ptr 1
		.amdhsa_user_sgpr_dispatch_id 0
		.amdhsa_user_sgpr_kernarg_preload_length 0
		.amdhsa_user_sgpr_kernarg_preload_offset 0
		.amdhsa_user_sgpr_private_segment_size 0
		.amdhsa_wavefront_size32 1
		.amdhsa_uses_dynamic_stack 0
		.amdhsa_enable_private_segment 0
		.amdhsa_system_sgpr_workgroup_id_x 1
		.amdhsa_system_sgpr_workgroup_id_y 1
		.amdhsa_system_sgpr_workgroup_id_z 1
		.amdhsa_system_sgpr_workgroup_info 0
		.amdhsa_system_vgpr_workitem_id 1
		.amdhsa_next_free_vgpr 54
		.amdhsa_next_free_sgpr 52
		.amdhsa_named_barrier_count 0
		.amdhsa_reserve_vcc 1
		.amdhsa_float_round_mode_32 0
		.amdhsa_float_round_mode_16_64 0
		.amdhsa_float_denorm_mode_32 3
		.amdhsa_float_denorm_mode_16_64 3
		.amdhsa_fp16_overflow 0
		.amdhsa_memory_ordered 1
		.amdhsa_forward_progress 1
		.amdhsa_inst_pref_size 14
		.amdhsa_round_robin_scheduling 0
		.amdhsa_exception_fp_ieee_invalid_op 0
		.amdhsa_exception_fp_denorm_src 0
		.amdhsa_exception_fp_ieee_div_zero 0
		.amdhsa_exception_fp_ieee_overflow 0
		.amdhsa_exception_fp_ieee_underflow 0
		.amdhsa_exception_fp_ieee_inexact 0
		.amdhsa_exception_int_div_zero 0
	.end_amdhsa_kernel
	.section	.text._ZN12_GLOBAL__N_135rocblas_gemm_batched_general_kernelIdLi16ELi16ELi32ELi32ELi8ELi32ELi8ELi8ELi32ELc67ELc78EKPKdS3_KPdEEvlllT_PT11_llS8_llS6_PT12_llPT13_lli,"axG",@progbits,_ZN12_GLOBAL__N_135rocblas_gemm_batched_general_kernelIdLi16ELi16ELi32ELi32ELi8ELi32ELi8ELi8ELi32ELc67ELc78EKPKdS3_KPdEEvlllT_PT11_llS8_llS6_PT12_llPT13_lli,comdat
.Lfunc_end24:
	.size	_ZN12_GLOBAL__N_135rocblas_gemm_batched_general_kernelIdLi16ELi16ELi32ELi32ELi8ELi32ELi8ELi8ELi32ELc67ELc78EKPKdS3_KPdEEvlllT_PT11_llS8_llS6_PT12_llPT13_lli, .Lfunc_end24-_ZN12_GLOBAL__N_135rocblas_gemm_batched_general_kernelIdLi16ELi16ELi32ELi32ELi8ELi32ELi8ELi8ELi32ELc67ELc78EKPKdS3_KPdEEvlllT_PT11_llS8_llS6_PT12_llPT13_lli
                                        ; -- End function
	.set _ZN12_GLOBAL__N_135rocblas_gemm_batched_general_kernelIdLi16ELi16ELi32ELi32ELi8ELi32ELi8ELi8ELi32ELc67ELc78EKPKdS3_KPdEEvlllT_PT11_llS8_llS6_PT12_llPT13_lli.num_vgpr, 54
	.set _ZN12_GLOBAL__N_135rocblas_gemm_batched_general_kernelIdLi16ELi16ELi32ELi32ELi8ELi32ELi8ELi8ELi32ELc67ELc78EKPKdS3_KPdEEvlllT_PT11_llS8_llS6_PT12_llPT13_lli.num_agpr, 0
	.set _ZN12_GLOBAL__N_135rocblas_gemm_batched_general_kernelIdLi16ELi16ELi32ELi32ELi8ELi32ELi8ELi8ELi32ELc67ELc78EKPKdS3_KPdEEvlllT_PT11_llS8_llS6_PT12_llPT13_lli.numbered_sgpr, 52
	.set _ZN12_GLOBAL__N_135rocblas_gemm_batched_general_kernelIdLi16ELi16ELi32ELi32ELi8ELi32ELi8ELi8ELi32ELc67ELc78EKPKdS3_KPdEEvlllT_PT11_llS8_llS6_PT12_llPT13_lli.num_named_barrier, 0
	.set _ZN12_GLOBAL__N_135rocblas_gemm_batched_general_kernelIdLi16ELi16ELi32ELi32ELi8ELi32ELi8ELi8ELi32ELc67ELc78EKPKdS3_KPdEEvlllT_PT11_llS8_llS6_PT12_llPT13_lli.private_seg_size, 0
	.set _ZN12_GLOBAL__N_135rocblas_gemm_batched_general_kernelIdLi16ELi16ELi32ELi32ELi8ELi32ELi8ELi8ELi32ELc67ELc78EKPKdS3_KPdEEvlllT_PT11_llS8_llS6_PT12_llPT13_lli.uses_vcc, 1
	.set _ZN12_GLOBAL__N_135rocblas_gemm_batched_general_kernelIdLi16ELi16ELi32ELi32ELi8ELi32ELi8ELi8ELi32ELc67ELc78EKPKdS3_KPdEEvlllT_PT11_llS8_llS6_PT12_llPT13_lli.uses_flat_scratch, 0
	.set _ZN12_GLOBAL__N_135rocblas_gemm_batched_general_kernelIdLi16ELi16ELi32ELi32ELi8ELi32ELi8ELi8ELi32ELc67ELc78EKPKdS3_KPdEEvlllT_PT11_llS8_llS6_PT12_llPT13_lli.has_dyn_sized_stack, 0
	.set _ZN12_GLOBAL__N_135rocblas_gemm_batched_general_kernelIdLi16ELi16ELi32ELi32ELi8ELi32ELi8ELi8ELi32ELc67ELc78EKPKdS3_KPdEEvlllT_PT11_llS8_llS6_PT12_llPT13_lli.has_recursion, 0
	.set _ZN12_GLOBAL__N_135rocblas_gemm_batched_general_kernelIdLi16ELi16ELi32ELi32ELi8ELi32ELi8ELi8ELi32ELc67ELc78EKPKdS3_KPdEEvlllT_PT11_llS8_llS6_PT12_llPT13_lli.has_indirect_call, 0
	.section	.AMDGPU.csdata,"",@progbits
; Kernel info:
; codeLenInByte = 1740
; TotalNumSgprs: 54
; NumVgprs: 54
; ScratchSize: 0
; MemoryBound: 0
; FloatMode: 240
; IeeeMode: 1
; LDSByteSize: 4096 bytes/workgroup (compile time only)
; SGPRBlocks: 0
; VGPRBlocks: 3
; NumSGPRsForWavesPerEU: 54
; NumVGPRsForWavesPerEU: 54
; NamedBarCnt: 0
; Occupancy: 16
; WaveLimiterHint : 1
; COMPUTE_PGM_RSRC2:SCRATCH_EN: 0
; COMPUTE_PGM_RSRC2:USER_SGPR: 2
; COMPUTE_PGM_RSRC2:TRAP_HANDLER: 0
; COMPUTE_PGM_RSRC2:TGID_X_EN: 1
; COMPUTE_PGM_RSRC2:TGID_Y_EN: 1
; COMPUTE_PGM_RSRC2:TGID_Z_EN: 1
; COMPUTE_PGM_RSRC2:TIDIG_COMP_CNT: 1
	.section	.text._ZN12_GLOBAL__N_135rocblas_gemm_batched_general_kernelIdLi16ELi16ELi32ELi32ELi8ELi32ELi8ELi8ELi32ELc67ELc84EKPKdS3_KPdEEvlllT_PT11_llS8_llS6_PT12_llPT13_lli,"axG",@progbits,_ZN12_GLOBAL__N_135rocblas_gemm_batched_general_kernelIdLi16ELi16ELi32ELi32ELi8ELi32ELi8ELi8ELi32ELc67ELc84EKPKdS3_KPdEEvlllT_PT11_llS8_llS6_PT12_llPT13_lli,comdat
	.globl	_ZN12_GLOBAL__N_135rocblas_gemm_batched_general_kernelIdLi16ELi16ELi32ELi32ELi8ELi32ELi8ELi8ELi32ELc67ELc84EKPKdS3_KPdEEvlllT_PT11_llS8_llS6_PT12_llPT13_lli ; -- Begin function _ZN12_GLOBAL__N_135rocblas_gemm_batched_general_kernelIdLi16ELi16ELi32ELi32ELi8ELi32ELi8ELi8ELi32ELc67ELc84EKPKdS3_KPdEEvlllT_PT11_llS8_llS6_PT12_llPT13_lli
	.p2align	8
	.type	_ZN12_GLOBAL__N_135rocblas_gemm_batched_general_kernelIdLi16ELi16ELi32ELi32ELi8ELi32ELi8ELi8ELi32ELc67ELc84EKPKdS3_KPdEEvlllT_PT11_llS8_llS6_PT12_llPT13_lli,@function
_ZN12_GLOBAL__N_135rocblas_gemm_batched_general_kernelIdLi16ELi16ELi32ELi32ELi8ELi32ELi8ELi8ELi32ELc67ELc84EKPKdS3_KPdEEvlllT_PT11_llS8_llS6_PT12_llPT13_lli: ; @_ZN12_GLOBAL__N_135rocblas_gemm_batched_general_kernelIdLi16ELi16ELi32ELi32ELi8ELi32ELi8ELi8ELi32ELc67ELc84EKPKdS3_KPdEEvlllT_PT11_llS8_llS6_PT12_llPT13_lli
; %bb.0:
	s_load_b32 s28, s[0:1], 0x88
	s_bfe_u32 s2, ttmp6, 0x40014
	s_lshr_b32 s3, ttmp7, 16
	s_add_co_i32 s2, s2, 1
	s_bfe_u32 s5, ttmp6, 0x40008
	s_mul_i32 s4, s3, s2
	s_getreg_b32 s2, hwreg(HW_REG_IB_STS2, 6, 4)
	s_add_co_i32 s5, s5, s4
	s_cmp_eq_u32 s2, 0
	s_mov_b32 s21, 0
	s_cselect_b32 s20, s3, s5
	s_wait_kmcnt 0x0
	s_cmp_ge_i32 s20, s28
	s_cbranch_scc1 .LBB25_35
; %bb.1:
	s_clause 0x2
	s_load_b512 s[4:19], s[0:1], 0x0
	s_load_b512 s[36:51], s[0:1], 0x40
	s_load_b64 s[22:23], s[0:1], 0x80
	v_bfe_u32 v10, v0, 10, 10
	v_and_b32_e32 v12, 0x3ff, v0
	s_wait_xcnt 0x0
	s_bfe_u32 s0, ttmp6, 0x4000c
	s_bfe_u32 s3, ttmp6, 0x40010
	s_add_co_i32 s0, s0, 1
	s_and_b32 s24, ttmp7, 0xffff
	s_add_co_i32 s3, s3, 1
	s_and_b32 s1, ttmp6, 15
	s_mul_i32 s0, ttmp9, s0
	s_mul_i32 s3, s24, s3
	s_bfe_u32 s25, ttmp6, 0x40004
	v_lshl_add_u32 v22, v10, 4, v12
	s_add_co_i32 s1, s1, s0
	s_add_co_i32 s25, s25, s3
	s_cmp_eq_u32 s2, 0
	s_delay_alu instid0(VALU_DEP_1) | instskip(SKIP_3) | instid1(VALU_DEP_1)
	v_dual_mov_b32 v1, 0 :: v_dual_bitop2_b32 v8, 31, v22 bitop3:0x40
	s_cselect_b32 s0, ttmp9, s1
	s_cselect_b32 s24, s24, s25
	s_ashr_i32 s1, s0, 31
	v_dual_mov_b32 v3, v1 :: v_dual_bitop2_b32 v2, 7, v0 bitop3:0x40
	s_lshl_b64 s[2:3], s[0:1], 5
	s_delay_alu instid0(SALU_CYCLE_1)
	v_dual_mov_b32 v11, v1 :: v_dual_bitop2_b32 v4, s2, v8 bitop3:0x54
	v_dual_mov_b32 v5, s3 :: v_dual_mov_b32 v13, v1
	s_wait_kmcnt 0x0
	v_mul_u64_e32 v[14:15], s[36:37], v[2:3]
	s_lshl_b32 s0, s24, 5
	s_mov_b32 s1, s21
	v_mul_u64_e32 v[16:17], s[14:15], v[4:5]
	v_add_nc_u64_e32 v[18:19], s[0:1], v[10:11]
	v_dual_lshrrev_b32 v0, 5, v22 :: v_dual_lshrrev_b32 v6, 3, v22
	v_dual_mov_b32 v7, v1 :: v_dual_lshlrev_b32 v8, 3, v8
	v_dual_lshlrev_b32 v9, 3, v2 :: v_dual_lshlrev_b32 v36, 3, v12
	v_cmp_eq_f64_e64 s29, s[40:41], 0
	s_delay_alu instid0(VALU_DEP_3) | instskip(NEXT) | instid1(VALU_DEP_4)
	v_add_nc_u64_e32 v[20:21], s[0:1], v[6:7]
	v_lshl_or_b32 v34, v0, 8, v8
	s_delay_alu instid0(VALU_DEP_4)
	v_lshl_or_b32 v11, v6, 6, v9
	v_mul_u64_e32 v[6:7], s[50:51], v[18:19]
	v_mul_u64_e32 v[8:9], s[44:45], v[18:19]
	v_cmp_gt_i64_e64 s0, s[4:5], v[4:5]
	v_add_nc_u64_e32 v[4:5], s[2:3], v[12:13]
	s_lshl_b32 s14, s24, 8
	s_mov_b32 s15, s21
	s_lshl_b64 s[24:25], s[38:39], 3
	v_add_nc_u32_e32 v35, 0x800, v11
	s_add_nc_u64 s[14:15], s[24:25], s[14:15]
	v_lshl_add_u32 v37, v10, 6, 0x800
	v_add_nc_u64_e32 v[12:13], 16, v[4:5]
	v_cmp_gt_i64_e64 s3, s[4:5], v[4:5]
	v_add_nc_u64_e32 v[10:11], 16, v[18:19]
	v_cmp_gt_i64_e64 s2, s[6:7], v[18:19]
	v_dual_mov_b32 v19, v1 :: v_dual_lshlrev_b32 v18, 3, v0
	v_cmp_gt_i64_e64 s1, s[6:7], v[20:21]
	v_cmp_gt_i64_e64 s4, s[4:5], v[12:13]
	v_lshl_add_u64 v[12:13], v[14:15], 3, s[14:15]
	s_lshl_b64 s[14:15], s[16:17], 3
	v_and_b32_e32 v14, 0x1ff8, v22
	v_mov_b32_e32 v15, v1
	v_lshl_add_u64 v[16:17], v[16:17], 3, s[14:15]
	v_cmp_gt_i64_e64 s5, s[6:7], v[10:11]
	v_cmp_gt_i64_e64 s30, s[8:9], 0
	s_lshl_b64 s[6:7], s[50:51], 4
	v_add_nc_u64_e32 v[10:11], v[12:13], v[14:15]
	v_add_nc_u64_e32 v[12:13], v[16:17], v[18:19]
	s_lshl_b64 s[14:15], s[44:45], 4
	s_lshl_b64 s[16:17], s[36:37], 6
	;; [unrolled: 1-line block ×4, first 2 shown]
	s_branch .LBB25_4
.LBB25_2:                               ;   in Loop: Header=BB25_4 Depth=1
	s_wait_xcnt 0x0
	s_or_b32 exec_lo, exec_lo, s26
.LBB25_3:                               ;   in Loop: Header=BB25_4 Depth=1
	s_add_co_i32 s20, s20, 0x10000
	s_delay_alu instid0(SALU_CYCLE_1)
	s_cmp_lt_i32 s20, s28
	s_cbranch_scc0 .LBB25_35
.LBB25_4:                               ; =>This Loop Header: Depth=1
                                        ;     Child Loop BB25_7 Depth 2
	v_mov_b32_e32 v14, s20
	s_and_not1_b32 vcc_lo, exec_lo, s30
	s_clause 0x1
	global_load_b64 v[20:21], v14, s[42:43] scale_offset
	global_load_b64 v[24:25], v14, s[48:49] scale_offset
	s_cbranch_vccnz .LBB25_11
; %bb.5:                                ;   in Loop: Header=BB25_4 Depth=1
	s_lshl_b64 s[26:27], s[20:21], 3
	s_wait_xcnt 0x0
	v_mov_b64_e32 v[14:15], 0
	s_add_nc_u64 s[34:35], s[18:19], s[26:27]
	s_add_nc_u64 s[26:27], s[12:13], s[26:27]
	s_clause 0x1
	global_load_b64 v[22:23], v1, s[34:35]
	global_load_b64 v[28:29], v1, s[26:27]
	v_mov_b64_e32 v[16:17], 0
	v_mov_b64_e32 v[18:19], 0
	s_wait_xcnt 0x0
	s_mov_b64 s[26:27], 0
	s_wait_loadcnt 0x1
	v_add_nc_u64_e32 v[26:27], v[22:23], v[10:11]
	s_wait_loadcnt 0x0
	v_add_nc_u64_e32 v[28:29], v[28:29], v[12:13]
	v_mov_b64_e32 v[22:23], 0
	s_branch .LBB25_7
.LBB25_6:                               ;   in Loop: Header=BB25_7 Depth=2
	s_wait_xcnt 0x0
	s_or_b32 exec_lo, exec_lo, s31
	s_wait_loadcnt_dscnt 0x0
	ds_store_b64 v35, v[32:33]
	s_wait_dscnt 0x0
	s_barrier_signal -1
	s_barrier_wait -1
	ds_load_b128 v[30:33], v37
	ds_load_2addr_b64 v[38:41], v36 offset1:16
	ds_load_b128 v[42:45], v37 offset:1024
	ds_load_b128 v[46:49], v37 offset:16
	ds_load_b128 v[50:53], v37 offset:1040
	s_add_nc_u64 s[26:27], s[26:27], 8
	v_add_nc_u64_e32 v[26:27], s[16:17], v[26:27]
	v_cmp_lt_i64_e64 s31, s[26:27], s[8:9]
	v_add_nc_u64_e32 v[28:29], 64, v[28:29]
	s_and_b32 vcc_lo, exec_lo, s31
	s_wait_dscnt 0x3
	v_fmac_f64_e32 v[22:23], v[38:39], v[30:31]
	v_fmac_f64_e32 v[18:19], v[40:41], v[30:31]
	s_wait_dscnt 0x2
	v_fmac_f64_e32 v[16:17], v[38:39], v[42:43]
	v_fmac_f64_e32 v[14:15], v[40:41], v[42:43]
	ds_load_2addr_b64 v[38:41], v36 offset0:32 offset1:48
	s_wait_dscnt 0x0
	v_fmac_f64_e32 v[22:23], v[38:39], v[32:33]
	v_fmac_f64_e32 v[18:19], v[40:41], v[32:33]
	v_fmac_f64_e32 v[16:17], v[38:39], v[44:45]
	v_fmac_f64_e32 v[14:15], v[40:41], v[44:45]
	ds_load_2addr_b64 v[30:33], v36 offset0:64 offset1:80
	s_wait_dscnt 0x0
	v_fmac_f64_e32 v[22:23], v[30:31], v[46:47]
	v_fmac_f64_e32 v[18:19], v[32:33], v[46:47]
	;; [unrolled: 6-line block ×3, first 2 shown]
	v_fmac_f64_e32 v[16:17], v[30:31], v[52:53]
	v_fmac_f64_e32 v[14:15], v[32:33], v[52:53]
	ds_load_b128 v[30:33], v37 offset:32
	ds_load_2addr_b64 v[38:41], v36 offset0:128 offset1:144
	ds_load_b128 v[42:45], v37 offset:1056
	ds_load_b128 v[46:49], v37 offset:48
	;; [unrolled: 1-line block ×3, first 2 shown]
	s_wait_dscnt 0x3
	v_fmac_f64_e32 v[22:23], v[38:39], v[30:31]
	v_fmac_f64_e32 v[18:19], v[40:41], v[30:31]
	s_wait_dscnt 0x2
	v_fmac_f64_e32 v[16:17], v[38:39], v[42:43]
	v_fmac_f64_e32 v[14:15], v[40:41], v[42:43]
	ds_load_2addr_b64 v[38:41], v36 offset0:160 offset1:176
	s_wait_dscnt 0x0
	v_fmac_f64_e32 v[22:23], v[38:39], v[32:33]
	v_fmac_f64_e32 v[18:19], v[40:41], v[32:33]
	;; [unrolled: 1-line block ×4, first 2 shown]
	ds_load_2addr_b64 v[30:33], v36 offset0:192 offset1:208
	s_wait_dscnt 0x0
	v_fmac_f64_e32 v[22:23], v[30:31], v[46:47]
	v_fmac_f64_e32 v[18:19], v[32:33], v[46:47]
	;; [unrolled: 1-line block ×4, first 2 shown]
	ds_load_2addr_b64 v[30:33], v36 offset0:224 offset1:240
	s_wait_dscnt 0x0
	s_barrier_signal -1
	s_barrier_wait -1
	v_fmac_f64_e32 v[22:23], v[30:31], v[48:49]
	v_fmac_f64_e32 v[18:19], v[32:33], v[48:49]
	v_fmac_f64_e32 v[16:17], v[30:31], v[52:53]
	v_fmac_f64_e32 v[14:15], v[32:33], v[52:53]
	s_cbranch_vccz .LBB25_12
.LBB25_7:                               ;   Parent Loop BB25_4 Depth=1
                                        ; =>  This Inner Loop Header: Depth=2
	v_add_nc_u64_e32 v[30:31], s[26:27], v[0:1]
	s_delay_alu instid0(VALU_DEP_1) | instskip(SKIP_2) | instid1(SALU_CYCLE_1)
	v_cmp_gt_i64_e32 vcc_lo, s[8:9], v[30:31]
	v_mov_b64_e32 v[30:31], 0
	s_and_b32 s33, s0, vcc_lo
	s_and_saveexec_b32 s31, s33
	s_cbranch_execz .LBB25_9
; %bb.8:                                ;   in Loop: Header=BB25_7 Depth=2
	flat_load_b64 v[30:31], v[28:29]
.LBB25_9:                               ;   in Loop: Header=BB25_7 Depth=2
	s_wait_xcnt 0x0
	s_or_b32 exec_lo, exec_lo, s31
	v_add_nc_u64_e32 v[32:33], s[26:27], v[2:3]
	s_wait_loadcnt_dscnt 0x0
	ds_store_b64 v34, v[30:31]
	v_cmp_gt_i64_e32 vcc_lo, s[8:9], v[32:33]
	v_mov_b64_e32 v[32:33], 0
	s_and_b32 s33, vcc_lo, s1
	s_delay_alu instid0(SALU_CYCLE_1)
	s_and_saveexec_b32 s31, s33
	s_cbranch_execz .LBB25_6
; %bb.10:                               ;   in Loop: Header=BB25_7 Depth=2
	flat_load_b64 v[32:33], v[26:27]
	s_branch .LBB25_6
.LBB25_11:                              ;   in Loop: Header=BB25_4 Depth=1
	v_mov_b64_e32 v[22:23], 0
	v_mov_b64_e32 v[18:19], 0
	;; [unrolled: 1-line block ×3, first 2 shown]
	s_wait_xcnt 0x0
	v_mov_b64_e32 v[14:15], 0
.LBB25_12:                              ;   in Loop: Header=BB25_4 Depth=1
	s_wait_loadcnt 0x0
	v_add_nc_u64_e32 v[24:25], s[22:23], v[24:25]
	s_and_not1_b32 vcc_lo, exec_lo, s29
	s_cbranch_vccnz .LBB25_17
; %bb.13:                               ;   in Loop: Header=BB25_4 Depth=1
	s_and_saveexec_b32 s26, s2
	s_cbranch_execz .LBB25_24
; %bb.14:                               ;   in Loop: Header=BB25_4 Depth=1
	s_delay_alu instid0(VALU_DEP_1) | instskip(NEXT) | instid1(VALU_DEP_1)
	v_lshl_add_u64 v[26:27], v[6:7], 3, v[24:25]
	v_lshl_add_u64 v[28:29], v[4:5], 3, v[26:27]
	s_and_saveexec_b32 s27, s3
	s_cbranch_execnz .LBB25_18
; %bb.15:                               ;   in Loop: Header=BB25_4 Depth=1
	s_or_b32 exec_lo, exec_lo, s27
	s_and_saveexec_b32 s27, s4
	s_cbranch_execnz .LBB25_19
.LBB25_16:                              ;   in Loop: Header=BB25_4 Depth=1
	s_or_b32 exec_lo, exec_lo, s27
	s_delay_alu instid0(SALU_CYCLE_1)
	s_and_b32 exec_lo, exec_lo, s5
	s_cbranch_execnz .LBB25_20
	s_branch .LBB25_24
.LBB25_17:                              ;   in Loop: Header=BB25_4 Depth=1
	s_branch .LBB25_25
.LBB25_18:                              ;   in Loop: Header=BB25_4 Depth=1
	v_mul_f64_e32 v[30:31], s[10:11], v[22:23]
	flat_store_b64 v[28:29], v[30:31]
	s_wait_xcnt 0x0
	s_or_b32 exec_lo, exec_lo, s27
	s_and_saveexec_b32 s27, s4
	s_cbranch_execz .LBB25_16
.LBB25_19:                              ;   in Loop: Header=BB25_4 Depth=1
	v_mul_f64_e32 v[30:31], s[10:11], v[18:19]
	flat_store_b64 v[28:29], v[30:31] offset:128
	s_wait_xcnt 0x0
	s_or_b32 exec_lo, exec_lo, s27
	s_delay_alu instid0(SALU_CYCLE_1)
	s_and_b32 exec_lo, exec_lo, s5
	s_cbranch_execz .LBB25_24
.LBB25_20:                              ;   in Loop: Header=BB25_4 Depth=1
	v_lshl_add_u64 v[26:27], s[6:7], 3, v[26:27]
	s_delay_alu instid0(VALU_DEP_1)
	v_lshl_add_u64 v[26:27], v[4:5], 3, v[26:27]
	s_and_saveexec_b32 s27, s3
	s_cbranch_execz .LBB25_22
; %bb.21:                               ;   in Loop: Header=BB25_4 Depth=1
	v_mul_f64_e32 v[28:29], s[10:11], v[16:17]
	flat_store_b64 v[26:27], v[28:29]
.LBB25_22:                              ;   in Loop: Header=BB25_4 Depth=1
	s_wait_xcnt 0x0
	s_or_b32 exec_lo, exec_lo, s27
	s_delay_alu instid0(SALU_CYCLE_1)
	s_and_b32 exec_lo, exec_lo, s4
	s_cbranch_execz .LBB25_24
; %bb.23:                               ;   in Loop: Header=BB25_4 Depth=1
	v_mul_f64_e32 v[28:29], s[10:11], v[14:15]
	flat_store_b64 v[26:27], v[28:29] offset:128
.LBB25_24:                              ;   in Loop: Header=BB25_4 Depth=1
	s_wait_xcnt 0x0
	s_or_b32 exec_lo, exec_lo, s26
	s_cbranch_execnz .LBB25_3
.LBB25_25:                              ;   in Loop: Header=BB25_4 Depth=1
	s_and_saveexec_b32 s26, s2
	s_cbranch_execz .LBB25_2
; %bb.26:                               ;   in Loop: Header=BB25_4 Depth=1
	v_add_nc_u64_e32 v[26:27], s[24:25], v[20:21]
	v_lshlrev_b64_e32 v[20:21], 3, v[4:5]
	v_lshl_add_u64 v[24:25], v[6:7], 3, v[24:25]
	s_delay_alu instid0(VALU_DEP_3) | instskip(NEXT) | instid1(VALU_DEP_2)
	v_lshl_add_u64 v[26:27], v[8:9], 3, v[26:27]
	v_add_nc_u64_e32 v[28:29], v[24:25], v[20:21]
	s_delay_alu instid0(VALU_DEP_2)
	v_add_nc_u64_e32 v[30:31], v[26:27], v[20:21]
	s_and_saveexec_b32 s27, s3
	s_cbranch_execnz .LBB25_29
; %bb.27:                               ;   in Loop: Header=BB25_4 Depth=1
	s_or_b32 exec_lo, exec_lo, s27
	s_and_saveexec_b32 s27, s4
	s_cbranch_execnz .LBB25_30
.LBB25_28:                              ;   in Loop: Header=BB25_4 Depth=1
	s_or_b32 exec_lo, exec_lo, s27
	s_delay_alu instid0(SALU_CYCLE_1)
	s_and_b32 exec_lo, exec_lo, s5
	s_cbranch_execz .LBB25_2
	s_branch .LBB25_31
.LBB25_29:                              ;   in Loop: Header=BB25_4 Depth=1
	flat_load_b64 v[32:33], v[30:31]
	s_wait_loadcnt_dscnt 0x0
	v_mul_f64_e32 v[32:33], s[40:41], v[32:33]
	s_delay_alu instid0(VALU_DEP_1)
	v_fmac_f64_e32 v[32:33], s[10:11], v[22:23]
	flat_store_b64 v[28:29], v[32:33]
	s_wait_xcnt 0x0
	s_or_b32 exec_lo, exec_lo, s27
	s_and_saveexec_b32 s27, s4
	s_cbranch_execz .LBB25_28
.LBB25_30:                              ;   in Loop: Header=BB25_4 Depth=1
	flat_load_b64 v[22:23], v[30:31] offset:128
	s_wait_loadcnt_dscnt 0x0
	v_mul_f64_e32 v[22:23], s[40:41], v[22:23]
	s_delay_alu instid0(VALU_DEP_1) | instskip(SKIP_3) | instid1(SALU_CYCLE_1)
	v_fmac_f64_e32 v[22:23], s[10:11], v[18:19]
	flat_store_b64 v[28:29], v[22:23] offset:128
	s_wait_xcnt 0x0
	s_or_b32 exec_lo, exec_lo, s27
	s_and_b32 exec_lo, exec_lo, s5
	s_cbranch_execz .LBB25_2
.LBB25_31:                              ;   in Loop: Header=BB25_4 Depth=1
	v_lshl_add_u64 v[18:19], s[14:15], 3, v[26:27]
	v_lshl_add_u64 v[24:25], s[6:7], 3, v[24:25]
	s_delay_alu instid0(VALU_DEP_2) | instskip(NEXT) | instid1(VALU_DEP_2)
	v_add_nc_u64_e32 v[22:23], v[18:19], v[20:21]
	v_add_nc_u64_e32 v[18:19], v[24:25], v[20:21]
	s_and_saveexec_b32 s27, s3
	s_cbranch_execz .LBB25_33
; %bb.32:                               ;   in Loop: Header=BB25_4 Depth=1
	flat_load_b64 v[20:21], v[22:23]
	s_wait_loadcnt_dscnt 0x0
	v_mul_f64_e32 v[20:21], s[40:41], v[20:21]
	s_delay_alu instid0(VALU_DEP_1)
	v_fmac_f64_e32 v[20:21], s[10:11], v[16:17]
	flat_store_b64 v[18:19], v[20:21]
.LBB25_33:                              ;   in Loop: Header=BB25_4 Depth=1
	s_wait_xcnt 0x0
	s_or_b32 exec_lo, exec_lo, s27
	s_delay_alu instid0(SALU_CYCLE_1)
	s_and_b32 exec_lo, exec_lo, s4
	s_cbranch_execz .LBB25_2
; %bb.34:                               ;   in Loop: Header=BB25_4 Depth=1
	flat_load_b64 v[16:17], v[22:23] offset:128
	s_wait_loadcnt_dscnt 0x0
	v_mul_f64_e32 v[16:17], s[40:41], v[16:17]
	s_delay_alu instid0(VALU_DEP_1)
	v_fmac_f64_e32 v[16:17], s[10:11], v[14:15]
	flat_store_b64 v[18:19], v[16:17] offset:128
	s_branch .LBB25_2
.LBB25_35:
	s_endpgm
	.section	.rodata,"a",@progbits
	.p2align	6, 0x0
	.amdhsa_kernel _ZN12_GLOBAL__N_135rocblas_gemm_batched_general_kernelIdLi16ELi16ELi32ELi32ELi8ELi32ELi8ELi8ELi32ELc67ELc84EKPKdS3_KPdEEvlllT_PT11_llS8_llS6_PT12_llPT13_lli
		.amdhsa_group_segment_fixed_size 4096
		.amdhsa_private_segment_fixed_size 0
		.amdhsa_kernarg_size 140
		.amdhsa_user_sgpr_count 2
		.amdhsa_user_sgpr_dispatch_ptr 0
		.amdhsa_user_sgpr_queue_ptr 0
		.amdhsa_user_sgpr_kernarg_segment_ptr 1
		.amdhsa_user_sgpr_dispatch_id 0
		.amdhsa_user_sgpr_kernarg_preload_length 0
		.amdhsa_user_sgpr_kernarg_preload_offset 0
		.amdhsa_user_sgpr_private_segment_size 0
		.amdhsa_wavefront_size32 1
		.amdhsa_uses_dynamic_stack 0
		.amdhsa_enable_private_segment 0
		.amdhsa_system_sgpr_workgroup_id_x 1
		.amdhsa_system_sgpr_workgroup_id_y 1
		.amdhsa_system_sgpr_workgroup_id_z 1
		.amdhsa_system_sgpr_workgroup_info 0
		.amdhsa_system_vgpr_workitem_id 1
		.amdhsa_next_free_vgpr 54
		.amdhsa_next_free_sgpr 52
		.amdhsa_named_barrier_count 0
		.amdhsa_reserve_vcc 1
		.amdhsa_float_round_mode_32 0
		.amdhsa_float_round_mode_16_64 0
		.amdhsa_float_denorm_mode_32 3
		.amdhsa_float_denorm_mode_16_64 3
		.amdhsa_fp16_overflow 0
		.amdhsa_memory_ordered 1
		.amdhsa_forward_progress 1
		.amdhsa_inst_pref_size 14
		.amdhsa_round_robin_scheduling 0
		.amdhsa_exception_fp_ieee_invalid_op 0
		.amdhsa_exception_fp_denorm_src 0
		.amdhsa_exception_fp_ieee_div_zero 0
		.amdhsa_exception_fp_ieee_overflow 0
		.amdhsa_exception_fp_ieee_underflow 0
		.amdhsa_exception_fp_ieee_inexact 0
		.amdhsa_exception_int_div_zero 0
	.end_amdhsa_kernel
	.section	.text._ZN12_GLOBAL__N_135rocblas_gemm_batched_general_kernelIdLi16ELi16ELi32ELi32ELi8ELi32ELi8ELi8ELi32ELc67ELc84EKPKdS3_KPdEEvlllT_PT11_llS8_llS6_PT12_llPT13_lli,"axG",@progbits,_ZN12_GLOBAL__N_135rocblas_gemm_batched_general_kernelIdLi16ELi16ELi32ELi32ELi8ELi32ELi8ELi8ELi32ELc67ELc84EKPKdS3_KPdEEvlllT_PT11_llS8_llS6_PT12_llPT13_lli,comdat
.Lfunc_end25:
	.size	_ZN12_GLOBAL__N_135rocblas_gemm_batched_general_kernelIdLi16ELi16ELi32ELi32ELi8ELi32ELi8ELi8ELi32ELc67ELc84EKPKdS3_KPdEEvlllT_PT11_llS8_llS6_PT12_llPT13_lli, .Lfunc_end25-_ZN12_GLOBAL__N_135rocblas_gemm_batched_general_kernelIdLi16ELi16ELi32ELi32ELi8ELi32ELi8ELi8ELi32ELc67ELc84EKPKdS3_KPdEEvlllT_PT11_llS8_llS6_PT12_llPT13_lli
                                        ; -- End function
	.set _ZN12_GLOBAL__N_135rocblas_gemm_batched_general_kernelIdLi16ELi16ELi32ELi32ELi8ELi32ELi8ELi8ELi32ELc67ELc84EKPKdS3_KPdEEvlllT_PT11_llS8_llS6_PT12_llPT13_lli.num_vgpr, 54
	.set _ZN12_GLOBAL__N_135rocblas_gemm_batched_general_kernelIdLi16ELi16ELi32ELi32ELi8ELi32ELi8ELi8ELi32ELc67ELc84EKPKdS3_KPdEEvlllT_PT11_llS8_llS6_PT12_llPT13_lli.num_agpr, 0
	.set _ZN12_GLOBAL__N_135rocblas_gemm_batched_general_kernelIdLi16ELi16ELi32ELi32ELi8ELi32ELi8ELi8ELi32ELc67ELc84EKPKdS3_KPdEEvlllT_PT11_llS8_llS6_PT12_llPT13_lli.numbered_sgpr, 52
	.set _ZN12_GLOBAL__N_135rocblas_gemm_batched_general_kernelIdLi16ELi16ELi32ELi32ELi8ELi32ELi8ELi8ELi32ELc67ELc84EKPKdS3_KPdEEvlllT_PT11_llS8_llS6_PT12_llPT13_lli.num_named_barrier, 0
	.set _ZN12_GLOBAL__N_135rocblas_gemm_batched_general_kernelIdLi16ELi16ELi32ELi32ELi8ELi32ELi8ELi8ELi32ELc67ELc84EKPKdS3_KPdEEvlllT_PT11_llS8_llS6_PT12_llPT13_lli.private_seg_size, 0
	.set _ZN12_GLOBAL__N_135rocblas_gemm_batched_general_kernelIdLi16ELi16ELi32ELi32ELi8ELi32ELi8ELi8ELi32ELc67ELc84EKPKdS3_KPdEEvlllT_PT11_llS8_llS6_PT12_llPT13_lli.uses_vcc, 1
	.set _ZN12_GLOBAL__N_135rocblas_gemm_batched_general_kernelIdLi16ELi16ELi32ELi32ELi8ELi32ELi8ELi8ELi32ELc67ELc84EKPKdS3_KPdEEvlllT_PT11_llS8_llS6_PT12_llPT13_lli.uses_flat_scratch, 0
	.set _ZN12_GLOBAL__N_135rocblas_gemm_batched_general_kernelIdLi16ELi16ELi32ELi32ELi8ELi32ELi8ELi8ELi32ELc67ELc84EKPKdS3_KPdEEvlllT_PT11_llS8_llS6_PT12_llPT13_lli.has_dyn_sized_stack, 0
	.set _ZN12_GLOBAL__N_135rocblas_gemm_batched_general_kernelIdLi16ELi16ELi32ELi32ELi8ELi32ELi8ELi8ELi32ELc67ELc84EKPKdS3_KPdEEvlllT_PT11_llS8_llS6_PT12_llPT13_lli.has_recursion, 0
	.set _ZN12_GLOBAL__N_135rocblas_gemm_batched_general_kernelIdLi16ELi16ELi32ELi32ELi8ELi32ELi8ELi8ELi32ELc67ELc84EKPKdS3_KPdEEvlllT_PT11_llS8_llS6_PT12_llPT13_lli.has_indirect_call, 0
	.section	.AMDGPU.csdata,"",@progbits
; Kernel info:
; codeLenInByte = 1772
; TotalNumSgprs: 54
; NumVgprs: 54
; ScratchSize: 0
; MemoryBound: 0
; FloatMode: 240
; IeeeMode: 1
; LDSByteSize: 4096 bytes/workgroup (compile time only)
; SGPRBlocks: 0
; VGPRBlocks: 3
; NumSGPRsForWavesPerEU: 54
; NumVGPRsForWavesPerEU: 54
; NamedBarCnt: 0
; Occupancy: 16
; WaveLimiterHint : 1
; COMPUTE_PGM_RSRC2:SCRATCH_EN: 0
; COMPUTE_PGM_RSRC2:USER_SGPR: 2
; COMPUTE_PGM_RSRC2:TRAP_HANDLER: 0
; COMPUTE_PGM_RSRC2:TGID_X_EN: 1
; COMPUTE_PGM_RSRC2:TGID_Y_EN: 1
; COMPUTE_PGM_RSRC2:TGID_Z_EN: 1
; COMPUTE_PGM_RSRC2:TIDIG_COMP_CNT: 1
	.section	.text._ZN12_GLOBAL__N_135rocblas_gemm_batched_general_kernelIdLi16ELi16ELi32ELi32ELi8ELi32ELi8ELi8ELi32ELc78ELc67EKPKdS3_KPdEEvlllT_PT11_llS8_llS6_PT12_llPT13_lli,"axG",@progbits,_ZN12_GLOBAL__N_135rocblas_gemm_batched_general_kernelIdLi16ELi16ELi32ELi32ELi8ELi32ELi8ELi8ELi32ELc78ELc67EKPKdS3_KPdEEvlllT_PT11_llS8_llS6_PT12_llPT13_lli,comdat
	.globl	_ZN12_GLOBAL__N_135rocblas_gemm_batched_general_kernelIdLi16ELi16ELi32ELi32ELi8ELi32ELi8ELi8ELi32ELc78ELc67EKPKdS3_KPdEEvlllT_PT11_llS8_llS6_PT12_llPT13_lli ; -- Begin function _ZN12_GLOBAL__N_135rocblas_gemm_batched_general_kernelIdLi16ELi16ELi32ELi32ELi8ELi32ELi8ELi8ELi32ELc78ELc67EKPKdS3_KPdEEvlllT_PT11_llS8_llS6_PT12_llPT13_lli
	.p2align	8
	.type	_ZN12_GLOBAL__N_135rocblas_gemm_batched_general_kernelIdLi16ELi16ELi32ELi32ELi8ELi32ELi8ELi8ELi32ELc78ELc67EKPKdS3_KPdEEvlllT_PT11_llS8_llS6_PT12_llPT13_lli,@function
_ZN12_GLOBAL__N_135rocblas_gemm_batched_general_kernelIdLi16ELi16ELi32ELi32ELi8ELi32ELi8ELi8ELi32ELc78ELc67EKPKdS3_KPdEEvlllT_PT11_llS8_llS6_PT12_llPT13_lli: ; @_ZN12_GLOBAL__N_135rocblas_gemm_batched_general_kernelIdLi16ELi16ELi32ELi32ELi8ELi32ELi8ELi8ELi32ELc78ELc67EKPKdS3_KPdEEvlllT_PT11_llS8_llS6_PT12_llPT13_lli
; %bb.0:
	s_load_b32 s30, s[0:1], 0x88
	s_bfe_u32 s2, ttmp6, 0x40014
	s_lshr_b32 s3, ttmp7, 16
	s_add_co_i32 s2, s2, 1
	s_bfe_u32 s5, ttmp6, 0x40008
	s_mul_i32 s4, s3, s2
	s_getreg_b32 s2, hwreg(HW_REG_IB_STS2, 6, 4)
	s_add_co_i32 s5, s5, s4
	s_cmp_eq_u32 s2, 0
	s_mov_b32 s21, 0
	s_cselect_b32 s20, s3, s5
	s_wait_kmcnt 0x0
	s_cmp_ge_i32 s20, s30
	s_cbranch_scc1 .LBB26_35
; %bb.1:
	s_clause 0x2
	s_load_b512 s[4:19], s[0:1], 0x0
	s_load_b512 s[36:51], s[0:1], 0x40
	s_load_b64 s[24:25], s[0:1], 0x80
	v_bfe_u32 v10, v0, 10, 10
	v_and_b32_e32 v12, 0x3ff, v0
	v_dual_mov_b32 v1, 0 :: v_dual_bitop2_b32 v2, 7, v0 bitop3:0x40
	s_wait_xcnt 0x0
	s_bfe_u32 s0, ttmp6, 0x4000c
	s_bfe_u32 s3, ttmp6, 0x40010
	v_lshl_add_u32 v19, v10, 4, v12
	s_add_co_i32 s0, s0, 1
	s_and_b32 s23, ttmp7, 0xffff
	s_add_co_i32 s3, s3, 1
	v_dual_mov_b32 v3, v1 :: v_dual_mov_b32 v5, v1
	v_dual_lshrrev_b32 v0, 5, v19 :: v_dual_lshrrev_b32 v4, 3, v19
	s_and_b32 s1, ttmp6, 15
	s_mul_i32 s0, ttmp9, s0
	s_mul_i32 s3, s23, s3
	s_bfe_u32 s22, ttmp6, 0x40004
	s_add_co_i32 s1, s1, s0
	s_add_co_i32 s0, s22, s3
	s_cmp_eq_u32 s2, 0
	v_dual_mov_b32 v11, v1 :: v_dual_bitop2_b32 v13, 31, v19 bitop3:0x40
	s_wait_kmcnt 0x0
	v_mul_u64_e32 v[14:15], s[36:37], v[2:3]
	v_lshlrev_b32_e32 v20, 3, v2
	v_mul_u64_e32 v[16:17], s[14:15], v[0:1]
	s_cselect_b32 s22, ttmp9, s1
	s_cselect_b32 s26, s23, s0
	s_ashr_i32 s23, s22, 31
	s_lshl_b32 s0, s26, 5
	s_mov_b32 s1, s21
	s_lshl_b64 s[2:3], s[22:23], 5
	v_add_nc_u64_e32 v[8:9], s[0:1], v[4:5]
	v_lshlrev_b32_e32 v18, 3, v13
	v_lshl_or_b32 v22, v4, 6, v20
	v_add_nc_u64_e32 v[20:21], s[0:1], v[10:11]
	v_dual_mov_b32 v7, s3 :: v_dual_bitop2_b32 v6, s2, v13 bitop3:0x54
	v_dual_mov_b32 v13, v1 :: v_dual_lshlrev_b32 v36, 3, v12
	v_cmp_gt_i64_e64 s1, s[6:7], v[8:9]
	v_cmp_eq_f64_e64 s31, s[40:41], 0
	s_delay_alu instid0(VALU_DEP_4)
	v_cmp_gt_i64_e64 s0, s[4:5], v[6:7]
	v_mul_u64_e32 v[6:7], s[50:51], v[20:21]
	v_mul_u64_e32 v[8:9], s[44:45], v[20:21]
	v_add_nc_u64_e32 v[4:5], s[2:3], v[12:13]
	v_lshl_add_u32 v37, v10, 6, 0x800
	v_add_nc_u64_e32 v[12:13], 16, v[20:21]
	v_cmp_gt_i64_e64 s2, s[6:7], v[20:21]
	s_lshl_b32 s26, s26, 8
	s_mov_b32 s27, s21
	s_lshl_b64 s[28:29], s[38:39], 3
	v_add_nc_u64_e32 v[10:11], 16, v[4:5]
	v_cmp_gt_i64_e64 s3, s[4:5], v[4:5]
	s_lshl_b64 s[16:17], s[16:17], 3
	s_add_nc_u64 s[26:27], s[28:29], s[26:27]
	v_cmp_gt_i64_e64 s33, s[8:9], 0
	v_lshl_or_b32 v34, v0, 8, v18
	v_add_nc_u32_e32 v35, 0x800, v22
	v_cmp_gt_i64_e64 s4, s[4:5], v[10:11]
	v_cmp_gt_i64_e64 s5, s[6:7], v[12:13]
	s_lshl_b64 s[6:7], s[22:23], 8
	v_lshl_add_u64 v[10:11], v[14:15], 3, s[26:27]
	s_add_nc_u64 s[6:7], s[16:17], s[6:7]
	v_and_b32_e32 v12, 0x1ff8, v19
	v_dual_mov_b32 v13, v1 :: v_dual_mov_b32 v19, v1
	v_lshl_add_u64 v[14:15], v[16:17], 3, s[6:7]
	s_lshl_b64 s[6:7], s[50:51], 4
	s_lshl_b64 s[16:17], s[44:45], 4
	s_delay_alu instid0(VALU_DEP_2)
	v_add_nc_u64_e32 v[10:11], v[10:11], v[12:13]
	s_lshl_b64 s[22:23], s[36:37], 6
	v_add_nc_u64_e32 v[12:13], v[14:15], v[18:19]
	s_lshl_b64 s[14:15], s[14:15], 6
	s_lshl_b64 s[24:25], s[24:25], 3
	s_lshl_b64 s[26:27], s[46:47], 3
	s_branch .LBB26_4
.LBB26_2:                               ;   in Loop: Header=BB26_4 Depth=1
	s_wait_xcnt 0x0
	s_or_b32 exec_lo, exec_lo, s28
.LBB26_3:                               ;   in Loop: Header=BB26_4 Depth=1
	s_add_co_i32 s20, s20, 0x10000
	s_delay_alu instid0(SALU_CYCLE_1)
	s_cmp_lt_i32 s20, s30
	s_cbranch_scc0 .LBB26_35
.LBB26_4:                               ; =>This Loop Header: Depth=1
                                        ;     Child Loop BB26_7 Depth 2
	v_mov_b32_e32 v14, s20
	s_and_not1_b32 vcc_lo, exec_lo, s33
	s_clause 0x1
	global_load_b64 v[20:21], v14, s[42:43] scale_offset
	global_load_b64 v[24:25], v14, s[48:49] scale_offset
	s_cbranch_vccnz .LBB26_11
; %bb.5:                                ;   in Loop: Header=BB26_4 Depth=1
	s_lshl_b64 s[28:29], s[20:21], 3
	s_wait_xcnt 0x0
	v_mov_b64_e32 v[14:15], 0
	s_add_nc_u64 s[34:35], s[18:19], s[28:29]
	s_add_nc_u64 s[28:29], s[12:13], s[28:29]
	s_clause 0x1
	global_load_b64 v[22:23], v1, s[34:35]
	global_load_b64 v[28:29], v1, s[28:29]
	v_mov_b64_e32 v[16:17], 0
	v_mov_b64_e32 v[18:19], 0
	s_wait_xcnt 0x0
	s_mov_b64 s[28:29], 0
	s_wait_loadcnt 0x1
	v_add_nc_u64_e32 v[26:27], v[22:23], v[10:11]
	s_wait_loadcnt 0x0
	v_add_nc_u64_e32 v[28:29], v[28:29], v[12:13]
	v_mov_b64_e32 v[22:23], 0
	s_branch .LBB26_7
.LBB26_6:                               ;   in Loop: Header=BB26_7 Depth=2
	s_wait_xcnt 0x0
	s_or_b32 exec_lo, exec_lo, s34
	s_wait_loadcnt_dscnt 0x0
	ds_store_b64 v35, v[32:33]
	s_wait_dscnt 0x0
	s_barrier_signal -1
	s_barrier_wait -1
	ds_load_b128 v[30:33], v37
	ds_load_2addr_b64 v[38:41], v36 offset1:16
	ds_load_b128 v[42:45], v37 offset:1024
	ds_load_b128 v[46:49], v37 offset:16
	;; [unrolled: 1-line block ×3, first 2 shown]
	s_add_nc_u64 s[28:29], s[28:29], 8
	v_add_nc_u64_e32 v[26:27], s[22:23], v[26:27]
	v_cmp_lt_i64_e64 s34, s[28:29], s[8:9]
	v_add_nc_u64_e32 v[28:29], s[14:15], v[28:29]
	s_and_b32 vcc_lo, exec_lo, s34
	s_wait_dscnt 0x3
	v_fmac_f64_e32 v[22:23], v[38:39], v[30:31]
	v_fmac_f64_e32 v[18:19], v[40:41], v[30:31]
	s_wait_dscnt 0x2
	v_fmac_f64_e32 v[16:17], v[38:39], v[42:43]
	v_fmac_f64_e32 v[14:15], v[40:41], v[42:43]
	ds_load_2addr_b64 v[38:41], v36 offset0:32 offset1:48
	s_wait_dscnt 0x0
	v_fmac_f64_e32 v[22:23], v[38:39], v[32:33]
	v_fmac_f64_e32 v[18:19], v[40:41], v[32:33]
	v_fmac_f64_e32 v[16:17], v[38:39], v[44:45]
	v_fmac_f64_e32 v[14:15], v[40:41], v[44:45]
	ds_load_2addr_b64 v[30:33], v36 offset0:64 offset1:80
	s_wait_dscnt 0x0
	v_fmac_f64_e32 v[22:23], v[30:31], v[46:47]
	v_fmac_f64_e32 v[18:19], v[32:33], v[46:47]
	;; [unrolled: 6-line block ×3, first 2 shown]
	v_fmac_f64_e32 v[16:17], v[30:31], v[52:53]
	v_fmac_f64_e32 v[14:15], v[32:33], v[52:53]
	ds_load_b128 v[30:33], v37 offset:32
	ds_load_2addr_b64 v[38:41], v36 offset0:128 offset1:144
	ds_load_b128 v[42:45], v37 offset:1056
	ds_load_b128 v[46:49], v37 offset:48
	;; [unrolled: 1-line block ×3, first 2 shown]
	s_wait_dscnt 0x3
	v_fmac_f64_e32 v[22:23], v[38:39], v[30:31]
	v_fmac_f64_e32 v[18:19], v[40:41], v[30:31]
	s_wait_dscnt 0x2
	v_fmac_f64_e32 v[16:17], v[38:39], v[42:43]
	v_fmac_f64_e32 v[14:15], v[40:41], v[42:43]
	ds_load_2addr_b64 v[38:41], v36 offset0:160 offset1:176
	s_wait_dscnt 0x0
	v_fmac_f64_e32 v[22:23], v[38:39], v[32:33]
	v_fmac_f64_e32 v[18:19], v[40:41], v[32:33]
	v_fmac_f64_e32 v[16:17], v[38:39], v[44:45]
	v_fmac_f64_e32 v[14:15], v[40:41], v[44:45]
	ds_load_2addr_b64 v[30:33], v36 offset0:192 offset1:208
	s_wait_dscnt 0x0
	v_fmac_f64_e32 v[22:23], v[30:31], v[46:47]
	v_fmac_f64_e32 v[18:19], v[32:33], v[46:47]
	;; [unrolled: 1-line block ×4, first 2 shown]
	ds_load_2addr_b64 v[30:33], v36 offset0:224 offset1:240
	s_wait_dscnt 0x0
	s_barrier_signal -1
	s_barrier_wait -1
	v_fmac_f64_e32 v[22:23], v[30:31], v[48:49]
	v_fmac_f64_e32 v[18:19], v[32:33], v[48:49]
	;; [unrolled: 1-line block ×4, first 2 shown]
	s_cbranch_vccz .LBB26_12
.LBB26_7:                               ;   Parent Loop BB26_4 Depth=1
                                        ; =>  This Inner Loop Header: Depth=2
	v_add_nc_u64_e32 v[30:31], s[28:29], v[0:1]
	s_delay_alu instid0(VALU_DEP_1) | instskip(SKIP_2) | instid1(SALU_CYCLE_1)
	v_cmp_gt_i64_e32 vcc_lo, s[8:9], v[30:31]
	v_mov_b64_e32 v[30:31], 0
	s_and_b32 s35, s0, vcc_lo
	s_and_saveexec_b32 s34, s35
	s_cbranch_execz .LBB26_9
; %bb.8:                                ;   in Loop: Header=BB26_7 Depth=2
	flat_load_b64 v[30:31], v[28:29]
.LBB26_9:                               ;   in Loop: Header=BB26_7 Depth=2
	s_wait_xcnt 0x0
	s_or_b32 exec_lo, exec_lo, s34
	v_add_nc_u64_e32 v[32:33], s[28:29], v[2:3]
	s_wait_loadcnt_dscnt 0x0
	ds_store_b64 v34, v[30:31]
	v_cmp_gt_i64_e32 vcc_lo, s[8:9], v[32:33]
	v_mov_b64_e32 v[32:33], 0
	s_and_b32 s35, vcc_lo, s1
	s_delay_alu instid0(SALU_CYCLE_1)
	s_and_saveexec_b32 s34, s35
	s_cbranch_execz .LBB26_6
; %bb.10:                               ;   in Loop: Header=BB26_7 Depth=2
	flat_load_b64 v[32:33], v[26:27]
	s_branch .LBB26_6
.LBB26_11:                              ;   in Loop: Header=BB26_4 Depth=1
	v_mov_b64_e32 v[22:23], 0
	v_mov_b64_e32 v[18:19], 0
	;; [unrolled: 1-line block ×3, first 2 shown]
	s_wait_xcnt 0x0
	v_mov_b64_e32 v[14:15], 0
.LBB26_12:                              ;   in Loop: Header=BB26_4 Depth=1
	s_wait_loadcnt 0x0
	v_add_nc_u64_e32 v[24:25], s[24:25], v[24:25]
	s_and_not1_b32 vcc_lo, exec_lo, s31
	s_cbranch_vccnz .LBB26_17
; %bb.13:                               ;   in Loop: Header=BB26_4 Depth=1
	s_and_saveexec_b32 s28, s2
	s_cbranch_execz .LBB26_24
; %bb.14:                               ;   in Loop: Header=BB26_4 Depth=1
	s_delay_alu instid0(VALU_DEP_1) | instskip(NEXT) | instid1(VALU_DEP_1)
	v_lshl_add_u64 v[26:27], v[6:7], 3, v[24:25]
	v_lshl_add_u64 v[28:29], v[4:5], 3, v[26:27]
	s_and_saveexec_b32 s29, s3
	s_cbranch_execnz .LBB26_18
; %bb.15:                               ;   in Loop: Header=BB26_4 Depth=1
	s_or_b32 exec_lo, exec_lo, s29
	s_and_saveexec_b32 s29, s4
	s_cbranch_execnz .LBB26_19
.LBB26_16:                              ;   in Loop: Header=BB26_4 Depth=1
	s_or_b32 exec_lo, exec_lo, s29
	s_delay_alu instid0(SALU_CYCLE_1)
	s_and_b32 exec_lo, exec_lo, s5
	s_cbranch_execnz .LBB26_20
	s_branch .LBB26_24
.LBB26_17:                              ;   in Loop: Header=BB26_4 Depth=1
	s_branch .LBB26_25
.LBB26_18:                              ;   in Loop: Header=BB26_4 Depth=1
	v_mul_f64_e32 v[30:31], s[10:11], v[22:23]
	flat_store_b64 v[28:29], v[30:31]
	s_wait_xcnt 0x0
	s_or_b32 exec_lo, exec_lo, s29
	s_and_saveexec_b32 s29, s4
	s_cbranch_execz .LBB26_16
.LBB26_19:                              ;   in Loop: Header=BB26_4 Depth=1
	v_mul_f64_e32 v[30:31], s[10:11], v[18:19]
	flat_store_b64 v[28:29], v[30:31] offset:128
	s_wait_xcnt 0x0
	s_or_b32 exec_lo, exec_lo, s29
	s_delay_alu instid0(SALU_CYCLE_1)
	s_and_b32 exec_lo, exec_lo, s5
	s_cbranch_execz .LBB26_24
.LBB26_20:                              ;   in Loop: Header=BB26_4 Depth=1
	v_lshl_add_u64 v[26:27], s[6:7], 3, v[26:27]
	s_delay_alu instid0(VALU_DEP_1)
	v_lshl_add_u64 v[26:27], v[4:5], 3, v[26:27]
	s_and_saveexec_b32 s29, s3
	s_cbranch_execz .LBB26_22
; %bb.21:                               ;   in Loop: Header=BB26_4 Depth=1
	v_mul_f64_e32 v[28:29], s[10:11], v[16:17]
	flat_store_b64 v[26:27], v[28:29]
.LBB26_22:                              ;   in Loop: Header=BB26_4 Depth=1
	s_wait_xcnt 0x0
	s_or_b32 exec_lo, exec_lo, s29
	s_delay_alu instid0(SALU_CYCLE_1)
	s_and_b32 exec_lo, exec_lo, s4
	s_cbranch_execz .LBB26_24
; %bb.23:                               ;   in Loop: Header=BB26_4 Depth=1
	v_mul_f64_e32 v[28:29], s[10:11], v[14:15]
	flat_store_b64 v[26:27], v[28:29] offset:128
.LBB26_24:                              ;   in Loop: Header=BB26_4 Depth=1
	s_wait_xcnt 0x0
	s_or_b32 exec_lo, exec_lo, s28
	s_cbranch_execnz .LBB26_3
.LBB26_25:                              ;   in Loop: Header=BB26_4 Depth=1
	s_and_saveexec_b32 s28, s2
	s_cbranch_execz .LBB26_2
; %bb.26:                               ;   in Loop: Header=BB26_4 Depth=1
	v_add_nc_u64_e32 v[26:27], s[26:27], v[20:21]
	v_lshlrev_b64_e32 v[20:21], 3, v[4:5]
	v_lshl_add_u64 v[24:25], v[6:7], 3, v[24:25]
	s_delay_alu instid0(VALU_DEP_3) | instskip(NEXT) | instid1(VALU_DEP_2)
	v_lshl_add_u64 v[26:27], v[8:9], 3, v[26:27]
	v_add_nc_u64_e32 v[28:29], v[24:25], v[20:21]
	s_delay_alu instid0(VALU_DEP_2)
	v_add_nc_u64_e32 v[30:31], v[26:27], v[20:21]
	s_and_saveexec_b32 s29, s3
	s_cbranch_execnz .LBB26_29
; %bb.27:                               ;   in Loop: Header=BB26_4 Depth=1
	s_or_b32 exec_lo, exec_lo, s29
	s_and_saveexec_b32 s29, s4
	s_cbranch_execnz .LBB26_30
.LBB26_28:                              ;   in Loop: Header=BB26_4 Depth=1
	s_or_b32 exec_lo, exec_lo, s29
	s_delay_alu instid0(SALU_CYCLE_1)
	s_and_b32 exec_lo, exec_lo, s5
	s_cbranch_execz .LBB26_2
	s_branch .LBB26_31
.LBB26_29:                              ;   in Loop: Header=BB26_4 Depth=1
	flat_load_b64 v[32:33], v[30:31]
	s_wait_loadcnt_dscnt 0x0
	v_mul_f64_e32 v[32:33], s[40:41], v[32:33]
	s_delay_alu instid0(VALU_DEP_1)
	v_fmac_f64_e32 v[32:33], s[10:11], v[22:23]
	flat_store_b64 v[28:29], v[32:33]
	s_wait_xcnt 0x0
	s_or_b32 exec_lo, exec_lo, s29
	s_and_saveexec_b32 s29, s4
	s_cbranch_execz .LBB26_28
.LBB26_30:                              ;   in Loop: Header=BB26_4 Depth=1
	flat_load_b64 v[22:23], v[30:31] offset:128
	s_wait_loadcnt_dscnt 0x0
	v_mul_f64_e32 v[22:23], s[40:41], v[22:23]
	s_delay_alu instid0(VALU_DEP_1) | instskip(SKIP_3) | instid1(SALU_CYCLE_1)
	v_fmac_f64_e32 v[22:23], s[10:11], v[18:19]
	flat_store_b64 v[28:29], v[22:23] offset:128
	s_wait_xcnt 0x0
	s_or_b32 exec_lo, exec_lo, s29
	s_and_b32 exec_lo, exec_lo, s5
	s_cbranch_execz .LBB26_2
.LBB26_31:                              ;   in Loop: Header=BB26_4 Depth=1
	v_lshl_add_u64 v[18:19], s[16:17], 3, v[26:27]
	v_lshl_add_u64 v[24:25], s[6:7], 3, v[24:25]
	s_delay_alu instid0(VALU_DEP_2) | instskip(NEXT) | instid1(VALU_DEP_2)
	v_add_nc_u64_e32 v[22:23], v[18:19], v[20:21]
	v_add_nc_u64_e32 v[18:19], v[24:25], v[20:21]
	s_and_saveexec_b32 s29, s3
	s_cbranch_execz .LBB26_33
; %bb.32:                               ;   in Loop: Header=BB26_4 Depth=1
	flat_load_b64 v[20:21], v[22:23]
	s_wait_loadcnt_dscnt 0x0
	v_mul_f64_e32 v[20:21], s[40:41], v[20:21]
	s_delay_alu instid0(VALU_DEP_1)
	v_fmac_f64_e32 v[20:21], s[10:11], v[16:17]
	flat_store_b64 v[18:19], v[20:21]
.LBB26_33:                              ;   in Loop: Header=BB26_4 Depth=1
	s_wait_xcnt 0x0
	s_or_b32 exec_lo, exec_lo, s29
	s_delay_alu instid0(SALU_CYCLE_1)
	s_and_b32 exec_lo, exec_lo, s4
	s_cbranch_execz .LBB26_2
; %bb.34:                               ;   in Loop: Header=BB26_4 Depth=1
	flat_load_b64 v[16:17], v[22:23] offset:128
	s_wait_loadcnt_dscnt 0x0
	v_mul_f64_e32 v[16:17], s[40:41], v[16:17]
	s_delay_alu instid0(VALU_DEP_1)
	v_fmac_f64_e32 v[16:17], s[10:11], v[14:15]
	flat_store_b64 v[18:19], v[16:17] offset:128
	s_branch .LBB26_2
.LBB26_35:
	s_endpgm
	.section	.rodata,"a",@progbits
	.p2align	6, 0x0
	.amdhsa_kernel _ZN12_GLOBAL__N_135rocblas_gemm_batched_general_kernelIdLi16ELi16ELi32ELi32ELi8ELi32ELi8ELi8ELi32ELc78ELc67EKPKdS3_KPdEEvlllT_PT11_llS8_llS6_PT12_llPT13_lli
		.amdhsa_group_segment_fixed_size 4096
		.amdhsa_private_segment_fixed_size 0
		.amdhsa_kernarg_size 140
		.amdhsa_user_sgpr_count 2
		.amdhsa_user_sgpr_dispatch_ptr 0
		.amdhsa_user_sgpr_queue_ptr 0
		.amdhsa_user_sgpr_kernarg_segment_ptr 1
		.amdhsa_user_sgpr_dispatch_id 0
		.amdhsa_user_sgpr_kernarg_preload_length 0
		.amdhsa_user_sgpr_kernarg_preload_offset 0
		.amdhsa_user_sgpr_private_segment_size 0
		.amdhsa_wavefront_size32 1
		.amdhsa_uses_dynamic_stack 0
		.amdhsa_enable_private_segment 0
		.amdhsa_system_sgpr_workgroup_id_x 1
		.amdhsa_system_sgpr_workgroup_id_y 1
		.amdhsa_system_sgpr_workgroup_id_z 1
		.amdhsa_system_sgpr_workgroup_info 0
		.amdhsa_system_vgpr_workitem_id 1
		.amdhsa_next_free_vgpr 54
		.amdhsa_next_free_sgpr 52
		.amdhsa_named_barrier_count 0
		.amdhsa_reserve_vcc 1
		.amdhsa_float_round_mode_32 0
		.amdhsa_float_round_mode_16_64 0
		.amdhsa_float_denorm_mode_32 3
		.amdhsa_float_denorm_mode_16_64 3
		.amdhsa_fp16_overflow 0
		.amdhsa_memory_ordered 1
		.amdhsa_forward_progress 1
		.amdhsa_inst_pref_size 14
		.amdhsa_round_robin_scheduling 0
		.amdhsa_exception_fp_ieee_invalid_op 0
		.amdhsa_exception_fp_denorm_src 0
		.amdhsa_exception_fp_ieee_div_zero 0
		.amdhsa_exception_fp_ieee_overflow 0
		.amdhsa_exception_fp_ieee_underflow 0
		.amdhsa_exception_fp_ieee_inexact 0
		.amdhsa_exception_int_div_zero 0
	.end_amdhsa_kernel
	.section	.text._ZN12_GLOBAL__N_135rocblas_gemm_batched_general_kernelIdLi16ELi16ELi32ELi32ELi8ELi32ELi8ELi8ELi32ELc78ELc67EKPKdS3_KPdEEvlllT_PT11_llS8_llS6_PT12_llPT13_lli,"axG",@progbits,_ZN12_GLOBAL__N_135rocblas_gemm_batched_general_kernelIdLi16ELi16ELi32ELi32ELi8ELi32ELi8ELi8ELi32ELc78ELc67EKPKdS3_KPdEEvlllT_PT11_llS8_llS6_PT12_llPT13_lli,comdat
.Lfunc_end26:
	.size	_ZN12_GLOBAL__N_135rocblas_gemm_batched_general_kernelIdLi16ELi16ELi32ELi32ELi8ELi32ELi8ELi8ELi32ELc78ELc67EKPKdS3_KPdEEvlllT_PT11_llS8_llS6_PT12_llPT13_lli, .Lfunc_end26-_ZN12_GLOBAL__N_135rocblas_gemm_batched_general_kernelIdLi16ELi16ELi32ELi32ELi8ELi32ELi8ELi8ELi32ELc78ELc67EKPKdS3_KPdEEvlllT_PT11_llS8_llS6_PT12_llPT13_lli
                                        ; -- End function
	.set _ZN12_GLOBAL__N_135rocblas_gemm_batched_general_kernelIdLi16ELi16ELi32ELi32ELi8ELi32ELi8ELi8ELi32ELc78ELc67EKPKdS3_KPdEEvlllT_PT11_llS8_llS6_PT12_llPT13_lli.num_vgpr, 54
	.set _ZN12_GLOBAL__N_135rocblas_gemm_batched_general_kernelIdLi16ELi16ELi32ELi32ELi8ELi32ELi8ELi8ELi32ELc78ELc67EKPKdS3_KPdEEvlllT_PT11_llS8_llS6_PT12_llPT13_lli.num_agpr, 0
	.set _ZN12_GLOBAL__N_135rocblas_gemm_batched_general_kernelIdLi16ELi16ELi32ELi32ELi8ELi32ELi8ELi8ELi32ELc78ELc67EKPKdS3_KPdEEvlllT_PT11_llS8_llS6_PT12_llPT13_lli.numbered_sgpr, 52
	.set _ZN12_GLOBAL__N_135rocblas_gemm_batched_general_kernelIdLi16ELi16ELi32ELi32ELi8ELi32ELi8ELi8ELi32ELc78ELc67EKPKdS3_KPdEEvlllT_PT11_llS8_llS6_PT12_llPT13_lli.num_named_barrier, 0
	.set _ZN12_GLOBAL__N_135rocblas_gemm_batched_general_kernelIdLi16ELi16ELi32ELi32ELi8ELi32ELi8ELi8ELi32ELc78ELc67EKPKdS3_KPdEEvlllT_PT11_llS8_llS6_PT12_llPT13_lli.private_seg_size, 0
	.set _ZN12_GLOBAL__N_135rocblas_gemm_batched_general_kernelIdLi16ELi16ELi32ELi32ELi8ELi32ELi8ELi8ELi32ELc78ELc67EKPKdS3_KPdEEvlllT_PT11_llS8_llS6_PT12_llPT13_lli.uses_vcc, 1
	.set _ZN12_GLOBAL__N_135rocblas_gemm_batched_general_kernelIdLi16ELi16ELi32ELi32ELi8ELi32ELi8ELi8ELi32ELc78ELc67EKPKdS3_KPdEEvlllT_PT11_llS8_llS6_PT12_llPT13_lli.uses_flat_scratch, 0
	.set _ZN12_GLOBAL__N_135rocblas_gemm_batched_general_kernelIdLi16ELi16ELi32ELi32ELi8ELi32ELi8ELi8ELi32ELc78ELc67EKPKdS3_KPdEEvlllT_PT11_llS8_llS6_PT12_llPT13_lli.has_dyn_sized_stack, 0
	.set _ZN12_GLOBAL__N_135rocblas_gemm_batched_general_kernelIdLi16ELi16ELi32ELi32ELi8ELi32ELi8ELi8ELi32ELc78ELc67EKPKdS3_KPdEEvlllT_PT11_llS8_llS6_PT12_llPT13_lli.has_recursion, 0
	.set _ZN12_GLOBAL__N_135rocblas_gemm_batched_general_kernelIdLi16ELi16ELi32ELi32ELi8ELi32ELi8ELi8ELi32ELc78ELc67EKPKdS3_KPdEEvlllT_PT11_llS8_llS6_PT12_llPT13_lli.has_indirect_call, 0
	.section	.AMDGPU.csdata,"",@progbits
; Kernel info:
; codeLenInByte = 1772
; TotalNumSgprs: 54
; NumVgprs: 54
; ScratchSize: 0
; MemoryBound: 0
; FloatMode: 240
; IeeeMode: 1
; LDSByteSize: 4096 bytes/workgroup (compile time only)
; SGPRBlocks: 0
; VGPRBlocks: 3
; NumSGPRsForWavesPerEU: 54
; NumVGPRsForWavesPerEU: 54
; NamedBarCnt: 0
; Occupancy: 16
; WaveLimiterHint : 1
; COMPUTE_PGM_RSRC2:SCRATCH_EN: 0
; COMPUTE_PGM_RSRC2:USER_SGPR: 2
; COMPUTE_PGM_RSRC2:TRAP_HANDLER: 0
; COMPUTE_PGM_RSRC2:TGID_X_EN: 1
; COMPUTE_PGM_RSRC2:TGID_Y_EN: 1
; COMPUTE_PGM_RSRC2:TGID_Z_EN: 1
; COMPUTE_PGM_RSRC2:TIDIG_COMP_CNT: 1
	.section	.text._ZN12_GLOBAL__N_135rocblas_gemm_batched_general_kernelIdLi16ELi16ELi32ELi32ELi8ELi32ELi8ELi8ELi32ELc84ELc67EKPKdS3_KPdEEvlllT_PT11_llS8_llS6_PT12_llPT13_lli,"axG",@progbits,_ZN12_GLOBAL__N_135rocblas_gemm_batched_general_kernelIdLi16ELi16ELi32ELi32ELi8ELi32ELi8ELi8ELi32ELc84ELc67EKPKdS3_KPdEEvlllT_PT11_llS8_llS6_PT12_llPT13_lli,comdat
	.globl	_ZN12_GLOBAL__N_135rocblas_gemm_batched_general_kernelIdLi16ELi16ELi32ELi32ELi8ELi32ELi8ELi8ELi32ELc84ELc67EKPKdS3_KPdEEvlllT_PT11_llS8_llS6_PT12_llPT13_lli ; -- Begin function _ZN12_GLOBAL__N_135rocblas_gemm_batched_general_kernelIdLi16ELi16ELi32ELi32ELi8ELi32ELi8ELi8ELi32ELc84ELc67EKPKdS3_KPdEEvlllT_PT11_llS8_llS6_PT12_llPT13_lli
	.p2align	8
	.type	_ZN12_GLOBAL__N_135rocblas_gemm_batched_general_kernelIdLi16ELi16ELi32ELi32ELi8ELi32ELi8ELi8ELi32ELc84ELc67EKPKdS3_KPdEEvlllT_PT11_llS8_llS6_PT12_llPT13_lli,@function
_ZN12_GLOBAL__N_135rocblas_gemm_batched_general_kernelIdLi16ELi16ELi32ELi32ELi8ELi32ELi8ELi8ELi32ELc84ELc67EKPKdS3_KPdEEvlllT_PT11_llS8_llS6_PT12_llPT13_lli: ; @_ZN12_GLOBAL__N_135rocblas_gemm_batched_general_kernelIdLi16ELi16ELi32ELi32ELi8ELi32ELi8ELi8ELi32ELc84ELc67EKPKdS3_KPdEEvlllT_PT11_llS8_llS6_PT12_llPT13_lli
; %bb.0:
	s_load_b32 s28, s[0:1], 0x88
	s_bfe_u32 s2, ttmp6, 0x40014
	s_lshr_b32 s3, ttmp7, 16
	s_add_co_i32 s2, s2, 1
	s_bfe_u32 s5, ttmp6, 0x40008
	s_mul_i32 s4, s3, s2
	s_getreg_b32 s2, hwreg(HW_REG_IB_STS2, 6, 4)
	s_add_co_i32 s5, s5, s4
	s_cmp_eq_u32 s2, 0
	s_mov_b32 s21, 0
	s_cselect_b32 s20, s3, s5
	s_wait_kmcnt 0x0
	s_cmp_ge_i32 s20, s28
	s_cbranch_scc1 .LBB27_35
; %bb.1:
	s_clause 0x2
	s_load_b512 s[4:19], s[0:1], 0x0
	s_load_b512 s[36:51], s[0:1], 0x40
	s_load_b64 s[22:23], s[0:1], 0x80
	v_bfe_u32 v10, v0, 10, 10
	v_and_b32_e32 v12, 0x3ff, v0
	s_wait_xcnt 0x0
	s_bfe_u32 s0, ttmp6, 0x4000c
	s_bfe_u32 s3, ttmp6, 0x40010
	s_add_co_i32 s0, s0, 1
	s_and_b32 s24, ttmp7, 0xffff
	s_add_co_i32 s3, s3, 1
	s_and_b32 s1, ttmp6, 15
	s_mul_i32 s0, ttmp9, s0
	s_mul_i32 s3, s24, s3
	s_bfe_u32 s25, ttmp6, 0x40004
	v_lshl_add_u32 v22, v10, 4, v12
	s_add_co_i32 s1, s1, s0
	s_add_co_i32 s25, s25, s3
	s_cmp_eq_u32 s2, 0
	s_delay_alu instid0(VALU_DEP_1) | instskip(SKIP_3) | instid1(VALU_DEP_1)
	v_dual_mov_b32 v1, 0 :: v_dual_bitop2_b32 v8, 31, v22 bitop3:0x40
	s_cselect_b32 s0, ttmp9, s1
	s_cselect_b32 s24, s24, s25
	s_ashr_i32 s1, s0, 31
	v_dual_mov_b32 v3, v1 :: v_dual_bitop2_b32 v2, 7, v0 bitop3:0x40
	s_lshl_b64 s[2:3], s[0:1], 5
	s_delay_alu instid0(SALU_CYCLE_1)
	v_dual_mov_b32 v11, v1 :: v_dual_bitop2_b32 v4, s2, v8 bitop3:0x54
	v_dual_mov_b32 v5, s3 :: v_dual_mov_b32 v13, v1
	s_wait_kmcnt 0x0
	v_mul_u64_e32 v[14:15], s[36:37], v[2:3]
	s_lshl_b32 s0, s24, 5
	s_mov_b32 s1, s21
	v_mul_u64_e32 v[16:17], s[14:15], v[4:5]
	v_add_nc_u64_e32 v[18:19], s[0:1], v[10:11]
	v_dual_lshrrev_b32 v0, 5, v22 :: v_dual_lshrrev_b32 v6, 3, v22
	v_dual_mov_b32 v7, v1 :: v_dual_lshlrev_b32 v8, 3, v8
	v_dual_lshlrev_b32 v9, 3, v2 :: v_dual_lshlrev_b32 v36, 3, v12
	v_cmp_eq_f64_e64 s29, s[40:41], 0
	s_delay_alu instid0(VALU_DEP_3) | instskip(NEXT) | instid1(VALU_DEP_4)
	v_add_nc_u64_e32 v[20:21], s[0:1], v[6:7]
	v_lshl_or_b32 v34, v0, 8, v8
	s_delay_alu instid0(VALU_DEP_4)
	v_lshl_or_b32 v11, v6, 6, v9
	v_mul_u64_e32 v[6:7], s[50:51], v[18:19]
	v_mul_u64_e32 v[8:9], s[44:45], v[18:19]
	v_cmp_gt_i64_e64 s0, s[4:5], v[4:5]
	v_add_nc_u64_e32 v[4:5], s[2:3], v[12:13]
	s_lshl_b32 s14, s24, 8
	s_mov_b32 s15, s21
	s_lshl_b64 s[24:25], s[38:39], 3
	v_add_nc_u32_e32 v35, 0x800, v11
	s_add_nc_u64 s[14:15], s[24:25], s[14:15]
	v_lshl_add_u32 v37, v10, 6, 0x800
	v_add_nc_u64_e32 v[12:13], 16, v[4:5]
	v_cmp_gt_i64_e64 s3, s[4:5], v[4:5]
	v_add_nc_u64_e32 v[10:11], 16, v[18:19]
	v_cmp_gt_i64_e64 s2, s[6:7], v[18:19]
	v_dual_mov_b32 v19, v1 :: v_dual_lshlrev_b32 v18, 3, v0
	v_cmp_gt_i64_e64 s1, s[6:7], v[20:21]
	v_cmp_gt_i64_e64 s4, s[4:5], v[12:13]
	v_lshl_add_u64 v[12:13], v[14:15], 3, s[14:15]
	s_lshl_b64 s[14:15], s[16:17], 3
	v_and_b32_e32 v14, 0x1ff8, v22
	v_mov_b32_e32 v15, v1
	v_lshl_add_u64 v[16:17], v[16:17], 3, s[14:15]
	v_cmp_gt_i64_e64 s5, s[6:7], v[10:11]
	v_cmp_gt_i64_e64 s30, s[8:9], 0
	s_lshl_b64 s[6:7], s[50:51], 4
	v_add_nc_u64_e32 v[10:11], v[12:13], v[14:15]
	v_add_nc_u64_e32 v[12:13], v[16:17], v[18:19]
	s_lshl_b64 s[14:15], s[44:45], 4
	s_lshl_b64 s[16:17], s[36:37], 6
	;; [unrolled: 1-line block ×4, first 2 shown]
	s_branch .LBB27_4
.LBB27_2:                               ;   in Loop: Header=BB27_4 Depth=1
	s_wait_xcnt 0x0
	s_or_b32 exec_lo, exec_lo, s26
.LBB27_3:                               ;   in Loop: Header=BB27_4 Depth=1
	s_add_co_i32 s20, s20, 0x10000
	s_delay_alu instid0(SALU_CYCLE_1)
	s_cmp_lt_i32 s20, s28
	s_cbranch_scc0 .LBB27_35
.LBB27_4:                               ; =>This Loop Header: Depth=1
                                        ;     Child Loop BB27_7 Depth 2
	v_mov_b32_e32 v14, s20
	s_and_not1_b32 vcc_lo, exec_lo, s30
	s_clause 0x1
	global_load_b64 v[20:21], v14, s[42:43] scale_offset
	global_load_b64 v[24:25], v14, s[48:49] scale_offset
	s_cbranch_vccnz .LBB27_11
; %bb.5:                                ;   in Loop: Header=BB27_4 Depth=1
	s_lshl_b64 s[26:27], s[20:21], 3
	s_wait_xcnt 0x0
	v_mov_b64_e32 v[14:15], 0
	s_add_nc_u64 s[34:35], s[18:19], s[26:27]
	s_add_nc_u64 s[26:27], s[12:13], s[26:27]
	s_clause 0x1
	global_load_b64 v[22:23], v1, s[34:35]
	global_load_b64 v[28:29], v1, s[26:27]
	v_mov_b64_e32 v[16:17], 0
	v_mov_b64_e32 v[18:19], 0
	s_wait_xcnt 0x0
	s_mov_b64 s[26:27], 0
	s_wait_loadcnt 0x1
	v_add_nc_u64_e32 v[26:27], v[22:23], v[10:11]
	s_wait_loadcnt 0x0
	v_add_nc_u64_e32 v[28:29], v[28:29], v[12:13]
	v_mov_b64_e32 v[22:23], 0
	s_branch .LBB27_7
.LBB27_6:                               ;   in Loop: Header=BB27_7 Depth=2
	s_wait_xcnt 0x0
	s_or_b32 exec_lo, exec_lo, s31
	s_wait_loadcnt_dscnt 0x0
	ds_store_b64 v35, v[32:33]
	s_wait_dscnt 0x0
	s_barrier_signal -1
	s_barrier_wait -1
	ds_load_b128 v[30:33], v37
	ds_load_2addr_b64 v[38:41], v36 offset1:16
	ds_load_b128 v[42:45], v37 offset:1024
	ds_load_b128 v[46:49], v37 offset:16
	ds_load_b128 v[50:53], v37 offset:1040
	s_add_nc_u64 s[26:27], s[26:27], 8
	v_add_nc_u64_e32 v[26:27], s[16:17], v[26:27]
	v_cmp_lt_i64_e64 s31, s[26:27], s[8:9]
	v_add_nc_u64_e32 v[28:29], 64, v[28:29]
	s_and_b32 vcc_lo, exec_lo, s31
	s_wait_dscnt 0x3
	v_fmac_f64_e32 v[22:23], v[38:39], v[30:31]
	v_fmac_f64_e32 v[18:19], v[40:41], v[30:31]
	s_wait_dscnt 0x2
	v_fmac_f64_e32 v[16:17], v[38:39], v[42:43]
	v_fmac_f64_e32 v[14:15], v[40:41], v[42:43]
	ds_load_2addr_b64 v[38:41], v36 offset0:32 offset1:48
	s_wait_dscnt 0x0
	v_fmac_f64_e32 v[22:23], v[38:39], v[32:33]
	v_fmac_f64_e32 v[18:19], v[40:41], v[32:33]
	v_fmac_f64_e32 v[16:17], v[38:39], v[44:45]
	v_fmac_f64_e32 v[14:15], v[40:41], v[44:45]
	ds_load_2addr_b64 v[30:33], v36 offset0:64 offset1:80
	s_wait_dscnt 0x0
	v_fmac_f64_e32 v[22:23], v[30:31], v[46:47]
	v_fmac_f64_e32 v[18:19], v[32:33], v[46:47]
	;; [unrolled: 6-line block ×3, first 2 shown]
	v_fmac_f64_e32 v[16:17], v[30:31], v[52:53]
	v_fmac_f64_e32 v[14:15], v[32:33], v[52:53]
	ds_load_b128 v[30:33], v37 offset:32
	ds_load_2addr_b64 v[38:41], v36 offset0:128 offset1:144
	ds_load_b128 v[42:45], v37 offset:1056
	ds_load_b128 v[46:49], v37 offset:48
	;; [unrolled: 1-line block ×3, first 2 shown]
	s_wait_dscnt 0x3
	v_fmac_f64_e32 v[22:23], v[38:39], v[30:31]
	v_fmac_f64_e32 v[18:19], v[40:41], v[30:31]
	s_wait_dscnt 0x2
	v_fmac_f64_e32 v[16:17], v[38:39], v[42:43]
	v_fmac_f64_e32 v[14:15], v[40:41], v[42:43]
	ds_load_2addr_b64 v[38:41], v36 offset0:160 offset1:176
	s_wait_dscnt 0x0
	v_fmac_f64_e32 v[22:23], v[38:39], v[32:33]
	v_fmac_f64_e32 v[18:19], v[40:41], v[32:33]
	;; [unrolled: 1-line block ×4, first 2 shown]
	ds_load_2addr_b64 v[30:33], v36 offset0:192 offset1:208
	s_wait_dscnt 0x0
	v_fmac_f64_e32 v[22:23], v[30:31], v[46:47]
	v_fmac_f64_e32 v[18:19], v[32:33], v[46:47]
	;; [unrolled: 1-line block ×4, first 2 shown]
	ds_load_2addr_b64 v[30:33], v36 offset0:224 offset1:240
	s_wait_dscnt 0x0
	s_barrier_signal -1
	s_barrier_wait -1
	v_fmac_f64_e32 v[22:23], v[30:31], v[48:49]
	v_fmac_f64_e32 v[18:19], v[32:33], v[48:49]
	;; [unrolled: 1-line block ×4, first 2 shown]
	s_cbranch_vccz .LBB27_12
.LBB27_7:                               ;   Parent Loop BB27_4 Depth=1
                                        ; =>  This Inner Loop Header: Depth=2
	v_add_nc_u64_e32 v[30:31], s[26:27], v[0:1]
	s_delay_alu instid0(VALU_DEP_1) | instskip(SKIP_2) | instid1(SALU_CYCLE_1)
	v_cmp_gt_i64_e32 vcc_lo, s[8:9], v[30:31]
	v_mov_b64_e32 v[30:31], 0
	s_and_b32 s33, s0, vcc_lo
	s_and_saveexec_b32 s31, s33
	s_cbranch_execz .LBB27_9
; %bb.8:                                ;   in Loop: Header=BB27_7 Depth=2
	flat_load_b64 v[30:31], v[28:29]
.LBB27_9:                               ;   in Loop: Header=BB27_7 Depth=2
	s_wait_xcnt 0x0
	s_or_b32 exec_lo, exec_lo, s31
	v_add_nc_u64_e32 v[32:33], s[26:27], v[2:3]
	s_wait_loadcnt_dscnt 0x0
	ds_store_b64 v34, v[30:31]
	v_cmp_gt_i64_e32 vcc_lo, s[8:9], v[32:33]
	v_mov_b64_e32 v[32:33], 0
	s_and_b32 s33, vcc_lo, s1
	s_delay_alu instid0(SALU_CYCLE_1)
	s_and_saveexec_b32 s31, s33
	s_cbranch_execz .LBB27_6
; %bb.10:                               ;   in Loop: Header=BB27_7 Depth=2
	flat_load_b64 v[32:33], v[26:27]
	s_branch .LBB27_6
.LBB27_11:                              ;   in Loop: Header=BB27_4 Depth=1
	v_mov_b64_e32 v[22:23], 0
	v_mov_b64_e32 v[18:19], 0
	;; [unrolled: 1-line block ×3, first 2 shown]
	s_wait_xcnt 0x0
	v_mov_b64_e32 v[14:15], 0
.LBB27_12:                              ;   in Loop: Header=BB27_4 Depth=1
	s_wait_loadcnt 0x0
	v_add_nc_u64_e32 v[24:25], s[22:23], v[24:25]
	s_and_not1_b32 vcc_lo, exec_lo, s29
	s_cbranch_vccnz .LBB27_17
; %bb.13:                               ;   in Loop: Header=BB27_4 Depth=1
	s_and_saveexec_b32 s26, s2
	s_cbranch_execz .LBB27_24
; %bb.14:                               ;   in Loop: Header=BB27_4 Depth=1
	s_delay_alu instid0(VALU_DEP_1) | instskip(NEXT) | instid1(VALU_DEP_1)
	v_lshl_add_u64 v[26:27], v[6:7], 3, v[24:25]
	v_lshl_add_u64 v[28:29], v[4:5], 3, v[26:27]
	s_and_saveexec_b32 s27, s3
	s_cbranch_execnz .LBB27_18
; %bb.15:                               ;   in Loop: Header=BB27_4 Depth=1
	s_or_b32 exec_lo, exec_lo, s27
	s_and_saveexec_b32 s27, s4
	s_cbranch_execnz .LBB27_19
.LBB27_16:                              ;   in Loop: Header=BB27_4 Depth=1
	s_or_b32 exec_lo, exec_lo, s27
	s_delay_alu instid0(SALU_CYCLE_1)
	s_and_b32 exec_lo, exec_lo, s5
	s_cbranch_execnz .LBB27_20
	s_branch .LBB27_24
.LBB27_17:                              ;   in Loop: Header=BB27_4 Depth=1
	s_branch .LBB27_25
.LBB27_18:                              ;   in Loop: Header=BB27_4 Depth=1
	v_mul_f64_e32 v[30:31], s[10:11], v[22:23]
	flat_store_b64 v[28:29], v[30:31]
	s_wait_xcnt 0x0
	s_or_b32 exec_lo, exec_lo, s27
	s_and_saveexec_b32 s27, s4
	s_cbranch_execz .LBB27_16
.LBB27_19:                              ;   in Loop: Header=BB27_4 Depth=1
	v_mul_f64_e32 v[30:31], s[10:11], v[18:19]
	flat_store_b64 v[28:29], v[30:31] offset:128
	s_wait_xcnt 0x0
	s_or_b32 exec_lo, exec_lo, s27
	s_delay_alu instid0(SALU_CYCLE_1)
	s_and_b32 exec_lo, exec_lo, s5
	s_cbranch_execz .LBB27_24
.LBB27_20:                              ;   in Loop: Header=BB27_4 Depth=1
	v_lshl_add_u64 v[26:27], s[6:7], 3, v[26:27]
	s_delay_alu instid0(VALU_DEP_1)
	v_lshl_add_u64 v[26:27], v[4:5], 3, v[26:27]
	s_and_saveexec_b32 s27, s3
	s_cbranch_execz .LBB27_22
; %bb.21:                               ;   in Loop: Header=BB27_4 Depth=1
	v_mul_f64_e32 v[28:29], s[10:11], v[16:17]
	flat_store_b64 v[26:27], v[28:29]
.LBB27_22:                              ;   in Loop: Header=BB27_4 Depth=1
	s_wait_xcnt 0x0
	s_or_b32 exec_lo, exec_lo, s27
	s_delay_alu instid0(SALU_CYCLE_1)
	s_and_b32 exec_lo, exec_lo, s4
	s_cbranch_execz .LBB27_24
; %bb.23:                               ;   in Loop: Header=BB27_4 Depth=1
	v_mul_f64_e32 v[28:29], s[10:11], v[14:15]
	flat_store_b64 v[26:27], v[28:29] offset:128
.LBB27_24:                              ;   in Loop: Header=BB27_4 Depth=1
	s_wait_xcnt 0x0
	s_or_b32 exec_lo, exec_lo, s26
	s_cbranch_execnz .LBB27_3
.LBB27_25:                              ;   in Loop: Header=BB27_4 Depth=1
	s_and_saveexec_b32 s26, s2
	s_cbranch_execz .LBB27_2
; %bb.26:                               ;   in Loop: Header=BB27_4 Depth=1
	v_add_nc_u64_e32 v[26:27], s[24:25], v[20:21]
	v_lshlrev_b64_e32 v[20:21], 3, v[4:5]
	v_lshl_add_u64 v[24:25], v[6:7], 3, v[24:25]
	s_delay_alu instid0(VALU_DEP_3) | instskip(NEXT) | instid1(VALU_DEP_2)
	v_lshl_add_u64 v[26:27], v[8:9], 3, v[26:27]
	v_add_nc_u64_e32 v[28:29], v[24:25], v[20:21]
	s_delay_alu instid0(VALU_DEP_2)
	v_add_nc_u64_e32 v[30:31], v[26:27], v[20:21]
	s_and_saveexec_b32 s27, s3
	s_cbranch_execnz .LBB27_29
; %bb.27:                               ;   in Loop: Header=BB27_4 Depth=1
	s_or_b32 exec_lo, exec_lo, s27
	s_and_saveexec_b32 s27, s4
	s_cbranch_execnz .LBB27_30
.LBB27_28:                              ;   in Loop: Header=BB27_4 Depth=1
	s_or_b32 exec_lo, exec_lo, s27
	s_delay_alu instid0(SALU_CYCLE_1)
	s_and_b32 exec_lo, exec_lo, s5
	s_cbranch_execz .LBB27_2
	s_branch .LBB27_31
.LBB27_29:                              ;   in Loop: Header=BB27_4 Depth=1
	flat_load_b64 v[32:33], v[30:31]
	s_wait_loadcnt_dscnt 0x0
	v_mul_f64_e32 v[32:33], s[40:41], v[32:33]
	s_delay_alu instid0(VALU_DEP_1)
	v_fmac_f64_e32 v[32:33], s[10:11], v[22:23]
	flat_store_b64 v[28:29], v[32:33]
	s_wait_xcnt 0x0
	s_or_b32 exec_lo, exec_lo, s27
	s_and_saveexec_b32 s27, s4
	s_cbranch_execz .LBB27_28
.LBB27_30:                              ;   in Loop: Header=BB27_4 Depth=1
	flat_load_b64 v[22:23], v[30:31] offset:128
	s_wait_loadcnt_dscnt 0x0
	v_mul_f64_e32 v[22:23], s[40:41], v[22:23]
	s_delay_alu instid0(VALU_DEP_1) | instskip(SKIP_3) | instid1(SALU_CYCLE_1)
	v_fmac_f64_e32 v[22:23], s[10:11], v[18:19]
	flat_store_b64 v[28:29], v[22:23] offset:128
	s_wait_xcnt 0x0
	s_or_b32 exec_lo, exec_lo, s27
	s_and_b32 exec_lo, exec_lo, s5
	s_cbranch_execz .LBB27_2
.LBB27_31:                              ;   in Loop: Header=BB27_4 Depth=1
	v_lshl_add_u64 v[18:19], s[14:15], 3, v[26:27]
	v_lshl_add_u64 v[24:25], s[6:7], 3, v[24:25]
	s_delay_alu instid0(VALU_DEP_2) | instskip(NEXT) | instid1(VALU_DEP_2)
	v_add_nc_u64_e32 v[22:23], v[18:19], v[20:21]
	v_add_nc_u64_e32 v[18:19], v[24:25], v[20:21]
	s_and_saveexec_b32 s27, s3
	s_cbranch_execz .LBB27_33
; %bb.32:                               ;   in Loop: Header=BB27_4 Depth=1
	flat_load_b64 v[20:21], v[22:23]
	s_wait_loadcnt_dscnt 0x0
	v_mul_f64_e32 v[20:21], s[40:41], v[20:21]
	s_delay_alu instid0(VALU_DEP_1)
	v_fmac_f64_e32 v[20:21], s[10:11], v[16:17]
	flat_store_b64 v[18:19], v[20:21]
.LBB27_33:                              ;   in Loop: Header=BB27_4 Depth=1
	s_wait_xcnt 0x0
	s_or_b32 exec_lo, exec_lo, s27
	s_delay_alu instid0(SALU_CYCLE_1)
	s_and_b32 exec_lo, exec_lo, s4
	s_cbranch_execz .LBB27_2
; %bb.34:                               ;   in Loop: Header=BB27_4 Depth=1
	flat_load_b64 v[16:17], v[22:23] offset:128
	s_wait_loadcnt_dscnt 0x0
	v_mul_f64_e32 v[16:17], s[40:41], v[16:17]
	s_delay_alu instid0(VALU_DEP_1)
	v_fmac_f64_e32 v[16:17], s[10:11], v[14:15]
	flat_store_b64 v[18:19], v[16:17] offset:128
	s_branch .LBB27_2
.LBB27_35:
	s_endpgm
	.section	.rodata,"a",@progbits
	.p2align	6, 0x0
	.amdhsa_kernel _ZN12_GLOBAL__N_135rocblas_gemm_batched_general_kernelIdLi16ELi16ELi32ELi32ELi8ELi32ELi8ELi8ELi32ELc84ELc67EKPKdS3_KPdEEvlllT_PT11_llS8_llS6_PT12_llPT13_lli
		.amdhsa_group_segment_fixed_size 4096
		.amdhsa_private_segment_fixed_size 0
		.amdhsa_kernarg_size 140
		.amdhsa_user_sgpr_count 2
		.amdhsa_user_sgpr_dispatch_ptr 0
		.amdhsa_user_sgpr_queue_ptr 0
		.amdhsa_user_sgpr_kernarg_segment_ptr 1
		.amdhsa_user_sgpr_dispatch_id 0
		.amdhsa_user_sgpr_kernarg_preload_length 0
		.amdhsa_user_sgpr_kernarg_preload_offset 0
		.amdhsa_user_sgpr_private_segment_size 0
		.amdhsa_wavefront_size32 1
		.amdhsa_uses_dynamic_stack 0
		.amdhsa_enable_private_segment 0
		.amdhsa_system_sgpr_workgroup_id_x 1
		.amdhsa_system_sgpr_workgroup_id_y 1
		.amdhsa_system_sgpr_workgroup_id_z 1
		.amdhsa_system_sgpr_workgroup_info 0
		.amdhsa_system_vgpr_workitem_id 1
		.amdhsa_next_free_vgpr 54
		.amdhsa_next_free_sgpr 52
		.amdhsa_named_barrier_count 0
		.amdhsa_reserve_vcc 1
		.amdhsa_float_round_mode_32 0
		.amdhsa_float_round_mode_16_64 0
		.amdhsa_float_denorm_mode_32 3
		.amdhsa_float_denorm_mode_16_64 3
		.amdhsa_fp16_overflow 0
		.amdhsa_memory_ordered 1
		.amdhsa_forward_progress 1
		.amdhsa_inst_pref_size 14
		.amdhsa_round_robin_scheduling 0
		.amdhsa_exception_fp_ieee_invalid_op 0
		.amdhsa_exception_fp_denorm_src 0
		.amdhsa_exception_fp_ieee_div_zero 0
		.amdhsa_exception_fp_ieee_overflow 0
		.amdhsa_exception_fp_ieee_underflow 0
		.amdhsa_exception_fp_ieee_inexact 0
		.amdhsa_exception_int_div_zero 0
	.end_amdhsa_kernel
	.section	.text._ZN12_GLOBAL__N_135rocblas_gemm_batched_general_kernelIdLi16ELi16ELi32ELi32ELi8ELi32ELi8ELi8ELi32ELc84ELc67EKPKdS3_KPdEEvlllT_PT11_llS8_llS6_PT12_llPT13_lli,"axG",@progbits,_ZN12_GLOBAL__N_135rocblas_gemm_batched_general_kernelIdLi16ELi16ELi32ELi32ELi8ELi32ELi8ELi8ELi32ELc84ELc67EKPKdS3_KPdEEvlllT_PT11_llS8_llS6_PT12_llPT13_lli,comdat
.Lfunc_end27:
	.size	_ZN12_GLOBAL__N_135rocblas_gemm_batched_general_kernelIdLi16ELi16ELi32ELi32ELi8ELi32ELi8ELi8ELi32ELc84ELc67EKPKdS3_KPdEEvlllT_PT11_llS8_llS6_PT12_llPT13_lli, .Lfunc_end27-_ZN12_GLOBAL__N_135rocblas_gemm_batched_general_kernelIdLi16ELi16ELi32ELi32ELi8ELi32ELi8ELi8ELi32ELc84ELc67EKPKdS3_KPdEEvlllT_PT11_llS8_llS6_PT12_llPT13_lli
                                        ; -- End function
	.set _ZN12_GLOBAL__N_135rocblas_gemm_batched_general_kernelIdLi16ELi16ELi32ELi32ELi8ELi32ELi8ELi8ELi32ELc84ELc67EKPKdS3_KPdEEvlllT_PT11_llS8_llS6_PT12_llPT13_lli.num_vgpr, 54
	.set _ZN12_GLOBAL__N_135rocblas_gemm_batched_general_kernelIdLi16ELi16ELi32ELi32ELi8ELi32ELi8ELi8ELi32ELc84ELc67EKPKdS3_KPdEEvlllT_PT11_llS8_llS6_PT12_llPT13_lli.num_agpr, 0
	.set _ZN12_GLOBAL__N_135rocblas_gemm_batched_general_kernelIdLi16ELi16ELi32ELi32ELi8ELi32ELi8ELi8ELi32ELc84ELc67EKPKdS3_KPdEEvlllT_PT11_llS8_llS6_PT12_llPT13_lli.numbered_sgpr, 52
	.set _ZN12_GLOBAL__N_135rocblas_gemm_batched_general_kernelIdLi16ELi16ELi32ELi32ELi8ELi32ELi8ELi8ELi32ELc84ELc67EKPKdS3_KPdEEvlllT_PT11_llS8_llS6_PT12_llPT13_lli.num_named_barrier, 0
	.set _ZN12_GLOBAL__N_135rocblas_gemm_batched_general_kernelIdLi16ELi16ELi32ELi32ELi8ELi32ELi8ELi8ELi32ELc84ELc67EKPKdS3_KPdEEvlllT_PT11_llS8_llS6_PT12_llPT13_lli.private_seg_size, 0
	.set _ZN12_GLOBAL__N_135rocblas_gemm_batched_general_kernelIdLi16ELi16ELi32ELi32ELi8ELi32ELi8ELi8ELi32ELc84ELc67EKPKdS3_KPdEEvlllT_PT11_llS8_llS6_PT12_llPT13_lli.uses_vcc, 1
	.set _ZN12_GLOBAL__N_135rocblas_gemm_batched_general_kernelIdLi16ELi16ELi32ELi32ELi8ELi32ELi8ELi8ELi32ELc84ELc67EKPKdS3_KPdEEvlllT_PT11_llS8_llS6_PT12_llPT13_lli.uses_flat_scratch, 0
	.set _ZN12_GLOBAL__N_135rocblas_gemm_batched_general_kernelIdLi16ELi16ELi32ELi32ELi8ELi32ELi8ELi8ELi32ELc84ELc67EKPKdS3_KPdEEvlllT_PT11_llS8_llS6_PT12_llPT13_lli.has_dyn_sized_stack, 0
	.set _ZN12_GLOBAL__N_135rocblas_gemm_batched_general_kernelIdLi16ELi16ELi32ELi32ELi8ELi32ELi8ELi8ELi32ELc84ELc67EKPKdS3_KPdEEvlllT_PT11_llS8_llS6_PT12_llPT13_lli.has_recursion, 0
	.set _ZN12_GLOBAL__N_135rocblas_gemm_batched_general_kernelIdLi16ELi16ELi32ELi32ELi8ELi32ELi8ELi8ELi32ELc84ELc67EKPKdS3_KPdEEvlllT_PT11_llS8_llS6_PT12_llPT13_lli.has_indirect_call, 0
	.section	.AMDGPU.csdata,"",@progbits
; Kernel info:
; codeLenInByte = 1772
; TotalNumSgprs: 54
; NumVgprs: 54
; ScratchSize: 0
; MemoryBound: 0
; FloatMode: 240
; IeeeMode: 1
; LDSByteSize: 4096 bytes/workgroup (compile time only)
; SGPRBlocks: 0
; VGPRBlocks: 3
; NumSGPRsForWavesPerEU: 54
; NumVGPRsForWavesPerEU: 54
; NamedBarCnt: 0
; Occupancy: 16
; WaveLimiterHint : 1
; COMPUTE_PGM_RSRC2:SCRATCH_EN: 0
; COMPUTE_PGM_RSRC2:USER_SGPR: 2
; COMPUTE_PGM_RSRC2:TRAP_HANDLER: 0
; COMPUTE_PGM_RSRC2:TGID_X_EN: 1
; COMPUTE_PGM_RSRC2:TGID_Y_EN: 1
; COMPUTE_PGM_RSRC2:TGID_Z_EN: 1
; COMPUTE_PGM_RSRC2:TIDIG_COMP_CNT: 1
	.section	.text._ZN12_GLOBAL__N_120gemm_ex_scale_kernelILi32ELi32EfPKPKfPKPfEEviiT1_T2_lllT3_llli,"axG",@progbits,_ZN12_GLOBAL__N_120gemm_ex_scale_kernelILi32ELi32EfPKPKfPKPfEEviiT1_T2_lllT3_llli,comdat
	.globl	_ZN12_GLOBAL__N_120gemm_ex_scale_kernelILi32ELi32EfPKPKfPKPfEEviiT1_T2_lllT3_llli ; -- Begin function _ZN12_GLOBAL__N_120gemm_ex_scale_kernelILi32ELi32EfPKPKfPKPfEEviiT1_T2_lllT3_llli
	.p2align	8
	.type	_ZN12_GLOBAL__N_120gemm_ex_scale_kernelILi32ELi32EfPKPKfPKPfEEviiT1_T2_lllT3_llli,@function
_ZN12_GLOBAL__N_120gemm_ex_scale_kernelILi32ELi32EfPKPKfPKPfEEviiT1_T2_lllT3_llli: ; @_ZN12_GLOBAL__N_120gemm_ex_scale_kernelILi32ELi32EfPKPKfPKPfEEviiT1_T2_lllT3_llli
; %bb.0:
	s_load_b32 s15, s[0:1], 0x50
	s_bfe_u32 s2, ttmp6, 0x40014
	s_lshr_b32 s3, ttmp7, 16
	s_add_co_i32 s2, s2, 1
	s_bfe_u32 s4, ttmp6, 0x40008
	s_mul_i32 s2, s3, s2
	s_getreg_b32 s8, hwreg(HW_REG_IB_STS2, 6, 4)
	s_add_co_i32 s4, s4, s2
	s_cmp_eq_u32 s8, 0
	s_cselect_b32 s2, s3, s4
	s_mov_b32 s3, 0
	s_wait_kmcnt 0x0
	s_cmp_ge_u32 s2, s15
	s_cbranch_scc1 .LBB28_10
; %bb.1:
	s_clause 0x3
	s_load_b96 s[12:14], s[0:1], 0x0
	s_load_b128 s[4:7], s[0:1], 0x10
	s_load_b64 s[18:19], s[0:1], 0x20
	s_load_b64 s[20:21], s[0:1], 0x40
	v_bfe_u32 v1, v0, 10, 10
	v_mov_b32_e32 v7, 0
	v_and_b32_e32 v0, 0x3ff, v0
	s_wait_kmcnt 0x0
	s_cmp_neq_f32 s14, 0
	s_cselect_b32 s16, -1, 0
	s_bfe_u32 s10, ttmp6, 0x40010
	s_bfe_u32 s22, ttmp6, 0x4000c
	s_and_b32 s9, ttmp7, 0xffff
	s_add_co_i32 s10, s10, 1
	s_add_co_i32 s22, s22, 1
	s_bfe_u32 s11, ttmp6, 0x40004
	s_and_b32 s17, ttmp6, 15
	s_mul_i32 s10, s9, s10
	s_mul_i32 s22, ttmp9, s22
	s_add_co_i32 s11, s11, s10
	s_add_co_i32 s17, s17, s22
	s_cmp_eq_u32 s8, 0
	s_cselect_b32 s8, s9, s11
	s_delay_alu instid0(SALU_CYCLE_1)
	v_lshl_add_u32 v6, s8, 5, v1
	s_load_b128 s[8:11], s[0:1], 0x30
	s_wait_xcnt 0x0
	s_cselect_b32 s0, ttmp9, s17
	v_mov_b32_e32 v1, v7
	v_lshl_add_u32 v0, s0, 5, v0
	v_mul_u64_e32 v[2:3], s[18:19], v[6:7]
	v_mul_u64_e32 v[4:5], s[20:21], v[6:7]
	v_cmp_gt_u32_e64 s0, s13, v6
	s_delay_alu instid0(VALU_DEP_4)
	v_cmp_gt_u32_e32 vcc_lo, s12, v0
	s_and_b32 s12, vcc_lo, s0
	s_lshl_b64 s[0:1], s[6:7], 2
	s_wait_kmcnt 0x0
	s_lshl_b64 s[6:7], s[10:11], 2
	s_branch .LBB28_5
.LBB28_2:                               ;   in Loop: Header=BB28_5 Depth=1
	v_lshl_add_u64 v[6:7], v[2:3], 2, s[10:11]
	s_delay_alu instid0(VALU_DEP_1)
	v_lshl_add_u64 v[6:7], v[0:1], 2, v[6:7]
	flat_load_b32 v6, v[6:7]
	s_wait_loadcnt_dscnt 0x0
	s_wait_xcnt 0x0
	v_mul_f32_e32 v6, s14, v6
.LBB28_3:                               ;   in Loop: Header=BB28_5 Depth=1
	s_lshl_b64 s[10:11], s[2:3], 3
	s_delay_alu instid0(SALU_CYCLE_1) | instskip(SKIP_4) | instid1(SALU_CYCLE_1)
	s_add_nc_u64 s[10:11], s[8:9], s[10:11]
	s_load_b64 s[10:11], s[10:11], 0x0
	s_wait_kmcnt 0x0
	s_wait_xcnt 0x0
	s_add_nc_u64 s[10:11], s[10:11], s[6:7]
	v_lshl_add_u64 v[8:9], v[4:5], 2, s[10:11]
	s_delay_alu instid0(VALU_DEP_1)
	v_lshl_add_u64 v[8:9], v[0:1], 2, v[8:9]
	flat_store_b32 v[8:9], v6
.LBB28_4:                               ;   in Loop: Header=BB28_5 Depth=1
	s_wait_xcnt 0x0
	s_or_b32 exec_lo, exec_lo, s13
	s_add_co_i32 s2, s2, 0x10000
	s_delay_alu instid0(SALU_CYCLE_1)
	s_cmp_lt_u32 s2, s15
	s_cbranch_scc0 .LBB28_10
.LBB28_5:                               ; =>This Inner Loop Header: Depth=1
	s_and_not1_b32 vcc_lo, exec_lo, s16
	s_cbranch_vccnz .LBB28_7
; %bb.6:                                ;   in Loop: Header=BB28_5 Depth=1
	s_lshl_b64 s[10:11], s[2:3], 3
	s_delay_alu instid0(SALU_CYCLE_1)
	s_add_nc_u64 s[10:11], s[4:5], s[10:11]
	s_load_b64 s[10:11], s[10:11], 0x0
	s_wait_kmcnt 0x0
	s_wait_xcnt 0x0
	s_add_nc_u64 s[10:11], s[10:11], s[0:1]
	s_and_saveexec_b32 s13, s12
	s_cbranch_execz .LBB28_4
	s_branch .LBB28_8
.LBB28_7:                               ;   in Loop: Header=BB28_5 Depth=1
	s_mov_b64 s[10:11], 0
	s_and_saveexec_b32 s13, s12
	s_cbranch_execz .LBB28_4
.LBB28_8:                               ;   in Loop: Header=BB28_5 Depth=1
	s_and_not1_b32 vcc_lo, exec_lo, s16
	s_cbranch_vccz .LBB28_2
; %bb.9:                                ;   in Loop: Header=BB28_5 Depth=1
	v_mov_b32_e32 v6, 0
	s_branch .LBB28_3
.LBB28_10:
	s_endpgm
	.section	.rodata,"a",@progbits
	.p2align	6, 0x0
	.amdhsa_kernel _ZN12_GLOBAL__N_120gemm_ex_scale_kernelILi32ELi32EfPKPKfPKPfEEviiT1_T2_lllT3_llli
		.amdhsa_group_segment_fixed_size 0
		.amdhsa_private_segment_fixed_size 0
		.amdhsa_kernarg_size 84
		.amdhsa_user_sgpr_count 2
		.amdhsa_user_sgpr_dispatch_ptr 0
		.amdhsa_user_sgpr_queue_ptr 0
		.amdhsa_user_sgpr_kernarg_segment_ptr 1
		.amdhsa_user_sgpr_dispatch_id 0
		.amdhsa_user_sgpr_kernarg_preload_length 0
		.amdhsa_user_sgpr_kernarg_preload_offset 0
		.amdhsa_user_sgpr_private_segment_size 0
		.amdhsa_wavefront_size32 1
		.amdhsa_uses_dynamic_stack 0
		.amdhsa_enable_private_segment 0
		.amdhsa_system_sgpr_workgroup_id_x 1
		.amdhsa_system_sgpr_workgroup_id_y 1
		.amdhsa_system_sgpr_workgroup_id_z 1
		.amdhsa_system_sgpr_workgroup_info 0
		.amdhsa_system_vgpr_workitem_id 1
		.amdhsa_next_free_vgpr 10
		.amdhsa_next_free_sgpr 23
		.amdhsa_named_barrier_count 0
		.amdhsa_reserve_vcc 1
		.amdhsa_float_round_mode_32 0
		.amdhsa_float_round_mode_16_64 0
		.amdhsa_float_denorm_mode_32 3
		.amdhsa_float_denorm_mode_16_64 3
		.amdhsa_fp16_overflow 0
		.amdhsa_memory_ordered 1
		.amdhsa_forward_progress 1
		.amdhsa_inst_pref_size 4
		.amdhsa_round_robin_scheduling 0
		.amdhsa_exception_fp_ieee_invalid_op 0
		.amdhsa_exception_fp_denorm_src 0
		.amdhsa_exception_fp_ieee_div_zero 0
		.amdhsa_exception_fp_ieee_overflow 0
		.amdhsa_exception_fp_ieee_underflow 0
		.amdhsa_exception_fp_ieee_inexact 0
		.amdhsa_exception_int_div_zero 0
	.end_amdhsa_kernel
	.section	.text._ZN12_GLOBAL__N_120gemm_ex_scale_kernelILi32ELi32EfPKPKfPKPfEEviiT1_T2_lllT3_llli,"axG",@progbits,_ZN12_GLOBAL__N_120gemm_ex_scale_kernelILi32ELi32EfPKPKfPKPfEEviiT1_T2_lllT3_llli,comdat
.Lfunc_end28:
	.size	_ZN12_GLOBAL__N_120gemm_ex_scale_kernelILi32ELi32EfPKPKfPKPfEEviiT1_T2_lllT3_llli, .Lfunc_end28-_ZN12_GLOBAL__N_120gemm_ex_scale_kernelILi32ELi32EfPKPKfPKPfEEviiT1_T2_lllT3_llli
                                        ; -- End function
	.set _ZN12_GLOBAL__N_120gemm_ex_scale_kernelILi32ELi32EfPKPKfPKPfEEviiT1_T2_lllT3_llli.num_vgpr, 10
	.set _ZN12_GLOBAL__N_120gemm_ex_scale_kernelILi32ELi32EfPKPKfPKPfEEviiT1_T2_lllT3_llli.num_agpr, 0
	.set _ZN12_GLOBAL__N_120gemm_ex_scale_kernelILi32ELi32EfPKPKfPKPfEEviiT1_T2_lllT3_llli.numbered_sgpr, 23
	.set _ZN12_GLOBAL__N_120gemm_ex_scale_kernelILi32ELi32EfPKPKfPKPfEEviiT1_T2_lllT3_llli.num_named_barrier, 0
	.set _ZN12_GLOBAL__N_120gemm_ex_scale_kernelILi32ELi32EfPKPKfPKPfEEviiT1_T2_lllT3_llli.private_seg_size, 0
	.set _ZN12_GLOBAL__N_120gemm_ex_scale_kernelILi32ELi32EfPKPKfPKPfEEviiT1_T2_lllT3_llli.uses_vcc, 1
	.set _ZN12_GLOBAL__N_120gemm_ex_scale_kernelILi32ELi32EfPKPKfPKPfEEviiT1_T2_lllT3_llli.uses_flat_scratch, 0
	.set _ZN12_GLOBAL__N_120gemm_ex_scale_kernelILi32ELi32EfPKPKfPKPfEEviiT1_T2_lllT3_llli.has_dyn_sized_stack, 0
	.set _ZN12_GLOBAL__N_120gemm_ex_scale_kernelILi32ELi32EfPKPKfPKPfEEviiT1_T2_lllT3_llli.has_recursion, 0
	.set _ZN12_GLOBAL__N_120gemm_ex_scale_kernelILi32ELi32EfPKPKfPKPfEEviiT1_T2_lllT3_llli.has_indirect_call, 0
	.section	.AMDGPU.csdata,"",@progbits
; Kernel info:
; codeLenInByte = 508
; TotalNumSgprs: 25
; NumVgprs: 10
; ScratchSize: 0
; MemoryBound: 0
; FloatMode: 240
; IeeeMode: 1
; LDSByteSize: 0 bytes/workgroup (compile time only)
; SGPRBlocks: 0
; VGPRBlocks: 0
; NumSGPRsForWavesPerEU: 25
; NumVGPRsForWavesPerEU: 10
; NamedBarCnt: 0
; Occupancy: 16
; WaveLimiterHint : 1
; COMPUTE_PGM_RSRC2:SCRATCH_EN: 0
; COMPUTE_PGM_RSRC2:USER_SGPR: 2
; COMPUTE_PGM_RSRC2:TRAP_HANDLER: 0
; COMPUTE_PGM_RSRC2:TGID_X_EN: 1
; COMPUTE_PGM_RSRC2:TGID_Y_EN: 1
; COMPUTE_PGM_RSRC2:TGID_Z_EN: 1
; COMPUTE_PGM_RSRC2:TIDIG_COMP_CNT: 1
	.section	.text._ZN12_GLOBAL__N_127rocblas_gemm_batched_kernelIfLi16ELi16ELi64ELi64ELi4ELi64ELi4ELi4ELi64ELc78ELc78EKPKfS3_KPfEEvlllT_PT11_llS8_llS6_PT12_llPT13_lli,"axG",@progbits,_ZN12_GLOBAL__N_127rocblas_gemm_batched_kernelIfLi16ELi16ELi64ELi64ELi4ELi64ELi4ELi4ELi64ELc78ELc78EKPKfS3_KPfEEvlllT_PT11_llS8_llS6_PT12_llPT13_lli,comdat
	.globl	_ZN12_GLOBAL__N_127rocblas_gemm_batched_kernelIfLi16ELi16ELi64ELi64ELi4ELi64ELi4ELi4ELi64ELc78ELc78EKPKfS3_KPfEEvlllT_PT11_llS8_llS6_PT12_llPT13_lli ; -- Begin function _ZN12_GLOBAL__N_127rocblas_gemm_batched_kernelIfLi16ELi16ELi64ELi64ELi4ELi64ELi4ELi4ELi64ELc78ELc78EKPKfS3_KPfEEvlllT_PT11_llS8_llS6_PT12_llPT13_lli
	.p2align	8
	.type	_ZN12_GLOBAL__N_127rocblas_gemm_batched_kernelIfLi16ELi16ELi64ELi64ELi4ELi64ELi4ELi4ELi64ELc78ELc78EKPKfS3_KPfEEvlllT_PT11_llS8_llS6_PT12_llPT13_lli,@function
_ZN12_GLOBAL__N_127rocblas_gemm_batched_kernelIfLi16ELi16ELi64ELi64ELi4ELi64ELi4ELi4ELi64ELc78ELc78EKPKfS3_KPfEEvlllT_PT11_llS8_llS6_PT12_llPT13_lli: ; @_ZN12_GLOBAL__N_127rocblas_gemm_batched_kernelIfLi16ELi16ELi64ELi64ELi4ELi64ELi4ELi4ELi64ELc78ELc78EKPKfS3_KPfEEvlllT_PT11_llS8_llS6_PT12_llPT13_lli
; %bb.0:
	s_load_b32 s31, s[0:1], 0x88
	s_bfe_u32 s2, ttmp6, 0x40014
	s_lshr_b32 s3, ttmp7, 16
	s_add_co_i32 s2, s2, 1
	s_bfe_u32 s4, ttmp6, 0x40008
	s_mul_i32 s2, s3, s2
	s_getreg_b32 s12, hwreg(HW_REG_IB_STS2, 6, 4)
	s_add_co_i32 s4, s4, s2
	s_cmp_eq_u32 s12, 0
	s_cselect_b32 s2, s3, s4
	s_mov_b32 s3, 0
	s_wait_kmcnt 0x0
	s_cmp_ge_i32 s2, s31
	s_cbranch_scc1 .LBB29_10
; %bb.1:
	v_bfe_u32 v2, v0, 10, 10
	v_mov_b32_e32 v3, 0
	v_and_b32_e32 v6, 0x3ff, v0
	s_clause 0x1
	s_load_b256 s[4:11], s[0:1], 0x20
	s_load_b128 s[20:23], s[0:1], 0x40
	s_bfe_u32 s14, ttmp6, 0x4000c
	v_lshlrev_b32_e32 v18, 4, v2
	s_bfe_u32 s16, ttmp6, 0x40010
	s_and_b32 s15, ttmp7, 0xffff
	s_add_co_i32 s14, s14, 1
	s_add_co_i32 s16, s16, 1
	v_dual_mov_b32 v9, v3 :: v_dual_add_nc_u32 v14, v18, v6
	s_and_b32 s13, ttmp6, 15
	s_mul_i32 s14, ttmp9, s14
	s_mul_i32 s16, s15, s16
	s_bfe_u32 s17, ttmp6, 0x40004
	s_add_co_i32 s13, s13, s14
	s_add_co_i32 s17, s17, s16
	s_cmp_eq_u32 s12, 0
	v_dual_lshrrev_b32 v8, 2, v14 :: v_dual_lshrrev_b32 v20, 6, v14
	s_cselect_b32 s12, s15, s17
	s_cselect_b32 s28, ttmp9, s13
	s_lshl_b32 s34, s12, 6
	s_mov_b32 s35, s3
	s_clause 0x1
	s_load_b128 s[24:27], s[0:1], 0x78
	s_load_b256 s[12:19], s[0:1], 0x58
	v_add_nc_u64_e32 v[4:5], s[34:35], v[8:9]
	s_ashr_i32 s29, s28, 31
	s_load_b32 s33, s[0:1], 0x50
	s_lshl_b64 s[36:37], s[28:29], 6
	s_load_b96 s[28:30], s[0:1], 0x10
	s_wait_kmcnt 0x0
	v_mad_nc_u64_u32 v[12:13], s6, v20, s[36:37]
	v_mov_b32_e32 v7, v3
	v_mul_u64_e32 v[10:11], s[20:21], v[4:5]
	v_add_nc_u64_e32 v[4:5], s[34:35], v[2:3]
	v_dual_mov_b32 v15, v3 :: v_dual_lshlrev_b32 v2, 2, v0
	v_dual_mov_b32 v17, v3 :: v_dual_bitop2_b32 v14, 63, v14 bitop3:0x40
	v_add_nc_u32_e32 v36, 0x400, v18
	s_delay_alu instid0(VALU_DEP_3)
	v_and_b32_e32 v16, 12, v2
	v_lshlrev_b32_e32 v2, 2, v6
	v_mad_u32 v13, s7, v20, v13
	v_add_nc_u64_e32 v[18:19], s[36:37], v[6:7]
	v_mul_u64_e32 v[0:1], s[24:25], v[4:5]
	v_mul_u64_e32 v[4:5], s[14:15], v[4:5]
	v_lshlrev_b32_e32 v21, 2, v14
	s_cmp_eq_f32 s33, 0
	v_cmp_gt_i64_e64 s0, s[28:29], 0
	s_delay_alu instid0(VALU_DEP_2)
	v_lshl_or_b32 v37, v20, 8, v21
	s_cselect_b32 s1, -1, 0
	v_add_nc_u64_e32 v[6:7], v[12:13], v[14:15]
	s_lshl_b64 s[22:23], s[22:23], 2
	v_lshl_or_b32 v12, v8, 4, v16
	s_lshl_b64 s[20:21], s[24:25], 4
	v_cndmask_b32_e64 v13, 0, 1, s0
	s_lshl_b64 s[24:25], s[14:15], 4
	s_lshl_b64 s[6:7], s[6:7], 4
	v_lshlrev_b64_e32 v[6:7], 2, v[6:7]
	v_add_nc_u32_e32 v38, 0x400, v12
	v_cmp_ne_u32_e64 s0, 1, v13
	s_lshl_b64 s[14:15], s[20:21], 2
	s_lshl_b64 s[16:17], s[16:17], 2
	v_lshl_add_u64 v[8:9], v[10:11], 2, s[22:23]
	v_lshlrev_b64_e32 v[10:11], 2, v[18:19]
	v_lshl_add_u64 v[6:7], s[8:9], 2, v[6:7]
	s_lshl_b64 s[8:9], s[26:27], 2
	s_lshl_b64 s[20:21], s[24:25], 2
	v_add_nc_u64_e32 v[8:9], v[8:9], v[16:17]
	s_branch .LBB29_3
.LBB29_2:                               ;   in Loop: Header=BB29_3 Depth=1
	s_add_co_i32 s2, s2, 0x10000
	s_delay_alu instid0(SALU_CYCLE_1)
	s_cmp_lt_i32 s2, s31
	s_cbranch_scc0 .LBB29_10
.LBB29_3:                               ; =>This Loop Header: Depth=1
                                        ;     Child Loop BB29_5 Depth 2
	v_dual_mov_b32 v12, s2 :: v_dual_mov_b32 v29, 0
	v_dual_mov_b32 v28, 0 :: v_dual_mov_b32 v27, 0
	;; [unrolled: 1-line block ×3, first 2 shown]
	s_clause 0x1
	global_load_b64 v[20:21], v12, s[12:13] scale_offset
	global_load_b64 v[30:31], v12, s[18:19] scale_offset
	v_dual_mov_b32 v24, 0 :: v_dual_mov_b32 v23, 0
	s_wait_xcnt 0x3
	v_dual_mov_b32 v22, 0 :: v_dual_mov_b32 v19, 0
	s_wait_xcnt 0x2
	v_dual_mov_b32 v18, 0 :: v_dual_mov_b32 v17, 0
	v_dual_mov_b32 v16, 0 :: v_dual_mov_b32 v15, 0
	v_dual_mov_b32 v14, 0 :: v_dual_mov_b32 v13, 0
	s_wait_xcnt 0x0
	v_mov_b32_e32 v12, 0
	s_and_b32 vcc_lo, exec_lo, s0
	s_cbranch_vccnz .LBB29_6
; %bb.4:                                ;   in Loop: Header=BB29_3 Depth=1
	s_lshl_b64 s[22:23], s[2:3], 3
	v_mov_b32_e32 v12, 0
	s_add_nc_u64 s[24:25], s[10:11], s[22:23]
	s_add_nc_u64 s[22:23], s[4:5], s[22:23]
	s_clause 0x1
	global_load_b64 v[28:29], v3, s[24:25]
	global_load_b64 v[34:35], v3, s[22:23]
	s_wait_xcnt 0x0
	s_mov_b64 s[22:23], 0
	v_dual_mov_b32 v13, v12 :: v_dual_mov_b32 v14, v12
	v_dual_mov_b32 v15, v12 :: v_dual_mov_b32 v16, v12
	;; [unrolled: 1-line block ×6, first 2 shown]
	v_mov_b32_e32 v27, v12
	s_wait_loadcnt 0x1
	v_add_nc_u64_e32 v[32:33], v[28:29], v[8:9]
	s_wait_loadcnt 0x0
	v_add_nc_u64_e32 v[34:35], v[34:35], v[6:7]
	v_dual_mov_b32 v28, v12 :: v_dual_mov_b32 v29, v12
.LBB29_5:                               ;   Parent Loop BB29_3 Depth=1
                                        ; =>  This Inner Loop Header: Depth=2
	flat_load_b32 v39, v[34:35]
	s_add_nc_u64 s[22:23], s[22:23], 4
	s_wait_xcnt 0x0
	v_add_nc_u64_e32 v[34:35], s[6:7], v[34:35]
	v_cmp_lt_i64_e64 s24, s[22:23], s[28:29]
	s_and_b32 vcc_lo, exec_lo, s24
	s_wait_loadcnt_dscnt 0x0
	ds_store_b32 v37, v39
	flat_load_b32 v39, v[32:33]
	s_wait_xcnt 0x0
	v_add_nc_u64_e32 v[32:33], 16, v[32:33]
	s_wait_loadcnt_dscnt 0x0
	ds_store_b32 v38, v39
	s_wait_dscnt 0x0
	s_barrier_signal -1
	s_barrier_wait -1
	ds_load_2addr_b32 v[56:57], v2 offset1:16
	ds_load_2addr_b32 v[58:59], v2 offset0:64 offset1:80
	ds_load_2addr_b32 v[60:61], v2 offset0:128 offset1:144
	;; [unrolled: 1-line block ×6, first 2 shown]
	ds_load_b128 v[40:43], v36
	ds_load_b128 v[44:47], v36 offset:256
	ds_load_2addr_b32 v[70:71], v2 offset0:224 offset1:240
	ds_load_b128 v[48:51], v36 offset:512
	ds_load_b128 v[52:55], v36 offset:768
	s_wait_dscnt 0x0
	s_barrier_signal -1
	s_barrier_wait -1
	v_dual_mov_b32 v72, v57 :: v_dual_mov_b32 v73, v56
	v_dual_mov_b32 v56, v59 :: v_dual_mov_b32 v57, v58
	;; [unrolled: 1-line block ×6, first 2 shown]
	v_pk_fma_f32 v[28:29], v[72:73], v[40:41], v[28:29] op_sel_hi:[1,0,1]
	v_pk_fma_f32 v[24:25], v[72:73], v[44:45], v[24:25] op_sel_hi:[1,0,1]
	s_delay_alu instid0(VALU_DEP_4)
	v_pk_fma_f32 v[26:27], v[62:63], v[40:41], v[26:27] op_sel_hi:[1,0,1]
	v_pk_fma_f32 v[18:19], v[72:73], v[48:49], v[18:19] op_sel_hi:[1,0,1]
	;; [unrolled: 1-line block ×6, first 2 shown]
	v_dual_mov_b32 v66, v69 :: v_dual_mov_b32 v67, v68
	v_pk_fma_f32 v[28:29], v[56:57], v[40:41], v[28:29] op_sel:[0,1,0]
	v_pk_fma_f32 v[26:27], v[64:65], v[40:41], v[26:27] op_sel:[0,1,0]
	;; [unrolled: 1-line block ×8, first 2 shown]
	v_dual_mov_b32 v68, v43 :: v_dual_mov_b32 v74, v71
	v_dual_mov_b32 v75, v70 :: v_dual_mov_b32 v70, v47
	;; [unrolled: 1-line block ×3, first 2 shown]
	v_pk_fma_f32 v[28:29], v[58:59], v[42:43], v[28:29] op_sel_hi:[1,0,1]
	v_pk_fma_f32 v[26:27], v[66:67], v[42:43], v[26:27] op_sel_hi:[1,0,1]
	;; [unrolled: 1-line block ×16, first 2 shown]
	s_cbranch_vccnz .LBB29_5
.LBB29_6:                               ;   in Loop: Header=BB29_3 Depth=1
	s_wait_loadcnt 0x0
	v_add_nc_u64_e32 v[30:31], s[8:9], v[30:31]
	s_and_not1_b32 vcc_lo, exec_lo, s1
	s_delay_alu instid0(VALU_DEP_1) | instskip(NEXT) | instid1(VALU_DEP_1)
	v_lshl_add_u64 v[30:31], v[0:1], 2, v[30:31]
	v_add_nc_u64_e32 v[32:33], v[30:31], v[10:11]
	v_add_nc_u64_e32 v[30:31], s[14:15], v[30:31]
	s_cbranch_vccnz .LBB29_8
; %bb.7:                                ;   in Loop: Header=BB29_3 Depth=1
	v_dual_mul_f32 v39, s30, v29 :: v_dual_mul_f32 v40, s30, v28
	s_delay_alu instid0(VALU_DEP_2)
	v_add_nc_u64_e32 v[34:35], s[14:15], v[30:31]
	v_dual_mul_f32 v41, s30, v27 :: v_dual_mul_f32 v42, s30, v26
	s_clause 0x3
	flat_store_b32 v[32:33], v39
	flat_store_b32 v[32:33], v40 offset:64
	flat_store_b32 v[32:33], v41 offset:128
	;; [unrolled: 1-line block ×3, first 2 shown]
	s_wait_xcnt 0x1
	v_add_nc_u64_e32 v[40:41], v[30:31], v[10:11]
	v_dual_mul_f32 v39, s30, v25 :: v_dual_mul_f32 v44, s30, v24
	s_wait_xcnt 0x0
	v_add_nc_u64_e32 v[42:43], v[34:35], v[10:11]
	v_add_nc_u64_e32 v[34:35], s[14:15], v[34:35]
	v_dual_mul_f32 v45, s30, v23 :: v_dual_mul_f32 v46, s30, v22
	s_clause 0x3
	flat_store_b32 v[40:41], v39
	flat_store_b32 v[40:41], v44 offset:64
	flat_store_b32 v[40:41], v45 offset:128
	;; [unrolled: 1-line block ×3, first 2 shown]
	s_wait_xcnt 0x0
	v_dual_mul_f32 v39, s30, v19 :: v_dual_mul_f32 v40, s30, v18
	v_dual_mul_f32 v41, s30, v17 :: v_dual_mul_f32 v44, s30, v16
	v_add_nc_u64_e32 v[34:35], v[34:35], v[10:11]
	s_clause 0x3
	flat_store_b32 v[42:43], v39
	flat_store_b32 v[42:43], v40 offset:64
	flat_store_b32 v[42:43], v41 offset:128
	;; [unrolled: 1-line block ×3, first 2 shown]
	s_wait_xcnt 0x2
	v_dual_mul_f32 v39, s30, v15 :: v_dual_mul_f32 v40, s30, v14
	s_wait_xcnt 0x0
	v_dual_mul_f32 v41, s30, v13 :: v_dual_mul_f32 v42, s30, v12
	s_clause 0x3
	flat_store_b32 v[34:35], v39
	flat_store_b32 v[34:35], v40 offset:64
	flat_store_b32 v[34:35], v41 offset:128
	;; [unrolled: 1-line block ×3, first 2 shown]
	s_cbranch_execnz .LBB29_2
	s_branch .LBB29_9
.LBB29_8:                               ;   in Loop: Header=BB29_3 Depth=1
.LBB29_9:                               ;   in Loop: Header=BB29_3 Depth=1
	v_add_nc_u64_e32 v[20:21], s[16:17], v[20:21]
	s_delay_alu instid0(VALU_DEP_1) | instskip(SKIP_1) | instid1(VALU_DEP_1)
	v_lshl_add_u64 v[20:21], v[4:5], 2, v[20:21]
	s_wait_xcnt 0x0
	v_add_nc_u64_e32 v[34:35], v[20:21], v[10:11]
	v_add_nc_u64_e32 v[20:21], s[20:21], v[20:21]
	flat_load_b32 v39, v[34:35]
	s_wait_loadcnt_dscnt 0x0
	v_mul_f32_e32 v39, s33, v39
	s_delay_alu instid0(VALU_DEP_1) | instskip(SKIP_4) | instid1(VALU_DEP_1)
	v_fmac_f32_e32 v39, s30, v29
	flat_store_b32 v[32:33], v39
	flat_load_b32 v29, v[34:35] offset:64
	s_wait_loadcnt_dscnt 0x0
	v_mul_f32_e32 v29, s33, v29
	v_fmac_f32_e32 v29, s30, v28
	flat_store_b32 v[32:33], v29 offset:64
	flat_load_b32 v28, v[34:35] offset:128
	s_wait_loadcnt_dscnt 0x0
	v_mul_f32_e32 v28, s33, v28
	s_delay_alu instid0(VALU_DEP_1)
	v_fmac_f32_e32 v28, s30, v27
	flat_store_b32 v[32:33], v28 offset:128
	flat_load_b32 v27, v[34:35] offset:192
	s_wait_xcnt 0x1
	v_add_nc_u64_e32 v[28:29], v[20:21], v[10:11]
	v_add_nc_u64_e32 v[20:21], s[20:21], v[20:21]
	s_wait_loadcnt_dscnt 0x0
	v_mul_f32_e32 v27, s33, v27
	s_delay_alu instid0(VALU_DEP_1)
	v_fmac_f32_e32 v27, s30, v26
	flat_store_b32 v[32:33], v27 offset:192
	flat_load_b32 v26, v[28:29]
	s_wait_loadcnt_dscnt 0x0
	s_wait_xcnt 0x1
	v_mul_f32_e32 v32, s33, v26
	v_add_nc_u64_e32 v[26:27], v[30:31], v[10:11]
	s_delay_alu instid0(VALU_DEP_2) | instskip(SKIP_4) | instid1(VALU_DEP_1)
	v_fmac_f32_e32 v32, s30, v25
	flat_store_b32 v[26:27], v32
	flat_load_b32 v25, v[28:29] offset:64
	s_wait_loadcnt_dscnt 0x0
	v_mul_f32_e32 v25, s33, v25
	v_fmac_f32_e32 v25, s30, v24
	flat_store_b32 v[26:27], v25 offset:64
	flat_load_b32 v24, v[28:29] offset:128
	s_wait_loadcnt_dscnt 0x0
	v_mul_f32_e32 v24, s33, v24
	s_delay_alu instid0(VALU_DEP_1)
	v_fmac_f32_e32 v24, s30, v23
	flat_store_b32 v[26:27], v24 offset:128
	flat_load_b32 v23, v[28:29] offset:192
	s_wait_xcnt 0x1
	v_add_nc_u64_e32 v[24:25], v[20:21], v[10:11]
	s_wait_loadcnt_dscnt 0x0
	v_mul_f32_e32 v23, s33, v23
	s_delay_alu instid0(VALU_DEP_1)
	v_fmac_f32_e32 v23, s30, v22
	flat_store_b32 v[26:27], v23 offset:192
	flat_load_b32 v26, v[24:25]
	v_add_nc_u64_e32 v[22:23], s[14:15], v[30:31]
	s_wait_loadcnt_dscnt 0x0
	v_mul_f32_e32 v28, s33, v26
	s_delay_alu instid0(VALU_DEP_2) | instskip(NEXT) | instid1(VALU_DEP_2)
	v_add_nc_u64_e32 v[26:27], v[22:23], v[10:11]
	v_fmac_f32_e32 v28, s30, v19
	flat_store_b32 v[26:27], v28
	flat_load_b32 v19, v[24:25] offset:64
	s_wait_loadcnt_dscnt 0x0
	v_mul_f32_e32 v19, s33, v19
	s_delay_alu instid0(VALU_DEP_1) | instskip(SKIP_4) | instid1(VALU_DEP_1)
	v_fmac_f32_e32 v19, s30, v18
	flat_store_b32 v[26:27], v19 offset:64
	flat_load_b32 v18, v[24:25] offset:128
	s_wait_loadcnt_dscnt 0x0
	v_mul_f32_e32 v18, s33, v18
	v_fmac_f32_e32 v18, s30, v17
	flat_store_b32 v[26:27], v18 offset:128
	flat_load_b32 v17, v[24:25] offset:192
	s_wait_xcnt 0x1
	v_add_nc_u64_e32 v[18:19], s[20:21], v[20:21]
	s_delay_alu instid0(VALU_DEP_1) | instskip(SKIP_2) | instid1(VALU_DEP_1)
	v_add_nc_u64_e32 v[18:19], v[18:19], v[10:11]
	s_wait_loadcnt_dscnt 0x0
	v_mul_f32_e32 v17, s33, v17
	v_fmac_f32_e32 v17, s30, v16
	flat_store_b32 v[26:27], v17 offset:192
	flat_load_b32 v20, v[18:19]
	s_wait_xcnt 0x1
	v_add_nc_u64_e32 v[16:17], s[14:15], v[22:23]
	s_delay_alu instid0(VALU_DEP_1) | instskip(SKIP_2) | instid1(VALU_DEP_1)
	v_add_nc_u64_e32 v[16:17], v[16:17], v[10:11]
	s_wait_loadcnt_dscnt 0x0
	v_mul_f32_e32 v20, s33, v20
	v_fmac_f32_e32 v20, s30, v15
	flat_store_b32 v[16:17], v20
	flat_load_b32 v15, v[18:19] offset:64
	s_wait_loadcnt_dscnt 0x0
	v_mul_f32_e32 v15, s33, v15
	s_delay_alu instid0(VALU_DEP_1) | instskip(SKIP_4) | instid1(VALU_DEP_1)
	v_fmac_f32_e32 v15, s30, v14
	flat_store_b32 v[16:17], v15 offset:64
	flat_load_b32 v14, v[18:19] offset:128
	s_wait_loadcnt_dscnt 0x0
	v_mul_f32_e32 v14, s33, v14
	v_fmac_f32_e32 v14, s30, v13
	flat_store_b32 v[16:17], v14 offset:128
	flat_load_b32 v13, v[18:19] offset:192
	s_wait_loadcnt_dscnt 0x0
	v_mul_f32_e32 v13, s33, v13
	s_delay_alu instid0(VALU_DEP_1)
	v_fmac_f32_e32 v13, s30, v12
	flat_store_b32 v[16:17], v13 offset:192
	s_branch .LBB29_2
.LBB29_10:
	s_sendmsg sendmsg(MSG_DEALLOC_VGPRS)
	s_endpgm
	.section	.rodata,"a",@progbits
	.p2align	6, 0x0
	.amdhsa_kernel _ZN12_GLOBAL__N_127rocblas_gemm_batched_kernelIfLi16ELi16ELi64ELi64ELi4ELi64ELi4ELi4ELi64ELc78ELc78EKPKfS3_KPfEEvlllT_PT11_llS8_llS6_PT12_llPT13_lli
		.amdhsa_group_segment_fixed_size 2048
		.amdhsa_private_segment_fixed_size 0
		.amdhsa_kernarg_size 140
		.amdhsa_user_sgpr_count 2
		.amdhsa_user_sgpr_dispatch_ptr 0
		.amdhsa_user_sgpr_queue_ptr 0
		.amdhsa_user_sgpr_kernarg_segment_ptr 1
		.amdhsa_user_sgpr_dispatch_id 0
		.amdhsa_user_sgpr_kernarg_preload_length 0
		.amdhsa_user_sgpr_kernarg_preload_offset 0
		.amdhsa_user_sgpr_private_segment_size 0
		.amdhsa_wavefront_size32 1
		.amdhsa_uses_dynamic_stack 0
		.amdhsa_enable_private_segment 0
		.amdhsa_system_sgpr_workgroup_id_x 1
		.amdhsa_system_sgpr_workgroup_id_y 1
		.amdhsa_system_sgpr_workgroup_id_z 1
		.amdhsa_system_sgpr_workgroup_info 0
		.amdhsa_system_vgpr_workitem_id 1
		.amdhsa_next_free_vgpr 80
		.amdhsa_next_free_sgpr 38
		.amdhsa_named_barrier_count 0
		.amdhsa_reserve_vcc 1
		.amdhsa_float_round_mode_32 0
		.amdhsa_float_round_mode_16_64 0
		.amdhsa_float_denorm_mode_32 3
		.amdhsa_float_denorm_mode_16_64 3
		.amdhsa_fp16_overflow 0
		.amdhsa_memory_ordered 1
		.amdhsa_forward_progress 1
		.amdhsa_inst_pref_size 19
		.amdhsa_round_robin_scheduling 0
		.amdhsa_exception_fp_ieee_invalid_op 0
		.amdhsa_exception_fp_denorm_src 0
		.amdhsa_exception_fp_ieee_div_zero 0
		.amdhsa_exception_fp_ieee_overflow 0
		.amdhsa_exception_fp_ieee_underflow 0
		.amdhsa_exception_fp_ieee_inexact 0
		.amdhsa_exception_int_div_zero 0
	.end_amdhsa_kernel
	.section	.text._ZN12_GLOBAL__N_127rocblas_gemm_batched_kernelIfLi16ELi16ELi64ELi64ELi4ELi64ELi4ELi4ELi64ELc78ELc78EKPKfS3_KPfEEvlllT_PT11_llS8_llS6_PT12_llPT13_lli,"axG",@progbits,_ZN12_GLOBAL__N_127rocblas_gemm_batched_kernelIfLi16ELi16ELi64ELi64ELi4ELi64ELi4ELi4ELi64ELc78ELc78EKPKfS3_KPfEEvlllT_PT11_llS8_llS6_PT12_llPT13_lli,comdat
.Lfunc_end29:
	.size	_ZN12_GLOBAL__N_127rocblas_gemm_batched_kernelIfLi16ELi16ELi64ELi64ELi4ELi64ELi4ELi4ELi64ELc78ELc78EKPKfS3_KPfEEvlllT_PT11_llS8_llS6_PT12_llPT13_lli, .Lfunc_end29-_ZN12_GLOBAL__N_127rocblas_gemm_batched_kernelIfLi16ELi16ELi64ELi64ELi4ELi64ELi4ELi4ELi64ELc78ELc78EKPKfS3_KPfEEvlllT_PT11_llS8_llS6_PT12_llPT13_lli
                                        ; -- End function
	.set _ZN12_GLOBAL__N_127rocblas_gemm_batched_kernelIfLi16ELi16ELi64ELi64ELi4ELi64ELi4ELi4ELi64ELc78ELc78EKPKfS3_KPfEEvlllT_PT11_llS8_llS6_PT12_llPT13_lli.num_vgpr, 80
	.set _ZN12_GLOBAL__N_127rocblas_gemm_batched_kernelIfLi16ELi16ELi64ELi64ELi4ELi64ELi4ELi4ELi64ELc78ELc78EKPKfS3_KPfEEvlllT_PT11_llS8_llS6_PT12_llPT13_lli.num_agpr, 0
	.set _ZN12_GLOBAL__N_127rocblas_gemm_batched_kernelIfLi16ELi16ELi64ELi64ELi4ELi64ELi4ELi4ELi64ELc78ELc78EKPKfS3_KPfEEvlllT_PT11_llS8_llS6_PT12_llPT13_lli.numbered_sgpr, 38
	.set _ZN12_GLOBAL__N_127rocblas_gemm_batched_kernelIfLi16ELi16ELi64ELi64ELi4ELi64ELi4ELi4ELi64ELc78ELc78EKPKfS3_KPfEEvlllT_PT11_llS8_llS6_PT12_llPT13_lli.num_named_barrier, 0
	.set _ZN12_GLOBAL__N_127rocblas_gemm_batched_kernelIfLi16ELi16ELi64ELi64ELi4ELi64ELi4ELi4ELi64ELc78ELc78EKPKfS3_KPfEEvlllT_PT11_llS8_llS6_PT12_llPT13_lli.private_seg_size, 0
	.set _ZN12_GLOBAL__N_127rocblas_gemm_batched_kernelIfLi16ELi16ELi64ELi64ELi4ELi64ELi4ELi4ELi64ELc78ELc78EKPKfS3_KPfEEvlllT_PT11_llS8_llS6_PT12_llPT13_lli.uses_vcc, 1
	.set _ZN12_GLOBAL__N_127rocblas_gemm_batched_kernelIfLi16ELi16ELi64ELi64ELi4ELi64ELi4ELi4ELi64ELc78ELc78EKPKfS3_KPfEEvlllT_PT11_llS8_llS6_PT12_llPT13_lli.uses_flat_scratch, 1
	.set _ZN12_GLOBAL__N_127rocblas_gemm_batched_kernelIfLi16ELi16ELi64ELi64ELi4ELi64ELi4ELi4ELi64ELc78ELc78EKPKfS3_KPfEEvlllT_PT11_llS8_llS6_PT12_llPT13_lli.has_dyn_sized_stack, 0
	.set _ZN12_GLOBAL__N_127rocblas_gemm_batched_kernelIfLi16ELi16ELi64ELi64ELi4ELi64ELi4ELi4ELi64ELc78ELc78EKPKfS3_KPfEEvlllT_PT11_llS8_llS6_PT12_llPT13_lli.has_recursion, 0
	.set _ZN12_GLOBAL__N_127rocblas_gemm_batched_kernelIfLi16ELi16ELi64ELi64ELi4ELi64ELi4ELi4ELi64ELc78ELc78EKPKfS3_KPfEEvlllT_PT11_llS8_llS6_PT12_llPT13_lli.has_indirect_call, 0
	.section	.AMDGPU.csdata,"",@progbits
; Kernel info:
; codeLenInByte = 2376
; TotalNumSgprs: 40
; NumVgprs: 80
; ScratchSize: 0
; MemoryBound: 0
; FloatMode: 240
; IeeeMode: 1
; LDSByteSize: 2048 bytes/workgroup (compile time only)
; SGPRBlocks: 0
; VGPRBlocks: 4
; NumSGPRsForWavesPerEU: 40
; NumVGPRsForWavesPerEU: 80
; NamedBarCnt: 0
; Occupancy: 12
; WaveLimiterHint : 1
; COMPUTE_PGM_RSRC2:SCRATCH_EN: 0
; COMPUTE_PGM_RSRC2:USER_SGPR: 2
; COMPUTE_PGM_RSRC2:TRAP_HANDLER: 0
; COMPUTE_PGM_RSRC2:TGID_X_EN: 1
; COMPUTE_PGM_RSRC2:TGID_Y_EN: 1
; COMPUTE_PGM_RSRC2:TGID_Z_EN: 1
; COMPUTE_PGM_RSRC2:TIDIG_COMP_CNT: 1
	.section	.text._ZN12_GLOBAL__N_127rocblas_gemm_batched_kernelIfLi16ELi16ELi64ELi64ELi4ELi64ELi4ELi4ELi64ELc84ELc78EKPKfS3_KPfEEvlllT_PT11_llS8_llS6_PT12_llPT13_lli,"axG",@progbits,_ZN12_GLOBAL__N_127rocblas_gemm_batched_kernelIfLi16ELi16ELi64ELi64ELi4ELi64ELi4ELi4ELi64ELc84ELc78EKPKfS3_KPfEEvlllT_PT11_llS8_llS6_PT12_llPT13_lli,comdat
	.globl	_ZN12_GLOBAL__N_127rocblas_gemm_batched_kernelIfLi16ELi16ELi64ELi64ELi4ELi64ELi4ELi4ELi64ELc84ELc78EKPKfS3_KPfEEvlllT_PT11_llS8_llS6_PT12_llPT13_lli ; -- Begin function _ZN12_GLOBAL__N_127rocblas_gemm_batched_kernelIfLi16ELi16ELi64ELi64ELi4ELi64ELi4ELi4ELi64ELc84ELc78EKPKfS3_KPfEEvlllT_PT11_llS8_llS6_PT12_llPT13_lli
	.p2align	8
	.type	_ZN12_GLOBAL__N_127rocblas_gemm_batched_kernelIfLi16ELi16ELi64ELi64ELi4ELi64ELi4ELi4ELi64ELc84ELc78EKPKfS3_KPfEEvlllT_PT11_llS8_llS6_PT12_llPT13_lli,@function
_ZN12_GLOBAL__N_127rocblas_gemm_batched_kernelIfLi16ELi16ELi64ELi64ELi4ELi64ELi4ELi4ELi64ELc84ELc78EKPKfS3_KPfEEvlllT_PT11_llS8_llS6_PT12_llPT13_lli: ; @_ZN12_GLOBAL__N_127rocblas_gemm_batched_kernelIfLi16ELi16ELi64ELi64ELi4ELi64ELi4ELi4ELi64ELc84ELc78EKPKfS3_KPfEEvlllT_PT11_llS8_llS6_PT12_llPT13_lli
; %bb.0:
	s_load_b32 s31, s[0:1], 0x88
	s_bfe_u32 s2, ttmp6, 0x40014
	s_lshr_b32 s3, ttmp7, 16
	s_add_co_i32 s2, s2, 1
	s_bfe_u32 s4, ttmp6, 0x40008
	s_mul_i32 s2, s3, s2
	s_getreg_b32 s28, hwreg(HW_REG_IB_STS2, 6, 4)
	s_add_co_i32 s4, s4, s2
	s_cmp_eq_u32 s28, 0
	s_cselect_b32 s2, s3, s4
	s_mov_b32 s3, 0
	s_wait_kmcnt 0x0
	s_cmp_ge_i32 s2, s31
	s_cbranch_scc1 .LBB30_10
; %bb.1:
	v_bfe_u32 v2, v0, 10, 10
	v_and_b32_e32 v6, 0x3ff, v0
	s_clause 0x1
	s_load_b256 s[4:11], s[0:1], 0x20
	s_load_b128 s[24:27], s[0:1], 0x40
	s_bfe_u32 s30, ttmp6, 0x4000c
	s_bfe_u32 s34, ttmp6, 0x40010
	v_dual_mov_b32 v3, 0 :: v_dual_lshlrev_b32 v16, 4, v2
	s_and_b32 s33, ttmp7, 0xffff
	s_add_co_i32 s30, s30, 1
	s_add_co_i32 s34, s34, 1
	s_delay_alu instid0(VALU_DEP_1)
	v_dual_add_nc_u32 v17, v16, v6 :: v_dual_mov_b32 v9, v3
	s_and_b32 s29, ttmp6, 15
	s_mul_i32 s30, ttmp9, s30
	s_mul_i32 s34, s33, s34
	s_bfe_u32 s35, ttmp6, 0x40004
	s_add_co_i32 s29, s29, s30
	s_add_co_i32 s35, s35, s34
	s_cmp_eq_u32 s28, 0
	v_dual_lshrrev_b32 v8, 2, v17 :: v_dual_bitop2_b32 v18, 63, v17 bitop3:0x40
	s_cselect_b32 s28, ttmp9, s29
	s_cselect_b32 s30, s33, s35
	s_ashr_i32 s29, s28, 31
	s_lshl_b32 s34, s30, 6
	s_mov_b32 s35, s3
	s_clause 0x1
	s_load_b128 s[20:23], s[0:1], 0x78
	s_load_b256 s[12:19], s[0:1], 0x58
	s_lshl_b64 s[36:37], s[28:29], 6
	v_add_nc_u64_e32 v[4:5], s[34:35], v[8:9]
	v_dual_mov_b32 v11, s37 :: v_dual_bitop2_b32 v10, s36, v18 bitop3:0x54
	s_clause 0x1
	s_load_b32 s33, s[0:1], 0x50
	s_load_b96 s[28:30], s[0:1], 0x10
	v_dual_mov_b32 v7, v3 :: v_dual_lshlrev_b32 v36, 2, v6
	v_lshrrev_b32_e32 v19, 6, v17
	s_wait_kmcnt 0x0
	v_mul_u64_e32 v[10:11], s[6:7], v[10:11]
	v_mul_u64_e32 v[12:13], s[24:25], v[4:5]
	v_add_nc_u64_e32 v[4:5], s[34:35], v[2:3]
	v_lshlrev_b32_e32 v2, 2, v0
	v_add_nc_u32_e32 v37, 0x400, v16
	v_add_nc_u64_e32 v[16:17], s[36:37], v[6:7]
	v_dual_mov_b32 v15, v3 :: v_dual_lshlrev_b32 v18, 2, v18
	s_delay_alu instid0(VALU_DEP_4)
	v_and_b32_e32 v14, 12, v2
	v_mul_u64_e32 v[0:1], s[20:21], v[4:5]
	v_mul_u64_e32 v[4:5], s[14:15], v[4:5]
	v_lshlrev_b32_e32 v2, 2, v19
	v_lshl_or_b32 v38, v19, 8, v18
	v_lshl_or_b32 v20, v8, 4, v14
	s_cmp_eq_f32 s33, 0
	v_cmp_gt_i64_e64 s0, s[28:29], 0
	s_delay_alu instid0(VALU_DEP_2)
	v_add_nc_u32_e32 v39, 0x400, v20
	s_cselect_b32 s1, -1, 0
	s_lshl_b64 s[6:7], s[8:9], 2
	s_lshl_b64 s[8:9], s[26:27], 2
	;; [unrolled: 1-line block ×3, first 2 shown]
	v_cndmask_b32_e64 v21, 0, 1, s0
	s_lshl_b64 s[24:25], s[14:15], 4
	s_lshl_b64 s[14:15], s[16:17], 2
	;; [unrolled: 1-line block ×3, first 2 shown]
	s_delay_alu instid0(VALU_DEP_1)
	v_cmp_ne_u32_e64 s0, 1, v21
	v_lshl_add_u64 v[6:7], v[10:11], 2, s[6:7]
	v_lshl_add_u64 v[8:9], v[12:13], 2, s[8:9]
	v_lshlrev_b64_e32 v[10:11], 2, v[16:17]
	s_lshl_b64 s[6:7], s[22:23], 2
	s_lshl_b64 s[8:9], s[20:21], 2
	v_add_nc_u64_e32 v[6:7], v[6:7], v[2:3]
	v_add_nc_u64_e32 v[8:9], v[8:9], v[14:15]
	s_branch .LBB30_3
.LBB30_2:                               ;   in Loop: Header=BB30_3 Depth=1
	s_add_co_i32 s2, s2, 0x10000
	s_delay_alu instid0(SALU_CYCLE_1)
	s_cmp_lt_i32 s2, s31
	s_cbranch_scc0 .LBB30_10
.LBB30_3:                               ; =>This Loop Header: Depth=1
                                        ;     Child Loop BB30_5 Depth 2
	s_wait_xcnt 0x0
	v_dual_mov_b32 v2, s2 :: v_dual_mov_b32 v29, 0
	v_dual_mov_b32 v28, 0 :: v_dual_mov_b32 v27, 0
	;; [unrolled: 1-line block ×3, first 2 shown]
	s_clause 0x1
	global_load_b64 v[20:21], v2, s[12:13] scale_offset
	global_load_b64 v[30:31], v2, s[18:19] scale_offset
	v_dual_mov_b32 v24, 0 :: v_dual_mov_b32 v23, 0
	v_dual_mov_b32 v22, 0 :: v_dual_mov_b32 v19, 0
	;; [unrolled: 1-line block ×5, first 2 shown]
	v_mov_b32_e32 v12, 0
	s_and_b32 vcc_lo, exec_lo, s0
	s_cbranch_vccnz .LBB30_6
; %bb.4:                                ;   in Loop: Header=BB30_3 Depth=1
	s_lshl_b64 s[20:21], s[2:3], 3
	v_mov_b32_e32 v12, 0
	s_add_nc_u64 s[22:23], s[10:11], s[20:21]
	s_add_nc_u64 s[20:21], s[4:5], s[20:21]
	s_clause 0x1
	global_load_b64 v[28:29], v3, s[22:23]
	global_load_b64 v[34:35], v3, s[20:21]
	s_wait_xcnt 0x0
	s_mov_b64 s[20:21], 0
	v_dual_mov_b32 v13, v12 :: v_dual_mov_b32 v14, v12
	v_dual_mov_b32 v15, v12 :: v_dual_mov_b32 v16, v12
	;; [unrolled: 1-line block ×6, first 2 shown]
	v_mov_b32_e32 v27, v12
	s_wait_loadcnt 0x1
	v_add_nc_u64_e32 v[32:33], v[28:29], v[8:9]
	s_wait_loadcnt 0x0
	v_add_nc_u64_e32 v[34:35], v[34:35], v[6:7]
	v_dual_mov_b32 v28, v12 :: v_dual_mov_b32 v29, v12
.LBB30_5:                               ;   Parent Loop BB30_3 Depth=1
                                        ; =>  This Inner Loop Header: Depth=2
	flat_load_b32 v2, v[34:35]
	s_add_nc_u64 s[20:21], s[20:21], 4
	s_wait_xcnt 0x0
	v_add_nc_u64_e32 v[34:35], 16, v[34:35]
	v_cmp_lt_i64_e64 s22, s[20:21], s[28:29]
	s_and_b32 vcc_lo, exec_lo, s22
	s_wait_loadcnt_dscnt 0x0
	ds_store_b32 v38, v2
	flat_load_b32 v2, v[32:33]
	s_wait_xcnt 0x0
	v_add_nc_u64_e32 v[32:33], 16, v[32:33]
	s_wait_loadcnt_dscnt 0x0
	ds_store_b32 v39, v2
	s_wait_dscnt 0x0
	s_barrier_signal -1
	s_barrier_wait -1
	ds_load_2addr_b32 v[56:57], v36 offset1:16
	ds_load_2addr_b32 v[58:59], v36 offset0:64 offset1:80
	ds_load_2addr_b32 v[60:61], v36 offset0:128 offset1:144
	;; [unrolled: 1-line block ×6, first 2 shown]
	ds_load_b128 v[40:43], v37
	ds_load_b128 v[44:47], v37 offset:256
	ds_load_2addr_b32 v[70:71], v36 offset0:224 offset1:240
	ds_load_b128 v[48:51], v37 offset:512
	ds_load_b128 v[52:55], v37 offset:768
	s_wait_dscnt 0x0
	s_barrier_signal -1
	s_barrier_wait -1
	v_dual_mov_b32 v72, v57 :: v_dual_mov_b32 v73, v56
	v_dual_mov_b32 v56, v59 :: v_dual_mov_b32 v57, v58
	;; [unrolled: 1-line block ×6, first 2 shown]
	v_pk_fma_f32 v[28:29], v[72:73], v[40:41], v[28:29] op_sel_hi:[1,0,1]
	v_pk_fma_f32 v[24:25], v[72:73], v[44:45], v[24:25] op_sel_hi:[1,0,1]
	s_delay_alu instid0(VALU_DEP_4)
	v_pk_fma_f32 v[26:27], v[62:63], v[40:41], v[26:27] op_sel_hi:[1,0,1]
	v_pk_fma_f32 v[18:19], v[72:73], v[48:49], v[18:19] op_sel_hi:[1,0,1]
	;; [unrolled: 1-line block ×6, first 2 shown]
	v_dual_mov_b32 v66, v69 :: v_dual_mov_b32 v67, v68
	v_pk_fma_f32 v[28:29], v[56:57], v[40:41], v[28:29] op_sel:[0,1,0]
	v_pk_fma_f32 v[26:27], v[64:65], v[40:41], v[26:27] op_sel:[0,1,0]
	;; [unrolled: 1-line block ×8, first 2 shown]
	v_dual_mov_b32 v2, v43 :: v_dual_mov_b32 v68, v71
	v_dual_mov_b32 v69, v70 :: v_dual_mov_b32 v70, v47
	;; [unrolled: 1-line block ×3, first 2 shown]
	v_pk_fma_f32 v[28:29], v[58:59], v[42:43], v[28:29] op_sel_hi:[1,0,1]
	v_pk_fma_f32 v[26:27], v[66:67], v[42:43], v[26:27] op_sel_hi:[1,0,1]
	v_pk_fma_f32 v[24:25], v[58:59], v[46:47], v[24:25] op_sel_hi:[1,0,1]
	v_pk_fma_f32 v[22:23], v[66:67], v[46:47], v[22:23] op_sel_hi:[1,0,1]
	v_pk_fma_f32 v[18:19], v[58:59], v[50:51], v[18:19] op_sel_hi:[1,0,1]
	v_pk_fma_f32 v[16:17], v[66:67], v[50:51], v[16:17] op_sel_hi:[1,0,1]
	v_pk_fma_f32 v[14:15], v[58:59], v[54:55], v[14:15] op_sel_hi:[1,0,1]
	v_pk_fma_f32 v[12:13], v[66:67], v[54:55], v[12:13] op_sel_hi:[1,0,1]
	v_pk_fma_f32 v[28:29], v[60:61], v[2:3], v[28:29] op_sel_hi:[1,0,1]
	v_pk_fma_f32 v[26:27], v[68:69], v[2:3], v[26:27] op_sel_hi:[1,0,1]
	v_pk_fma_f32 v[24:25], v[60:61], v[70:71], v[24:25] op_sel_hi:[1,0,1]
	v_pk_fma_f32 v[22:23], v[68:69], v[70:71], v[22:23] op_sel_hi:[1,0,1]
	v_pk_fma_f32 v[18:19], v[60:61], v[74:75], v[18:19] op_sel_hi:[1,0,1]
	v_pk_fma_f32 v[16:17], v[68:69], v[74:75], v[16:17] op_sel_hi:[1,0,1]
	v_pk_fma_f32 v[14:15], v[60:61], v[76:77], v[14:15] op_sel_hi:[1,0,1]
	v_pk_fma_f32 v[12:13], v[68:69], v[76:77], v[12:13] op_sel_hi:[1,0,1]
	s_cbranch_vccnz .LBB30_5
.LBB30_6:                               ;   in Loop: Header=BB30_3 Depth=1
	s_wait_loadcnt 0x0
	v_add_nc_u64_e32 v[30:31], s[6:7], v[30:31]
	s_and_not1_b32 vcc_lo, exec_lo, s1
	s_delay_alu instid0(VALU_DEP_1) | instskip(NEXT) | instid1(VALU_DEP_1)
	v_lshl_add_u64 v[30:31], v[0:1], 2, v[30:31]
	v_add_nc_u64_e32 v[32:33], v[30:31], v[10:11]
	v_add_nc_u64_e32 v[30:31], s[8:9], v[30:31]
	s_cbranch_vccnz .LBB30_8
; %bb.7:                                ;   in Loop: Header=BB30_3 Depth=1
	s_wait_xcnt 0x0
	v_dual_mul_f32 v2, s30, v29 :: v_dual_mul_f32 v40, s30, v28
	s_delay_alu instid0(VALU_DEP_2)
	v_add_nc_u64_e32 v[34:35], s[8:9], v[30:31]
	v_dual_mul_f32 v41, s30, v27 :: v_dual_mul_f32 v42, s30, v26
	s_clause 0x3
	flat_store_b32 v[32:33], v2
	flat_store_b32 v[32:33], v40 offset:64
	flat_store_b32 v[32:33], v41 offset:128
	;; [unrolled: 1-line block ×3, first 2 shown]
	s_wait_xcnt 0x1
	v_add_nc_u64_e32 v[40:41], v[30:31], v[10:11]
	v_dual_mul_f32 v2, s30, v25 :: v_dual_mul_f32 v44, s30, v24
	s_wait_xcnt 0x0
	v_add_nc_u64_e32 v[42:43], v[34:35], v[10:11]
	v_add_nc_u64_e32 v[34:35], s[8:9], v[34:35]
	v_dual_mul_f32 v45, s30, v23 :: v_dual_mul_f32 v46, s30, v22
	s_clause 0x3
	flat_store_b32 v[40:41], v2
	flat_store_b32 v[40:41], v44 offset:64
	flat_store_b32 v[40:41], v45 offset:128
	;; [unrolled: 1-line block ×3, first 2 shown]
	s_wait_xcnt 0x0
	v_dual_mul_f32 v2, s30, v19 :: v_dual_mul_f32 v40, s30, v18
	v_dual_mul_f32 v41, s30, v17 :: v_dual_mul_f32 v44, s30, v16
	v_add_nc_u64_e32 v[34:35], v[34:35], v[10:11]
	s_clause 0x3
	flat_store_b32 v[42:43], v2
	flat_store_b32 v[42:43], v40 offset:64
	flat_store_b32 v[42:43], v41 offset:128
	;; [unrolled: 1-line block ×3, first 2 shown]
	s_wait_xcnt 0x2
	v_dual_mul_f32 v2, s30, v15 :: v_dual_mul_f32 v40, s30, v14
	s_wait_xcnt 0x0
	v_dual_mul_f32 v41, s30, v13 :: v_dual_mul_f32 v42, s30, v12
	s_clause 0x3
	flat_store_b32 v[34:35], v2
	flat_store_b32 v[34:35], v40 offset:64
	flat_store_b32 v[34:35], v41 offset:128
	;; [unrolled: 1-line block ×3, first 2 shown]
	s_cbranch_execnz .LBB30_2
	s_branch .LBB30_9
.LBB30_8:                               ;   in Loop: Header=BB30_3 Depth=1
.LBB30_9:                               ;   in Loop: Header=BB30_3 Depth=1
	v_add_nc_u64_e32 v[20:21], s[14:15], v[20:21]
	s_delay_alu instid0(VALU_DEP_1) | instskip(SKIP_1) | instid1(VALU_DEP_1)
	v_lshl_add_u64 v[20:21], v[4:5], 2, v[20:21]
	s_wait_xcnt 0x0
	v_add_nc_u64_e32 v[34:35], v[20:21], v[10:11]
	v_add_nc_u64_e32 v[20:21], s[16:17], v[20:21]
	flat_load_b32 v2, v[34:35]
	s_wait_loadcnt_dscnt 0x0
	v_mul_f32_e32 v2, s33, v2
	s_delay_alu instid0(VALU_DEP_1) | instskip(SKIP_4) | instid1(VALU_DEP_1)
	v_fmac_f32_e32 v2, s30, v29
	flat_store_b32 v[32:33], v2
	flat_load_b32 v2, v[34:35] offset:64
	s_wait_loadcnt_dscnt 0x0
	v_mul_f32_e32 v2, s33, v2
	v_fmac_f32_e32 v2, s30, v28
	v_add_nc_u64_e32 v[28:29], v[20:21], v[10:11]
	v_add_nc_u64_e32 v[20:21], s[16:17], v[20:21]
	flat_store_b32 v[32:33], v2 offset:64
	flat_load_b32 v2, v[34:35] offset:128
	s_wait_loadcnt_dscnt 0x0
	v_mul_f32_e32 v2, s33, v2
	s_delay_alu instid0(VALU_DEP_1) | instskip(SKIP_4) | instid1(VALU_DEP_1)
	v_fmac_f32_e32 v2, s30, v27
	flat_store_b32 v[32:33], v2 offset:128
	flat_load_b32 v2, v[34:35] offset:192
	s_wait_loadcnt_dscnt 0x0
	v_mul_f32_e32 v2, s33, v2
	v_fmac_f32_e32 v2, s30, v26
	v_add_nc_u64_e32 v[26:27], v[30:31], v[10:11]
	flat_store_b32 v[32:33], v2 offset:192
	flat_load_b32 v2, v[28:29]
	s_wait_loadcnt_dscnt 0x0
	v_mul_f32_e32 v2, s33, v2
	s_delay_alu instid0(VALU_DEP_1) | instskip(SKIP_4) | instid1(VALU_DEP_1)
	v_fmac_f32_e32 v2, s30, v25
	flat_store_b32 v[26:27], v2
	flat_load_b32 v2, v[28:29] offset:64
	s_wait_loadcnt_dscnt 0x0
	v_mul_f32_e32 v2, s33, v2
	v_fmac_f32_e32 v2, s30, v24
	v_add_nc_u64_e32 v[24:25], v[20:21], v[10:11]
	flat_store_b32 v[26:27], v2 offset:64
	flat_load_b32 v2, v[28:29] offset:128
	s_wait_loadcnt_dscnt 0x0
	v_mul_f32_e32 v2, s33, v2
	s_delay_alu instid0(VALU_DEP_1) | instskip(SKIP_4) | instid1(VALU_DEP_1)
	v_fmac_f32_e32 v2, s30, v23
	flat_store_b32 v[26:27], v2 offset:128
	flat_load_b32 v2, v[28:29] offset:192
	s_wait_loadcnt_dscnt 0x0
	v_mul_f32_e32 v2, s33, v2
	v_fmac_f32_e32 v2, s30, v22
	v_add_nc_u64_e32 v[22:23], s[8:9], v[30:31]
	flat_store_b32 v[26:27], v2 offset:192
	flat_load_b32 v2, v[24:25]
	v_add_nc_u64_e32 v[26:27], v[22:23], v[10:11]
	s_wait_loadcnt_dscnt 0x0
	v_mul_f32_e32 v2, s33, v2
	s_delay_alu instid0(VALU_DEP_1) | instskip(SKIP_4) | instid1(VALU_DEP_1)
	v_fmac_f32_e32 v2, s30, v19
	flat_store_b32 v[26:27], v2
	flat_load_b32 v2, v[24:25] offset:64
	s_wait_loadcnt_dscnt 0x0
	v_mul_f32_e32 v2, s33, v2
	v_fmac_f32_e32 v2, s30, v18
	v_add_nc_u64_e32 v[18:19], s[16:17], v[20:21]
	flat_store_b32 v[26:27], v2 offset:64
	flat_load_b32 v2, v[24:25] offset:128
	v_add_nc_u64_e32 v[18:19], v[18:19], v[10:11]
	s_wait_loadcnt_dscnt 0x0
	v_mul_f32_e32 v2, s33, v2
	s_delay_alu instid0(VALU_DEP_1) | instskip(SKIP_4) | instid1(VALU_DEP_1)
	v_fmac_f32_e32 v2, s30, v17
	flat_store_b32 v[26:27], v2 offset:128
	flat_load_b32 v2, v[24:25] offset:192
	s_wait_loadcnt_dscnt 0x0
	v_mul_f32_e32 v2, s33, v2
	v_fmac_f32_e32 v2, s30, v16
	v_add_nc_u64_e32 v[16:17], s[8:9], v[22:23]
	flat_store_b32 v[26:27], v2 offset:192
	flat_load_b32 v2, v[18:19]
	v_add_nc_u64_e32 v[16:17], v[16:17], v[10:11]
	s_wait_loadcnt_dscnt 0x0
	v_mul_f32_e32 v2, s33, v2
	s_delay_alu instid0(VALU_DEP_1) | instskip(SKIP_4) | instid1(VALU_DEP_1)
	v_fmac_f32_e32 v2, s30, v15
	flat_store_b32 v[16:17], v2
	flat_load_b32 v2, v[18:19] offset:64
	s_wait_loadcnt_dscnt 0x0
	v_mul_f32_e32 v2, s33, v2
	v_fmac_f32_e32 v2, s30, v14
	flat_store_b32 v[16:17], v2 offset:64
	flat_load_b32 v2, v[18:19] offset:128
	s_wait_loadcnt_dscnt 0x0
	v_mul_f32_e32 v2, s33, v2
	s_delay_alu instid0(VALU_DEP_1) | instskip(SKIP_4) | instid1(VALU_DEP_1)
	v_fmac_f32_e32 v2, s30, v13
	flat_store_b32 v[16:17], v2 offset:128
	flat_load_b32 v2, v[18:19] offset:192
	s_wait_loadcnt_dscnt 0x0
	v_mul_f32_e32 v2, s33, v2
	v_fmac_f32_e32 v2, s30, v12
	flat_store_b32 v[16:17], v2 offset:192
	s_branch .LBB30_2
.LBB30_10:
	s_sendmsg sendmsg(MSG_DEALLOC_VGPRS)
	s_endpgm
	.section	.rodata,"a",@progbits
	.p2align	6, 0x0
	.amdhsa_kernel _ZN12_GLOBAL__N_127rocblas_gemm_batched_kernelIfLi16ELi16ELi64ELi64ELi4ELi64ELi4ELi4ELi64ELc84ELc78EKPKfS3_KPfEEvlllT_PT11_llS8_llS6_PT12_llPT13_lli
		.amdhsa_group_segment_fixed_size 2048
		.amdhsa_private_segment_fixed_size 0
		.amdhsa_kernarg_size 140
		.amdhsa_user_sgpr_count 2
		.amdhsa_user_sgpr_dispatch_ptr 0
		.amdhsa_user_sgpr_queue_ptr 0
		.amdhsa_user_sgpr_kernarg_segment_ptr 1
		.amdhsa_user_sgpr_dispatch_id 0
		.amdhsa_user_sgpr_kernarg_preload_length 0
		.amdhsa_user_sgpr_kernarg_preload_offset 0
		.amdhsa_user_sgpr_private_segment_size 0
		.amdhsa_wavefront_size32 1
		.amdhsa_uses_dynamic_stack 0
		.amdhsa_enable_private_segment 0
		.amdhsa_system_sgpr_workgroup_id_x 1
		.amdhsa_system_sgpr_workgroup_id_y 1
		.amdhsa_system_sgpr_workgroup_id_z 1
		.amdhsa_system_sgpr_workgroup_info 0
		.amdhsa_system_vgpr_workitem_id 1
		.amdhsa_next_free_vgpr 78
		.amdhsa_next_free_sgpr 38
		.amdhsa_named_barrier_count 0
		.amdhsa_reserve_vcc 1
		.amdhsa_float_round_mode_32 0
		.amdhsa_float_round_mode_16_64 0
		.amdhsa_float_denorm_mode_32 3
		.amdhsa_float_denorm_mode_16_64 3
		.amdhsa_fp16_overflow 0
		.amdhsa_memory_ordered 1
		.amdhsa_forward_progress 1
		.amdhsa_inst_pref_size 19
		.amdhsa_round_robin_scheduling 0
		.amdhsa_exception_fp_ieee_invalid_op 0
		.amdhsa_exception_fp_denorm_src 0
		.amdhsa_exception_fp_ieee_div_zero 0
		.amdhsa_exception_fp_ieee_overflow 0
		.amdhsa_exception_fp_ieee_underflow 0
		.amdhsa_exception_fp_ieee_inexact 0
		.amdhsa_exception_int_div_zero 0
	.end_amdhsa_kernel
	.section	.text._ZN12_GLOBAL__N_127rocblas_gemm_batched_kernelIfLi16ELi16ELi64ELi64ELi4ELi64ELi4ELi4ELi64ELc84ELc78EKPKfS3_KPfEEvlllT_PT11_llS8_llS6_PT12_llPT13_lli,"axG",@progbits,_ZN12_GLOBAL__N_127rocblas_gemm_batched_kernelIfLi16ELi16ELi64ELi64ELi4ELi64ELi4ELi4ELi64ELc84ELc78EKPKfS3_KPfEEvlllT_PT11_llS8_llS6_PT12_llPT13_lli,comdat
.Lfunc_end30:
	.size	_ZN12_GLOBAL__N_127rocblas_gemm_batched_kernelIfLi16ELi16ELi64ELi64ELi4ELi64ELi4ELi4ELi64ELc84ELc78EKPKfS3_KPfEEvlllT_PT11_llS8_llS6_PT12_llPT13_lli, .Lfunc_end30-_ZN12_GLOBAL__N_127rocblas_gemm_batched_kernelIfLi16ELi16ELi64ELi64ELi4ELi64ELi4ELi4ELi64ELc84ELc78EKPKfS3_KPfEEvlllT_PT11_llS8_llS6_PT12_llPT13_lli
                                        ; -- End function
	.set _ZN12_GLOBAL__N_127rocblas_gemm_batched_kernelIfLi16ELi16ELi64ELi64ELi4ELi64ELi4ELi4ELi64ELc84ELc78EKPKfS3_KPfEEvlllT_PT11_llS8_llS6_PT12_llPT13_lli.num_vgpr, 78
	.set _ZN12_GLOBAL__N_127rocblas_gemm_batched_kernelIfLi16ELi16ELi64ELi64ELi4ELi64ELi4ELi4ELi64ELc84ELc78EKPKfS3_KPfEEvlllT_PT11_llS8_llS6_PT12_llPT13_lli.num_agpr, 0
	.set _ZN12_GLOBAL__N_127rocblas_gemm_batched_kernelIfLi16ELi16ELi64ELi64ELi4ELi64ELi4ELi4ELi64ELc84ELc78EKPKfS3_KPfEEvlllT_PT11_llS8_llS6_PT12_llPT13_lli.numbered_sgpr, 38
	.set _ZN12_GLOBAL__N_127rocblas_gemm_batched_kernelIfLi16ELi16ELi64ELi64ELi4ELi64ELi4ELi4ELi64ELc84ELc78EKPKfS3_KPfEEvlllT_PT11_llS8_llS6_PT12_llPT13_lli.num_named_barrier, 0
	.set _ZN12_GLOBAL__N_127rocblas_gemm_batched_kernelIfLi16ELi16ELi64ELi64ELi4ELi64ELi4ELi4ELi64ELc84ELc78EKPKfS3_KPfEEvlllT_PT11_llS8_llS6_PT12_llPT13_lli.private_seg_size, 0
	.set _ZN12_GLOBAL__N_127rocblas_gemm_batched_kernelIfLi16ELi16ELi64ELi64ELi4ELi64ELi4ELi4ELi64ELc84ELc78EKPKfS3_KPfEEvlllT_PT11_llS8_llS6_PT12_llPT13_lli.uses_vcc, 1
	.set _ZN12_GLOBAL__N_127rocblas_gemm_batched_kernelIfLi16ELi16ELi64ELi64ELi4ELi64ELi4ELi4ELi64ELc84ELc78EKPKfS3_KPfEEvlllT_PT11_llS8_llS6_PT12_llPT13_lli.uses_flat_scratch, 1
	.set _ZN12_GLOBAL__N_127rocblas_gemm_batched_kernelIfLi16ELi16ELi64ELi64ELi4ELi64ELi4ELi4ELi64ELc84ELc78EKPKfS3_KPfEEvlllT_PT11_llS8_llS6_PT12_llPT13_lli.has_dyn_sized_stack, 0
	.set _ZN12_GLOBAL__N_127rocblas_gemm_batched_kernelIfLi16ELi16ELi64ELi64ELi4ELi64ELi4ELi4ELi64ELc84ELc78EKPKfS3_KPfEEvlllT_PT11_llS8_llS6_PT12_llPT13_lli.has_recursion, 0
	.set _ZN12_GLOBAL__N_127rocblas_gemm_batched_kernelIfLi16ELi16ELi64ELi64ELi4ELi64ELi4ELi4ELi64ELc84ELc78EKPKfS3_KPfEEvlllT_PT11_llS8_llS6_PT12_llPT13_lli.has_indirect_call, 0
	.section	.AMDGPU.csdata,"",@progbits
; Kernel info:
; codeLenInByte = 2360
; TotalNumSgprs: 40
; NumVgprs: 78
; ScratchSize: 0
; MemoryBound: 0
; FloatMode: 240
; IeeeMode: 1
; LDSByteSize: 2048 bytes/workgroup (compile time only)
; SGPRBlocks: 0
; VGPRBlocks: 4
; NumSGPRsForWavesPerEU: 40
; NumVGPRsForWavesPerEU: 78
; NamedBarCnt: 0
; Occupancy: 12
; WaveLimiterHint : 1
; COMPUTE_PGM_RSRC2:SCRATCH_EN: 0
; COMPUTE_PGM_RSRC2:USER_SGPR: 2
; COMPUTE_PGM_RSRC2:TRAP_HANDLER: 0
; COMPUTE_PGM_RSRC2:TGID_X_EN: 1
; COMPUTE_PGM_RSRC2:TGID_Y_EN: 1
; COMPUTE_PGM_RSRC2:TGID_Z_EN: 1
; COMPUTE_PGM_RSRC2:TIDIG_COMP_CNT: 1
	.section	.text._ZN12_GLOBAL__N_127rocblas_gemm_batched_kernelIfLi16ELi16ELi64ELi64ELi4ELi64ELi4ELi4ELi64ELc78ELc84EKPKfS3_KPfEEvlllT_PT11_llS8_llS6_PT12_llPT13_lli,"axG",@progbits,_ZN12_GLOBAL__N_127rocblas_gemm_batched_kernelIfLi16ELi16ELi64ELi64ELi4ELi64ELi4ELi4ELi64ELc78ELc84EKPKfS3_KPfEEvlllT_PT11_llS8_llS6_PT12_llPT13_lli,comdat
	.globl	_ZN12_GLOBAL__N_127rocblas_gemm_batched_kernelIfLi16ELi16ELi64ELi64ELi4ELi64ELi4ELi4ELi64ELc78ELc84EKPKfS3_KPfEEvlllT_PT11_llS8_llS6_PT12_llPT13_lli ; -- Begin function _ZN12_GLOBAL__N_127rocblas_gemm_batched_kernelIfLi16ELi16ELi64ELi64ELi4ELi64ELi4ELi4ELi64ELc78ELc84EKPKfS3_KPfEEvlllT_PT11_llS8_llS6_PT12_llPT13_lli
	.p2align	8
	.type	_ZN12_GLOBAL__N_127rocblas_gemm_batched_kernelIfLi16ELi16ELi64ELi64ELi4ELi64ELi4ELi4ELi64ELc78ELc84EKPKfS3_KPfEEvlllT_PT11_llS8_llS6_PT12_llPT13_lli,@function
_ZN12_GLOBAL__N_127rocblas_gemm_batched_kernelIfLi16ELi16ELi64ELi64ELi4ELi64ELi4ELi4ELi64ELc78ELc84EKPKfS3_KPfEEvlllT_PT11_llS8_llS6_PT12_llPT13_lli: ; @_ZN12_GLOBAL__N_127rocblas_gemm_batched_kernelIfLi16ELi16ELi64ELi64ELi4ELi64ELi4ELi4ELi64ELc78ELc84EKPKfS3_KPfEEvlllT_PT11_llS8_llS6_PT12_llPT13_lli
; %bb.0:
	s_load_b32 s31, s[0:1], 0x88
	s_bfe_u32 s2, ttmp6, 0x40014
	s_lshr_b32 s3, ttmp7, 16
	s_add_co_i32 s2, s2, 1
	s_bfe_u32 s4, ttmp6, 0x40008
	s_mul_i32 s2, s3, s2
	s_getreg_b32 s28, hwreg(HW_REG_IB_STS2, 6, 4)
	s_add_co_i32 s4, s4, s2
	s_cmp_eq_u32 s28, 0
	s_cselect_b32 s2, s3, s4
	s_mov_b32 s3, 0
	s_wait_kmcnt 0x0
	s_cmp_ge_i32 s2, s31
	s_cbranch_scc1 .LBB31_10
; %bb.1:
	v_bfe_u32 v2, v0, 10, 10
	s_clause 0x2
	s_load_b256 s[4:11], s[0:1], 0x20
	s_load_b128 s[24:27], s[0:1], 0x40
	s_load_b32 s33, s[0:1], 0x50
	v_and_b32_e32 v6, 0x3ff, v0
	s_bfe_u32 s29, ttmp6, 0x4000c
	s_bfe_u32 s34, ttmp6, 0x40010
	v_dual_mov_b32 v3, 0 :: v_dual_lshlrev_b32 v16, 4, v2
	s_add_co_i32 s29, s29, 1
	s_and_b32 s35, ttmp7, 0xffff
	s_add_co_i32 s34, s34, 1
	s_and_b32 s30, ttmp6, 15
	s_mul_i32 s29, ttmp9, s29
	s_mul_i32 s34, s35, s34
	s_bfe_u32 s36, ttmp6, 0x40004
	v_dual_add_nc_u32 v1, v16, v6 :: v_dual_bitop2_b32 v0, 3, v0 bitop3:0x40
	s_clause 0x1
	s_load_b128 s[20:23], s[0:1], 0x78
	s_load_b256 s[12:19], s[0:1], 0x58
	s_add_co_i32 s30, s30, s29
	s_add_co_i32 s36, s36, s34
	s_cmp_eq_u32 s28, 0
	v_dual_mov_b32 v9, v3 :: v_dual_lshrrev_b32 v8, 2, v1
	s_cselect_b32 s28, ttmp9, s30
	v_dual_lshrrev_b32 v17, 6, v1 :: v_dual_bitop2_b32 v14, 63, v1 bitop3:0x40
	s_cselect_b32 s30, s35, s36
	s_ashr_i32 s29, s28, 31
	s_wait_kmcnt 0x0
	v_mad_nc_u64_u32 v[10:11], s24, v0, v[8:9]
	s_lshl_b64 s[34:35], s[28:29], 6
	s_lshl_b32 s36, s30, 6
	v_mad_nc_u64_u32 v[12:13], s6, v17, s[34:35]
	s_mov_b32 s37, s3
	s_load_b96 s[28:30], s[0:1], 0x10
	v_add_nc_u64_e32 v[4:5], s[36:37], v[2:3]
	v_dual_lshlrev_b32 v2, 2, v0 :: v_dual_lshlrev_b32 v18, 2, v14
	v_dual_mov_b32 v15, v3 :: v_dual_mov_b32 v7, v3
	v_mad_u32 v11, s25, v0, v11
	s_delay_alu instid0(VALU_DEP_3)
	v_lshl_or_b32 v19, v8, 4, v2
	v_mul_u64_e32 v[0:1], s[20:21], v[4:5]
	v_mad_u32 v13, s7, v17, v13
	v_mul_u64_e32 v[4:5], s[14:15], v[4:5]
	s_cmp_eq_f32 s33, 0
	v_lshlrev_b32_e32 v37, 2, v6
	v_lshl_or_b32 v2, v17, 8, v18
	v_add_nc_u32_e32 v36, 0x400, v19
	v_add_nc_u32_e32 v38, 0x400, v16
	s_wait_xcnt 0x0
	s_cselect_b32 s1, -1, 0
	v_add_nc_u64_e32 v[8:9], s[36:37], v[10:11]
	s_lshl_b64 s[20:21], s[20:21], 4
	s_lshl_b64 s[6:7], s[6:7], 4
	v_add_nc_u64_e32 v[10:11], v[12:13], v[14:15]
	s_wait_kmcnt 0x0
	v_cmp_gt_i64_e64 s0, s[28:29], 0
	v_add_nc_u64_e32 v[12:13], s[34:35], v[6:7]
	s_lshl_b64 s[34:35], s[14:15], 4
	v_lshlrev_b64_e32 v[8:9], 2, v[8:9]
	s_lshl_b64 s[14:15], s[24:25], 4
	s_lshl_b64 s[20:21], s[20:21], 2
	v_lshlrev_b64_e32 v[10:11], 2, v[10:11]
	v_cndmask_b32_e64 v14, 0, 1, s0
	s_lshl_b64 s[16:17], s[16:17], 2
	s_delay_alu instid0(VALU_DEP_3) | instskip(NEXT) | instid1(VALU_DEP_2)
	v_lshl_add_u64 v[6:7], s[26:27], 2, v[8:9]
	v_cmp_ne_u32_e64 s0, 1, v14
	s_delay_alu instid0(VALU_DEP_4)
	v_lshl_add_u64 v[8:9], s[8:9], 2, v[10:11]
	v_lshlrev_b64_e32 v[10:11], 2, v[12:13]
	s_lshl_b64 s[8:9], s[22:23], 2
	s_lshl_b64 s[22:23], s[34:35], 2
	s_branch .LBB31_3
.LBB31_2:                               ;   in Loop: Header=BB31_3 Depth=1
	s_add_co_i32 s2, s2, 0x10000
	s_delay_alu instid0(SALU_CYCLE_1)
	s_cmp_lt_i32 s2, s31
	s_cbranch_scc0 .LBB31_10
.LBB31_3:                               ; =>This Loop Header: Depth=1
                                        ;     Child Loop BB31_5 Depth 2
	v_dual_mov_b32 v12, s2 :: v_dual_mov_b32 v29, 0
	v_dual_mov_b32 v28, 0 :: v_dual_mov_b32 v27, 0
	v_dual_mov_b32 v26, 0 :: v_dual_mov_b32 v25, 0
	s_clause 0x1
	global_load_b64 v[20:21], v12, s[12:13] scale_offset
	global_load_b64 v[30:31], v12, s[18:19] scale_offset
	v_dual_mov_b32 v24, 0 :: v_dual_mov_b32 v23, 0
	s_wait_xcnt 0x3
	v_dual_mov_b32 v22, 0 :: v_dual_mov_b32 v19, 0
	s_wait_xcnt 0x2
	v_dual_mov_b32 v18, 0 :: v_dual_mov_b32 v17, 0
	v_dual_mov_b32 v16, 0 :: v_dual_mov_b32 v15, 0
	;; [unrolled: 1-line block ×3, first 2 shown]
	s_wait_xcnt 0x0
	v_mov_b32_e32 v12, 0
	s_and_b32 vcc_lo, exec_lo, s0
	s_cbranch_vccnz .LBB31_6
; %bb.4:                                ;   in Loop: Header=BB31_3 Depth=1
	s_lshl_b64 s[24:25], s[2:3], 3
	v_mov_b32_e32 v12, 0
	s_add_nc_u64 s[26:27], s[10:11], s[24:25]
	s_add_nc_u64 s[24:25], s[4:5], s[24:25]
	s_clause 0x1
	global_load_b64 v[28:29], v3, s[26:27]
	global_load_b64 v[34:35], v3, s[24:25]
	s_wait_xcnt 0x0
	s_mov_b64 s[24:25], 0
	v_dual_mov_b32 v13, v12 :: v_dual_mov_b32 v14, v12
	v_dual_mov_b32 v15, v12 :: v_dual_mov_b32 v16, v12
	;; [unrolled: 1-line block ×6, first 2 shown]
	v_mov_b32_e32 v27, v12
	s_wait_loadcnt 0x1
	v_add_nc_u64_e32 v[32:33], v[28:29], v[6:7]
	s_wait_loadcnt 0x0
	v_add_nc_u64_e32 v[34:35], v[34:35], v[8:9]
	v_dual_mov_b32 v28, v12 :: v_dual_mov_b32 v29, v12
.LBB31_5:                               ;   Parent Loop BB31_3 Depth=1
                                        ; =>  This Inner Loop Header: Depth=2
	flat_load_b32 v39, v[34:35]
	s_add_nc_u64 s[24:25], s[24:25], 4
	s_wait_xcnt 0x0
	v_add_nc_u64_e32 v[34:35], s[6:7], v[34:35]
	v_cmp_lt_i64_e64 s26, s[24:25], s[28:29]
	s_and_b32 vcc_lo, exec_lo, s26
	s_wait_loadcnt_dscnt 0x0
	ds_store_b32 v2, v39
	flat_load_b32 v39, v[32:33]
	s_wait_xcnt 0x0
	v_add_nc_u64_e32 v[32:33], s[14:15], v[32:33]
	s_wait_loadcnt_dscnt 0x0
	ds_store_b32 v36, v39
	s_wait_dscnt 0x0
	s_barrier_signal -1
	s_barrier_wait -1
	ds_load_2addr_b32 v[56:57], v37 offset1:16
	ds_load_2addr_b32 v[58:59], v37 offset0:64 offset1:80
	ds_load_2addr_b32 v[60:61], v37 offset0:128 offset1:144
	ds_load_2addr_b32 v[62:63], v37 offset0:192 offset1:208
	ds_load_2addr_b32 v[64:65], v37 offset0:32 offset1:48
	ds_load_2addr_b32 v[66:67], v37 offset0:96 offset1:112
	ds_load_2addr_b32 v[68:69], v37 offset0:160 offset1:176
	ds_load_b128 v[40:43], v38
	ds_load_b128 v[44:47], v38 offset:256
	ds_load_2addr_b32 v[70:71], v37 offset0:224 offset1:240
	ds_load_b128 v[48:51], v38 offset:512
	ds_load_b128 v[52:55], v38 offset:768
	s_wait_dscnt 0x0
	s_barrier_signal -1
	s_barrier_wait -1
	v_dual_mov_b32 v72, v57 :: v_dual_mov_b32 v73, v56
	v_dual_mov_b32 v56, v59 :: v_dual_mov_b32 v57, v58
	;; [unrolled: 1-line block ×6, first 2 shown]
	v_pk_fma_f32 v[28:29], v[72:73], v[40:41], v[28:29] op_sel_hi:[1,0,1]
	v_pk_fma_f32 v[24:25], v[72:73], v[44:45], v[24:25] op_sel_hi:[1,0,1]
	s_delay_alu instid0(VALU_DEP_4)
	v_pk_fma_f32 v[26:27], v[62:63], v[40:41], v[26:27] op_sel_hi:[1,0,1]
	v_pk_fma_f32 v[18:19], v[72:73], v[48:49], v[18:19] op_sel_hi:[1,0,1]
	;; [unrolled: 1-line block ×6, first 2 shown]
	v_dual_mov_b32 v66, v69 :: v_dual_mov_b32 v67, v68
	v_pk_fma_f32 v[28:29], v[56:57], v[40:41], v[28:29] op_sel:[0,1,0]
	v_pk_fma_f32 v[26:27], v[64:65], v[40:41], v[26:27] op_sel:[0,1,0]
	;; [unrolled: 1-line block ×8, first 2 shown]
	v_dual_mov_b32 v68, v43 :: v_dual_mov_b32 v74, v71
	v_dual_mov_b32 v75, v70 :: v_dual_mov_b32 v70, v47
	;; [unrolled: 1-line block ×3, first 2 shown]
	v_pk_fma_f32 v[28:29], v[58:59], v[42:43], v[28:29] op_sel_hi:[1,0,1]
	v_pk_fma_f32 v[26:27], v[66:67], v[42:43], v[26:27] op_sel_hi:[1,0,1]
	;; [unrolled: 1-line block ×16, first 2 shown]
	s_cbranch_vccnz .LBB31_5
.LBB31_6:                               ;   in Loop: Header=BB31_3 Depth=1
	s_wait_loadcnt 0x0
	v_add_nc_u64_e32 v[30:31], s[8:9], v[30:31]
	s_and_not1_b32 vcc_lo, exec_lo, s1
	s_delay_alu instid0(VALU_DEP_1) | instskip(NEXT) | instid1(VALU_DEP_1)
	v_lshl_add_u64 v[30:31], v[0:1], 2, v[30:31]
	v_add_nc_u64_e32 v[32:33], v[30:31], v[10:11]
	v_add_nc_u64_e32 v[30:31], s[20:21], v[30:31]
	s_cbranch_vccnz .LBB31_8
; %bb.7:                                ;   in Loop: Header=BB31_3 Depth=1
	v_dual_mul_f32 v39, s30, v29 :: v_dual_mul_f32 v40, s30, v28
	s_delay_alu instid0(VALU_DEP_2)
	v_add_nc_u64_e32 v[34:35], s[20:21], v[30:31]
	v_dual_mul_f32 v41, s30, v27 :: v_dual_mul_f32 v42, s30, v26
	s_clause 0x3
	flat_store_b32 v[32:33], v39
	flat_store_b32 v[32:33], v40 offset:64
	flat_store_b32 v[32:33], v41 offset:128
	;; [unrolled: 1-line block ×3, first 2 shown]
	s_wait_xcnt 0x1
	v_add_nc_u64_e32 v[40:41], v[30:31], v[10:11]
	v_dual_mul_f32 v39, s30, v25 :: v_dual_mul_f32 v44, s30, v24
	s_wait_xcnt 0x0
	v_add_nc_u64_e32 v[42:43], v[34:35], v[10:11]
	v_add_nc_u64_e32 v[34:35], s[20:21], v[34:35]
	v_dual_mul_f32 v45, s30, v23 :: v_dual_mul_f32 v46, s30, v22
	s_clause 0x3
	flat_store_b32 v[40:41], v39
	flat_store_b32 v[40:41], v44 offset:64
	flat_store_b32 v[40:41], v45 offset:128
	;; [unrolled: 1-line block ×3, first 2 shown]
	s_wait_xcnt 0x0
	v_dual_mul_f32 v39, s30, v19 :: v_dual_mul_f32 v40, s30, v18
	v_dual_mul_f32 v41, s30, v17 :: v_dual_mul_f32 v44, s30, v16
	v_add_nc_u64_e32 v[34:35], v[34:35], v[10:11]
	s_clause 0x3
	flat_store_b32 v[42:43], v39
	flat_store_b32 v[42:43], v40 offset:64
	flat_store_b32 v[42:43], v41 offset:128
	;; [unrolled: 1-line block ×3, first 2 shown]
	s_wait_xcnt 0x2
	v_dual_mul_f32 v39, s30, v15 :: v_dual_mul_f32 v40, s30, v14
	s_wait_xcnt 0x0
	v_dual_mul_f32 v41, s30, v13 :: v_dual_mul_f32 v42, s30, v12
	s_clause 0x3
	flat_store_b32 v[34:35], v39
	flat_store_b32 v[34:35], v40 offset:64
	flat_store_b32 v[34:35], v41 offset:128
	;; [unrolled: 1-line block ×3, first 2 shown]
	s_cbranch_execnz .LBB31_2
	s_branch .LBB31_9
.LBB31_8:                               ;   in Loop: Header=BB31_3 Depth=1
.LBB31_9:                               ;   in Loop: Header=BB31_3 Depth=1
	v_add_nc_u64_e32 v[20:21], s[16:17], v[20:21]
	s_delay_alu instid0(VALU_DEP_1) | instskip(SKIP_1) | instid1(VALU_DEP_1)
	v_lshl_add_u64 v[20:21], v[4:5], 2, v[20:21]
	s_wait_xcnt 0x0
	v_add_nc_u64_e32 v[34:35], v[20:21], v[10:11]
	v_add_nc_u64_e32 v[20:21], s[22:23], v[20:21]
	flat_load_b32 v39, v[34:35]
	s_wait_loadcnt_dscnt 0x0
	v_mul_f32_e32 v39, s33, v39
	s_delay_alu instid0(VALU_DEP_1) | instskip(SKIP_4) | instid1(VALU_DEP_1)
	v_fmac_f32_e32 v39, s30, v29
	flat_store_b32 v[32:33], v39
	flat_load_b32 v29, v[34:35] offset:64
	s_wait_loadcnt_dscnt 0x0
	v_mul_f32_e32 v29, s33, v29
	v_fmac_f32_e32 v29, s30, v28
	flat_store_b32 v[32:33], v29 offset:64
	flat_load_b32 v28, v[34:35] offset:128
	s_wait_loadcnt_dscnt 0x0
	v_mul_f32_e32 v28, s33, v28
	s_delay_alu instid0(VALU_DEP_1)
	v_fmac_f32_e32 v28, s30, v27
	flat_store_b32 v[32:33], v28 offset:128
	flat_load_b32 v27, v[34:35] offset:192
	s_wait_xcnt 0x1
	v_add_nc_u64_e32 v[28:29], v[20:21], v[10:11]
	v_add_nc_u64_e32 v[20:21], s[22:23], v[20:21]
	s_wait_loadcnt_dscnt 0x0
	v_mul_f32_e32 v27, s33, v27
	s_delay_alu instid0(VALU_DEP_1)
	v_fmac_f32_e32 v27, s30, v26
	flat_store_b32 v[32:33], v27 offset:192
	flat_load_b32 v26, v[28:29]
	s_wait_loadcnt_dscnt 0x0
	s_wait_xcnt 0x1
	v_mul_f32_e32 v32, s33, v26
	v_add_nc_u64_e32 v[26:27], v[30:31], v[10:11]
	s_delay_alu instid0(VALU_DEP_2) | instskip(SKIP_4) | instid1(VALU_DEP_1)
	v_fmac_f32_e32 v32, s30, v25
	flat_store_b32 v[26:27], v32
	flat_load_b32 v25, v[28:29] offset:64
	s_wait_loadcnt_dscnt 0x0
	v_mul_f32_e32 v25, s33, v25
	v_fmac_f32_e32 v25, s30, v24
	flat_store_b32 v[26:27], v25 offset:64
	flat_load_b32 v24, v[28:29] offset:128
	s_wait_loadcnt_dscnt 0x0
	v_mul_f32_e32 v24, s33, v24
	s_delay_alu instid0(VALU_DEP_1)
	v_fmac_f32_e32 v24, s30, v23
	flat_store_b32 v[26:27], v24 offset:128
	flat_load_b32 v23, v[28:29] offset:192
	s_wait_xcnt 0x1
	v_add_nc_u64_e32 v[24:25], v[20:21], v[10:11]
	s_wait_loadcnt_dscnt 0x0
	v_mul_f32_e32 v23, s33, v23
	s_delay_alu instid0(VALU_DEP_1)
	v_fmac_f32_e32 v23, s30, v22
	flat_store_b32 v[26:27], v23 offset:192
	flat_load_b32 v26, v[24:25]
	v_add_nc_u64_e32 v[22:23], s[20:21], v[30:31]
	s_wait_loadcnt_dscnt 0x0
	v_mul_f32_e32 v28, s33, v26
	s_delay_alu instid0(VALU_DEP_2) | instskip(NEXT) | instid1(VALU_DEP_2)
	v_add_nc_u64_e32 v[26:27], v[22:23], v[10:11]
	v_fmac_f32_e32 v28, s30, v19
	flat_store_b32 v[26:27], v28
	flat_load_b32 v19, v[24:25] offset:64
	s_wait_loadcnt_dscnt 0x0
	v_mul_f32_e32 v19, s33, v19
	s_delay_alu instid0(VALU_DEP_1) | instskip(SKIP_4) | instid1(VALU_DEP_1)
	v_fmac_f32_e32 v19, s30, v18
	flat_store_b32 v[26:27], v19 offset:64
	flat_load_b32 v18, v[24:25] offset:128
	s_wait_loadcnt_dscnt 0x0
	v_mul_f32_e32 v18, s33, v18
	v_fmac_f32_e32 v18, s30, v17
	flat_store_b32 v[26:27], v18 offset:128
	flat_load_b32 v17, v[24:25] offset:192
	s_wait_xcnt 0x1
	v_add_nc_u64_e32 v[18:19], s[22:23], v[20:21]
	s_delay_alu instid0(VALU_DEP_1) | instskip(SKIP_2) | instid1(VALU_DEP_1)
	v_add_nc_u64_e32 v[18:19], v[18:19], v[10:11]
	s_wait_loadcnt_dscnt 0x0
	v_mul_f32_e32 v17, s33, v17
	v_fmac_f32_e32 v17, s30, v16
	flat_store_b32 v[26:27], v17 offset:192
	flat_load_b32 v20, v[18:19]
	s_wait_xcnt 0x1
	v_add_nc_u64_e32 v[16:17], s[20:21], v[22:23]
	s_delay_alu instid0(VALU_DEP_1) | instskip(SKIP_2) | instid1(VALU_DEP_1)
	v_add_nc_u64_e32 v[16:17], v[16:17], v[10:11]
	s_wait_loadcnt_dscnt 0x0
	v_mul_f32_e32 v20, s33, v20
	v_fmac_f32_e32 v20, s30, v15
	flat_store_b32 v[16:17], v20
	flat_load_b32 v15, v[18:19] offset:64
	s_wait_loadcnt_dscnt 0x0
	v_mul_f32_e32 v15, s33, v15
	s_delay_alu instid0(VALU_DEP_1) | instskip(SKIP_4) | instid1(VALU_DEP_1)
	v_fmac_f32_e32 v15, s30, v14
	flat_store_b32 v[16:17], v15 offset:64
	flat_load_b32 v14, v[18:19] offset:128
	s_wait_loadcnt_dscnt 0x0
	v_mul_f32_e32 v14, s33, v14
	v_fmac_f32_e32 v14, s30, v13
	flat_store_b32 v[16:17], v14 offset:128
	flat_load_b32 v13, v[18:19] offset:192
	s_wait_loadcnt_dscnt 0x0
	v_mul_f32_e32 v13, s33, v13
	s_delay_alu instid0(VALU_DEP_1)
	v_fmac_f32_e32 v13, s30, v12
	flat_store_b32 v[16:17], v13 offset:192
	s_branch .LBB31_2
.LBB31_10:
	s_sendmsg sendmsg(MSG_DEALLOC_VGPRS)
	s_endpgm
	.section	.rodata,"a",@progbits
	.p2align	6, 0x0
	.amdhsa_kernel _ZN12_GLOBAL__N_127rocblas_gemm_batched_kernelIfLi16ELi16ELi64ELi64ELi4ELi64ELi4ELi4ELi64ELc78ELc84EKPKfS3_KPfEEvlllT_PT11_llS8_llS6_PT12_llPT13_lli
		.amdhsa_group_segment_fixed_size 2048
		.amdhsa_private_segment_fixed_size 0
		.amdhsa_kernarg_size 140
		.amdhsa_user_sgpr_count 2
		.amdhsa_user_sgpr_dispatch_ptr 0
		.amdhsa_user_sgpr_queue_ptr 0
		.amdhsa_user_sgpr_kernarg_segment_ptr 1
		.amdhsa_user_sgpr_dispatch_id 0
		.amdhsa_user_sgpr_kernarg_preload_length 0
		.amdhsa_user_sgpr_kernarg_preload_offset 0
		.amdhsa_user_sgpr_private_segment_size 0
		.amdhsa_wavefront_size32 1
		.amdhsa_uses_dynamic_stack 0
		.amdhsa_enable_private_segment 0
		.amdhsa_system_sgpr_workgroup_id_x 1
		.amdhsa_system_sgpr_workgroup_id_y 1
		.amdhsa_system_sgpr_workgroup_id_z 1
		.amdhsa_system_sgpr_workgroup_info 0
		.amdhsa_system_vgpr_workitem_id 1
		.amdhsa_next_free_vgpr 80
		.amdhsa_next_free_sgpr 38
		.amdhsa_named_barrier_count 0
		.amdhsa_reserve_vcc 1
		.amdhsa_float_round_mode_32 0
		.amdhsa_float_round_mode_16_64 0
		.amdhsa_float_denorm_mode_32 3
		.amdhsa_float_denorm_mode_16_64 3
		.amdhsa_fp16_overflow 0
		.amdhsa_memory_ordered 1
		.amdhsa_forward_progress 1
		.amdhsa_inst_pref_size 19
		.amdhsa_round_robin_scheduling 0
		.amdhsa_exception_fp_ieee_invalid_op 0
		.amdhsa_exception_fp_denorm_src 0
		.amdhsa_exception_fp_ieee_div_zero 0
		.amdhsa_exception_fp_ieee_overflow 0
		.amdhsa_exception_fp_ieee_underflow 0
		.amdhsa_exception_fp_ieee_inexact 0
		.amdhsa_exception_int_div_zero 0
	.end_amdhsa_kernel
	.section	.text._ZN12_GLOBAL__N_127rocblas_gemm_batched_kernelIfLi16ELi16ELi64ELi64ELi4ELi64ELi4ELi4ELi64ELc78ELc84EKPKfS3_KPfEEvlllT_PT11_llS8_llS6_PT12_llPT13_lli,"axG",@progbits,_ZN12_GLOBAL__N_127rocblas_gemm_batched_kernelIfLi16ELi16ELi64ELi64ELi4ELi64ELi4ELi4ELi64ELc78ELc84EKPKfS3_KPfEEvlllT_PT11_llS8_llS6_PT12_llPT13_lli,comdat
.Lfunc_end31:
	.size	_ZN12_GLOBAL__N_127rocblas_gemm_batched_kernelIfLi16ELi16ELi64ELi64ELi4ELi64ELi4ELi4ELi64ELc78ELc84EKPKfS3_KPfEEvlllT_PT11_llS8_llS6_PT12_llPT13_lli, .Lfunc_end31-_ZN12_GLOBAL__N_127rocblas_gemm_batched_kernelIfLi16ELi16ELi64ELi64ELi4ELi64ELi4ELi4ELi64ELc78ELc84EKPKfS3_KPfEEvlllT_PT11_llS8_llS6_PT12_llPT13_lli
                                        ; -- End function
	.set _ZN12_GLOBAL__N_127rocblas_gemm_batched_kernelIfLi16ELi16ELi64ELi64ELi4ELi64ELi4ELi4ELi64ELc78ELc84EKPKfS3_KPfEEvlllT_PT11_llS8_llS6_PT12_llPT13_lli.num_vgpr, 80
	.set _ZN12_GLOBAL__N_127rocblas_gemm_batched_kernelIfLi16ELi16ELi64ELi64ELi4ELi64ELi4ELi4ELi64ELc78ELc84EKPKfS3_KPfEEvlllT_PT11_llS8_llS6_PT12_llPT13_lli.num_agpr, 0
	.set _ZN12_GLOBAL__N_127rocblas_gemm_batched_kernelIfLi16ELi16ELi64ELi64ELi4ELi64ELi4ELi4ELi64ELc78ELc84EKPKfS3_KPfEEvlllT_PT11_llS8_llS6_PT12_llPT13_lli.numbered_sgpr, 38
	.set _ZN12_GLOBAL__N_127rocblas_gemm_batched_kernelIfLi16ELi16ELi64ELi64ELi4ELi64ELi4ELi4ELi64ELc78ELc84EKPKfS3_KPfEEvlllT_PT11_llS8_llS6_PT12_llPT13_lli.num_named_barrier, 0
	.set _ZN12_GLOBAL__N_127rocblas_gemm_batched_kernelIfLi16ELi16ELi64ELi64ELi4ELi64ELi4ELi4ELi64ELc78ELc84EKPKfS3_KPfEEvlllT_PT11_llS8_llS6_PT12_llPT13_lli.private_seg_size, 0
	.set _ZN12_GLOBAL__N_127rocblas_gemm_batched_kernelIfLi16ELi16ELi64ELi64ELi4ELi64ELi4ELi4ELi64ELc78ELc84EKPKfS3_KPfEEvlllT_PT11_llS8_llS6_PT12_llPT13_lli.uses_vcc, 1
	.set _ZN12_GLOBAL__N_127rocblas_gemm_batched_kernelIfLi16ELi16ELi64ELi64ELi4ELi64ELi4ELi4ELi64ELc78ELc84EKPKfS3_KPfEEvlllT_PT11_llS8_llS6_PT12_llPT13_lli.uses_flat_scratch, 1
	.set _ZN12_GLOBAL__N_127rocblas_gemm_batched_kernelIfLi16ELi16ELi64ELi64ELi4ELi64ELi4ELi4ELi64ELc78ELc84EKPKfS3_KPfEEvlllT_PT11_llS8_llS6_PT12_llPT13_lli.has_dyn_sized_stack, 0
	.set _ZN12_GLOBAL__N_127rocblas_gemm_batched_kernelIfLi16ELi16ELi64ELi64ELi4ELi64ELi4ELi4ELi64ELc78ELc84EKPKfS3_KPfEEvlllT_PT11_llS8_llS6_PT12_llPT13_lli.has_recursion, 0
	.set _ZN12_GLOBAL__N_127rocblas_gemm_batched_kernelIfLi16ELi16ELi64ELi64ELi4ELi64ELi4ELi4ELi64ELc78ELc84EKPKfS3_KPfEEvlllT_PT11_llS8_llS6_PT12_llPT13_lli.has_indirect_call, 0
	.section	.AMDGPU.csdata,"",@progbits
; Kernel info:
; codeLenInByte = 2404
; TotalNumSgprs: 40
; NumVgprs: 80
; ScratchSize: 0
; MemoryBound: 0
; FloatMode: 240
; IeeeMode: 1
; LDSByteSize: 2048 bytes/workgroup (compile time only)
; SGPRBlocks: 0
; VGPRBlocks: 4
; NumSGPRsForWavesPerEU: 40
; NumVGPRsForWavesPerEU: 80
; NamedBarCnt: 0
; Occupancy: 12
; WaveLimiterHint : 1
; COMPUTE_PGM_RSRC2:SCRATCH_EN: 0
; COMPUTE_PGM_RSRC2:USER_SGPR: 2
; COMPUTE_PGM_RSRC2:TRAP_HANDLER: 0
; COMPUTE_PGM_RSRC2:TGID_X_EN: 1
; COMPUTE_PGM_RSRC2:TGID_Y_EN: 1
; COMPUTE_PGM_RSRC2:TGID_Z_EN: 1
; COMPUTE_PGM_RSRC2:TIDIG_COMP_CNT: 1
	.section	.text._ZN12_GLOBAL__N_127rocblas_gemm_batched_kernelIfLi16ELi16ELi64ELi64ELi4ELi64ELi4ELi4ELi64ELc84ELc84EKPKfS3_KPfEEvlllT_PT11_llS8_llS6_PT12_llPT13_lli,"axG",@progbits,_ZN12_GLOBAL__N_127rocblas_gemm_batched_kernelIfLi16ELi16ELi64ELi64ELi4ELi64ELi4ELi4ELi64ELc84ELc84EKPKfS3_KPfEEvlllT_PT11_llS8_llS6_PT12_llPT13_lli,comdat
	.globl	_ZN12_GLOBAL__N_127rocblas_gemm_batched_kernelIfLi16ELi16ELi64ELi64ELi4ELi64ELi4ELi4ELi64ELc84ELc84EKPKfS3_KPfEEvlllT_PT11_llS8_llS6_PT12_llPT13_lli ; -- Begin function _ZN12_GLOBAL__N_127rocblas_gemm_batched_kernelIfLi16ELi16ELi64ELi64ELi4ELi64ELi4ELi4ELi64ELc84ELc84EKPKfS3_KPfEEvlllT_PT11_llS8_llS6_PT12_llPT13_lli
	.p2align	8
	.type	_ZN12_GLOBAL__N_127rocblas_gemm_batched_kernelIfLi16ELi16ELi64ELi64ELi4ELi64ELi4ELi4ELi64ELc84ELc84EKPKfS3_KPfEEvlllT_PT11_llS8_llS6_PT12_llPT13_lli,@function
_ZN12_GLOBAL__N_127rocblas_gemm_batched_kernelIfLi16ELi16ELi64ELi64ELi4ELi64ELi4ELi4ELi64ELc84ELc84EKPKfS3_KPfEEvlllT_PT11_llS8_llS6_PT12_llPT13_lli: ; @_ZN12_GLOBAL__N_127rocblas_gemm_batched_kernelIfLi16ELi16ELi64ELi64ELi4ELi64ELi4ELi4ELi64ELc84ELc84EKPKfS3_KPfEEvlllT_PT11_llS8_llS6_PT12_llPT13_lli
; %bb.0:
	s_load_b32 s31, s[0:1], 0x88
	s_bfe_u32 s2, ttmp6, 0x40014
	s_lshr_b32 s3, ttmp7, 16
	s_add_co_i32 s2, s2, 1
	s_bfe_u32 s4, ttmp6, 0x40008
	s_mul_i32 s2, s3, s2
	s_getreg_b32 s28, hwreg(HW_REG_IB_STS2, 6, 4)
	s_add_co_i32 s4, s4, s2
	s_cmp_eq_u32 s28, 0
	s_cselect_b32 s2, s3, s4
	s_mov_b32 s3, 0
	s_wait_kmcnt 0x0
	s_cmp_ge_i32 s2, s31
	s_cbranch_scc1 .LBB32_10
; %bb.1:
	v_bfe_u32 v2, v0, 10, 10
	v_and_b32_e32 v6, 0x3ff, v0
	s_bfe_u32 s30, ttmp6, 0x4000c
	s_bfe_u32 s34, ttmp6, 0x40010
	s_clause 0x2
	s_load_b256 s[4:11], s[0:1], 0x20
	s_load_b128 s[24:27], s[0:1], 0x40
	s_load_b128 s[20:23], s[0:1], 0x78
	v_dual_mov_b32 v3, 0 :: v_dual_lshlrev_b32 v14, 4, v2
	s_and_b32 s33, ttmp7, 0xffff
	s_add_co_i32 s30, s30, 1
	s_add_co_i32 s34, s34, 1
	s_and_b32 s29, ttmp6, 15
	s_mul_i32 s30, ttmp9, s30
	s_mul_i32 s34, s33, s34
	s_bfe_u32 s35, ttmp6, 0x40004
	v_dual_add_nc_u32 v7, v14, v6 :: v_dual_bitop2_b32 v16, 3, v0 bitop3:0x40
	s_add_co_i32 s29, s29, s30
	s_add_co_i32 s35, s35, s34
	s_cmp_eq_u32 s28, 0
	s_delay_alu instid0(VALU_DEP_1)
	v_dual_lshrrev_b32 v8, 2, v7 :: v_dual_bitop2_b32 v15, 63, v7 bitop3:0x40
	s_cselect_b32 s28, ttmp9, s29
	s_cselect_b32 s30, s33, s35
	s_ashr_i32 s29, s28, 31
	s_load_b256 s[12:19], s[0:1], 0x58
	s_lshl_b64 s[34:35], s[28:29], 6
	s_delay_alu instid0(SALU_CYCLE_1)
	v_dual_mov_b32 v9, v3 :: v_dual_bitop2_b32 v0, s34, v15 bitop3:0x54
	v_mov_b32_e32 v1, s35
	s_load_b32 s33, s[0:1], 0x50
	v_add_nc_u32_e32 v39, 0x400, v14
	s_wait_kmcnt 0x0
	v_mad_nc_u64_u32 v[10:11], s24, v16, v[8:9]
	v_lshlrev_b32_e32 v9, 2, v15
	v_mul_u64_e32 v[12:13], s[6:7], v[0:1]
	s_lshl_b32 s6, s30, 6
	s_mov_b32 s7, s3
	s_load_b96 s[28:30], s[0:1], 0x10
	v_add_nc_u64_e32 v[4:5], s[6:7], v[2:3]
	v_dual_lshrrev_b32 v2, 6, v7 :: v_dual_lshlrev_b32 v7, 2, v16
	v_lshlrev_b32_e32 v38, 2, v6
	v_mad_u32 v11, s25, v16, v11
	s_delay_alu instid0(VALU_DEP_3)
	v_lshl_or_b32 v36, v2, 8, v9
	v_mul_u64_e32 v[0:1], s[20:21], v[4:5]
	v_mul_u64_e32 v[4:5], s[14:15], v[4:5]
	v_lshl_or_b32 v15, v8, 4, v7
	v_dual_mov_b32 v7, v3 :: v_dual_lshlrev_b32 v2, 2, v2
	s_cmp_eq_f32 s33, 0
	s_delay_alu instid0(VALU_DEP_2)
	v_add_nc_u32_e32 v37, 0x400, v15
	v_add_nc_u64_e32 v[8:9], s[6:7], v[10:11]
	s_wait_xcnt 0x0
	s_cselect_b32 s1, -1, 0
	v_add_nc_u64_e32 v[10:11], s[34:35], v[6:7]
	s_wait_kmcnt 0x0
	v_cmp_gt_i64_e64 s0, s[28:29], 0
	s_lshl_b64 s[6:7], s[8:9], 2
	s_lshl_b64 s[20:21], s[20:21], 4
	;; [unrolled: 1-line block ×3, first 2 shown]
	v_lshlrev_b64_e32 v[6:7], 2, v[8:9]
	s_lshl_b64 s[8:9], s[22:23], 2
	v_lshlrev_b64_e32 v[10:11], 2, v[10:11]
	s_lshl_b64 s[14:15], s[20:21], 2
	s_lshl_b64 s[16:17], s[16:17], 2
	v_lshl_add_u64 v[8:9], v[12:13], 2, s[6:7]
	v_cndmask_b32_e64 v12, 0, 1, s0
	v_lshl_add_u64 v[6:7], s[26:27], 2, v[6:7]
	s_lshl_b64 s[6:7], s[24:25], 4
	s_lshl_b64 s[20:21], s[34:35], 2
	v_add_nc_u64_e32 v[8:9], v[8:9], v[2:3]
	v_cmp_ne_u32_e64 s0, 1, v12
	s_branch .LBB32_3
.LBB32_2:                               ;   in Loop: Header=BB32_3 Depth=1
	s_add_co_i32 s2, s2, 0x10000
	s_delay_alu instid0(SALU_CYCLE_1)
	s_cmp_lt_i32 s2, s31
	s_cbranch_scc0 .LBB32_10
.LBB32_3:                               ; =>This Loop Header: Depth=1
                                        ;     Child Loop BB32_5 Depth 2
	s_wait_xcnt 0x0
	v_dual_mov_b32 v2, s2 :: v_dual_mov_b32 v29, 0
	v_dual_mov_b32 v28, 0 :: v_dual_mov_b32 v27, 0
	;; [unrolled: 1-line block ×3, first 2 shown]
	s_clause 0x1
	global_load_b64 v[20:21], v2, s[12:13] scale_offset
	global_load_b64 v[30:31], v2, s[18:19] scale_offset
	v_dual_mov_b32 v24, 0 :: v_dual_mov_b32 v23, 0
	v_dual_mov_b32 v22, 0 :: v_dual_mov_b32 v19, 0
	;; [unrolled: 1-line block ×5, first 2 shown]
	v_mov_b32_e32 v12, 0
	s_and_b32 vcc_lo, exec_lo, s0
	s_cbranch_vccnz .LBB32_6
; %bb.4:                                ;   in Loop: Header=BB32_3 Depth=1
	s_lshl_b64 s[22:23], s[2:3], 3
	v_mov_b32_e32 v12, 0
	s_add_nc_u64 s[24:25], s[10:11], s[22:23]
	s_add_nc_u64 s[22:23], s[4:5], s[22:23]
	s_clause 0x1
	global_load_b64 v[28:29], v3, s[24:25]
	global_load_b64 v[34:35], v3, s[22:23]
	s_wait_xcnt 0x0
	s_mov_b64 s[22:23], 0
	v_dual_mov_b32 v13, v12 :: v_dual_mov_b32 v14, v12
	v_dual_mov_b32 v15, v12 :: v_dual_mov_b32 v16, v12
	;; [unrolled: 1-line block ×6, first 2 shown]
	v_mov_b32_e32 v27, v12
	s_wait_loadcnt 0x1
	v_add_nc_u64_e32 v[32:33], v[28:29], v[6:7]
	s_wait_loadcnt 0x0
	v_add_nc_u64_e32 v[34:35], v[34:35], v[8:9]
	v_dual_mov_b32 v28, v12 :: v_dual_mov_b32 v29, v12
.LBB32_5:                               ;   Parent Loop BB32_3 Depth=1
                                        ; =>  This Inner Loop Header: Depth=2
	flat_load_b32 v2, v[34:35]
	s_add_nc_u64 s[22:23], s[22:23], 4
	s_wait_xcnt 0x0
	v_add_nc_u64_e32 v[34:35], 16, v[34:35]
	v_cmp_lt_i64_e64 s24, s[22:23], s[28:29]
	s_and_b32 vcc_lo, exec_lo, s24
	s_wait_loadcnt_dscnt 0x0
	ds_store_b32 v36, v2
	flat_load_b32 v2, v[32:33]
	s_wait_xcnt 0x0
	v_add_nc_u64_e32 v[32:33], s[6:7], v[32:33]
	s_wait_loadcnt_dscnt 0x0
	ds_store_b32 v37, v2
	s_wait_dscnt 0x0
	s_barrier_signal -1
	s_barrier_wait -1
	ds_load_2addr_b32 v[56:57], v38 offset1:16
	ds_load_2addr_b32 v[58:59], v38 offset0:64 offset1:80
	ds_load_2addr_b32 v[60:61], v38 offset0:128 offset1:144
	;; [unrolled: 1-line block ×6, first 2 shown]
	ds_load_b128 v[40:43], v39
	ds_load_b128 v[44:47], v39 offset:256
	ds_load_2addr_b32 v[70:71], v38 offset0:224 offset1:240
	ds_load_b128 v[48:51], v39 offset:512
	ds_load_b128 v[52:55], v39 offset:768
	s_wait_dscnt 0x0
	s_barrier_signal -1
	s_barrier_wait -1
	v_dual_mov_b32 v72, v57 :: v_dual_mov_b32 v73, v56
	v_dual_mov_b32 v56, v59 :: v_dual_mov_b32 v57, v58
	;; [unrolled: 1-line block ×6, first 2 shown]
	v_pk_fma_f32 v[28:29], v[72:73], v[40:41], v[28:29] op_sel_hi:[1,0,1]
	v_pk_fma_f32 v[24:25], v[72:73], v[44:45], v[24:25] op_sel_hi:[1,0,1]
	s_delay_alu instid0(VALU_DEP_4)
	v_pk_fma_f32 v[26:27], v[62:63], v[40:41], v[26:27] op_sel_hi:[1,0,1]
	v_pk_fma_f32 v[18:19], v[72:73], v[48:49], v[18:19] op_sel_hi:[1,0,1]
	;; [unrolled: 1-line block ×6, first 2 shown]
	v_dual_mov_b32 v66, v69 :: v_dual_mov_b32 v67, v68
	v_pk_fma_f32 v[28:29], v[56:57], v[40:41], v[28:29] op_sel:[0,1,0]
	v_pk_fma_f32 v[26:27], v[64:65], v[40:41], v[26:27] op_sel:[0,1,0]
	;; [unrolled: 1-line block ×8, first 2 shown]
	v_dual_mov_b32 v2, v43 :: v_dual_mov_b32 v68, v71
	v_dual_mov_b32 v69, v70 :: v_dual_mov_b32 v70, v47
	;; [unrolled: 1-line block ×3, first 2 shown]
	v_pk_fma_f32 v[28:29], v[58:59], v[42:43], v[28:29] op_sel_hi:[1,0,1]
	v_pk_fma_f32 v[26:27], v[66:67], v[42:43], v[26:27] op_sel_hi:[1,0,1]
	;; [unrolled: 1-line block ×16, first 2 shown]
	s_cbranch_vccnz .LBB32_5
.LBB32_6:                               ;   in Loop: Header=BB32_3 Depth=1
	s_wait_loadcnt 0x0
	v_add_nc_u64_e32 v[30:31], s[8:9], v[30:31]
	s_and_not1_b32 vcc_lo, exec_lo, s1
	s_delay_alu instid0(VALU_DEP_1) | instskip(NEXT) | instid1(VALU_DEP_1)
	v_lshl_add_u64 v[30:31], v[0:1], 2, v[30:31]
	v_add_nc_u64_e32 v[32:33], v[30:31], v[10:11]
	v_add_nc_u64_e32 v[30:31], s[14:15], v[30:31]
	s_cbranch_vccnz .LBB32_8
; %bb.7:                                ;   in Loop: Header=BB32_3 Depth=1
	s_wait_xcnt 0x0
	v_dual_mul_f32 v2, s30, v29 :: v_dual_mul_f32 v40, s30, v28
	s_delay_alu instid0(VALU_DEP_2)
	v_add_nc_u64_e32 v[34:35], s[14:15], v[30:31]
	v_dual_mul_f32 v41, s30, v27 :: v_dual_mul_f32 v42, s30, v26
	s_clause 0x3
	flat_store_b32 v[32:33], v2
	flat_store_b32 v[32:33], v40 offset:64
	flat_store_b32 v[32:33], v41 offset:128
	;; [unrolled: 1-line block ×3, first 2 shown]
	s_wait_xcnt 0x1
	v_add_nc_u64_e32 v[40:41], v[30:31], v[10:11]
	v_dual_mul_f32 v2, s30, v25 :: v_dual_mul_f32 v44, s30, v24
	s_wait_xcnt 0x0
	v_add_nc_u64_e32 v[42:43], v[34:35], v[10:11]
	v_add_nc_u64_e32 v[34:35], s[14:15], v[34:35]
	v_dual_mul_f32 v45, s30, v23 :: v_dual_mul_f32 v46, s30, v22
	s_clause 0x3
	flat_store_b32 v[40:41], v2
	flat_store_b32 v[40:41], v44 offset:64
	flat_store_b32 v[40:41], v45 offset:128
	;; [unrolled: 1-line block ×3, first 2 shown]
	s_wait_xcnt 0x0
	v_dual_mul_f32 v2, s30, v19 :: v_dual_mul_f32 v40, s30, v18
	v_dual_mul_f32 v41, s30, v17 :: v_dual_mul_f32 v44, s30, v16
	v_add_nc_u64_e32 v[34:35], v[34:35], v[10:11]
	s_clause 0x3
	flat_store_b32 v[42:43], v2
	flat_store_b32 v[42:43], v40 offset:64
	flat_store_b32 v[42:43], v41 offset:128
	;; [unrolled: 1-line block ×3, first 2 shown]
	s_wait_xcnt 0x2
	v_dual_mul_f32 v2, s30, v15 :: v_dual_mul_f32 v40, s30, v14
	s_wait_xcnt 0x0
	v_dual_mul_f32 v41, s30, v13 :: v_dual_mul_f32 v42, s30, v12
	s_clause 0x3
	flat_store_b32 v[34:35], v2
	flat_store_b32 v[34:35], v40 offset:64
	flat_store_b32 v[34:35], v41 offset:128
	;; [unrolled: 1-line block ×3, first 2 shown]
	s_cbranch_execnz .LBB32_2
	s_branch .LBB32_9
.LBB32_8:                               ;   in Loop: Header=BB32_3 Depth=1
.LBB32_9:                               ;   in Loop: Header=BB32_3 Depth=1
	v_add_nc_u64_e32 v[20:21], s[16:17], v[20:21]
	s_delay_alu instid0(VALU_DEP_1) | instskip(SKIP_1) | instid1(VALU_DEP_1)
	v_lshl_add_u64 v[20:21], v[4:5], 2, v[20:21]
	s_wait_xcnt 0x0
	v_add_nc_u64_e32 v[34:35], v[20:21], v[10:11]
	v_add_nc_u64_e32 v[20:21], s[20:21], v[20:21]
	flat_load_b32 v2, v[34:35]
	s_wait_loadcnt_dscnt 0x0
	v_mul_f32_e32 v2, s33, v2
	s_delay_alu instid0(VALU_DEP_1) | instskip(SKIP_4) | instid1(VALU_DEP_1)
	v_fmac_f32_e32 v2, s30, v29
	flat_store_b32 v[32:33], v2
	flat_load_b32 v2, v[34:35] offset:64
	s_wait_loadcnt_dscnt 0x0
	v_mul_f32_e32 v2, s33, v2
	v_fmac_f32_e32 v2, s30, v28
	v_add_nc_u64_e32 v[28:29], v[20:21], v[10:11]
	v_add_nc_u64_e32 v[20:21], s[20:21], v[20:21]
	flat_store_b32 v[32:33], v2 offset:64
	flat_load_b32 v2, v[34:35] offset:128
	s_wait_loadcnt_dscnt 0x0
	v_mul_f32_e32 v2, s33, v2
	s_delay_alu instid0(VALU_DEP_1) | instskip(SKIP_4) | instid1(VALU_DEP_1)
	v_fmac_f32_e32 v2, s30, v27
	flat_store_b32 v[32:33], v2 offset:128
	flat_load_b32 v2, v[34:35] offset:192
	s_wait_loadcnt_dscnt 0x0
	v_mul_f32_e32 v2, s33, v2
	v_fmac_f32_e32 v2, s30, v26
	v_add_nc_u64_e32 v[26:27], v[30:31], v[10:11]
	flat_store_b32 v[32:33], v2 offset:192
	flat_load_b32 v2, v[28:29]
	s_wait_loadcnt_dscnt 0x0
	v_mul_f32_e32 v2, s33, v2
	s_delay_alu instid0(VALU_DEP_1) | instskip(SKIP_4) | instid1(VALU_DEP_1)
	v_fmac_f32_e32 v2, s30, v25
	flat_store_b32 v[26:27], v2
	flat_load_b32 v2, v[28:29] offset:64
	s_wait_loadcnt_dscnt 0x0
	v_mul_f32_e32 v2, s33, v2
	v_fmac_f32_e32 v2, s30, v24
	v_add_nc_u64_e32 v[24:25], v[20:21], v[10:11]
	flat_store_b32 v[26:27], v2 offset:64
	flat_load_b32 v2, v[28:29] offset:128
	s_wait_loadcnt_dscnt 0x0
	v_mul_f32_e32 v2, s33, v2
	s_delay_alu instid0(VALU_DEP_1) | instskip(SKIP_4) | instid1(VALU_DEP_1)
	v_fmac_f32_e32 v2, s30, v23
	flat_store_b32 v[26:27], v2 offset:128
	flat_load_b32 v2, v[28:29] offset:192
	s_wait_loadcnt_dscnt 0x0
	v_mul_f32_e32 v2, s33, v2
	v_fmac_f32_e32 v2, s30, v22
	v_add_nc_u64_e32 v[22:23], s[14:15], v[30:31]
	flat_store_b32 v[26:27], v2 offset:192
	flat_load_b32 v2, v[24:25]
	v_add_nc_u64_e32 v[26:27], v[22:23], v[10:11]
	s_wait_loadcnt_dscnt 0x0
	v_mul_f32_e32 v2, s33, v2
	s_delay_alu instid0(VALU_DEP_1) | instskip(SKIP_4) | instid1(VALU_DEP_1)
	v_fmac_f32_e32 v2, s30, v19
	flat_store_b32 v[26:27], v2
	flat_load_b32 v2, v[24:25] offset:64
	s_wait_loadcnt_dscnt 0x0
	v_mul_f32_e32 v2, s33, v2
	v_fmac_f32_e32 v2, s30, v18
	v_add_nc_u64_e32 v[18:19], s[20:21], v[20:21]
	flat_store_b32 v[26:27], v2 offset:64
	flat_load_b32 v2, v[24:25] offset:128
	v_add_nc_u64_e32 v[18:19], v[18:19], v[10:11]
	s_wait_loadcnt_dscnt 0x0
	v_mul_f32_e32 v2, s33, v2
	s_delay_alu instid0(VALU_DEP_1) | instskip(SKIP_4) | instid1(VALU_DEP_1)
	v_fmac_f32_e32 v2, s30, v17
	flat_store_b32 v[26:27], v2 offset:128
	flat_load_b32 v2, v[24:25] offset:192
	s_wait_loadcnt_dscnt 0x0
	v_mul_f32_e32 v2, s33, v2
	v_fmac_f32_e32 v2, s30, v16
	v_add_nc_u64_e32 v[16:17], s[14:15], v[22:23]
	flat_store_b32 v[26:27], v2 offset:192
	flat_load_b32 v2, v[18:19]
	v_add_nc_u64_e32 v[16:17], v[16:17], v[10:11]
	s_wait_loadcnt_dscnt 0x0
	v_mul_f32_e32 v2, s33, v2
	s_delay_alu instid0(VALU_DEP_1) | instskip(SKIP_4) | instid1(VALU_DEP_1)
	v_fmac_f32_e32 v2, s30, v15
	flat_store_b32 v[16:17], v2
	flat_load_b32 v2, v[18:19] offset:64
	s_wait_loadcnt_dscnt 0x0
	v_mul_f32_e32 v2, s33, v2
	v_fmac_f32_e32 v2, s30, v14
	flat_store_b32 v[16:17], v2 offset:64
	flat_load_b32 v2, v[18:19] offset:128
	s_wait_loadcnt_dscnt 0x0
	v_mul_f32_e32 v2, s33, v2
	s_delay_alu instid0(VALU_DEP_1) | instskip(SKIP_4) | instid1(VALU_DEP_1)
	v_fmac_f32_e32 v2, s30, v13
	flat_store_b32 v[16:17], v2 offset:128
	flat_load_b32 v2, v[18:19] offset:192
	s_wait_loadcnt_dscnt 0x0
	v_mul_f32_e32 v2, s33, v2
	v_fmac_f32_e32 v2, s30, v12
	flat_store_b32 v[16:17], v2 offset:192
	s_branch .LBB32_2
.LBB32_10:
	s_sendmsg sendmsg(MSG_DEALLOC_VGPRS)
	s_endpgm
	.section	.rodata,"a",@progbits
	.p2align	6, 0x0
	.amdhsa_kernel _ZN12_GLOBAL__N_127rocblas_gemm_batched_kernelIfLi16ELi16ELi64ELi64ELi4ELi64ELi4ELi4ELi64ELc84ELc84EKPKfS3_KPfEEvlllT_PT11_llS8_llS6_PT12_llPT13_lli
		.amdhsa_group_segment_fixed_size 2048
		.amdhsa_private_segment_fixed_size 0
		.amdhsa_kernarg_size 140
		.amdhsa_user_sgpr_count 2
		.amdhsa_user_sgpr_dispatch_ptr 0
		.amdhsa_user_sgpr_queue_ptr 0
		.amdhsa_user_sgpr_kernarg_segment_ptr 1
		.amdhsa_user_sgpr_dispatch_id 0
		.amdhsa_user_sgpr_kernarg_preload_length 0
		.amdhsa_user_sgpr_kernarg_preload_offset 0
		.amdhsa_user_sgpr_private_segment_size 0
		.amdhsa_wavefront_size32 1
		.amdhsa_uses_dynamic_stack 0
		.amdhsa_enable_private_segment 0
		.amdhsa_system_sgpr_workgroup_id_x 1
		.amdhsa_system_sgpr_workgroup_id_y 1
		.amdhsa_system_sgpr_workgroup_id_z 1
		.amdhsa_system_sgpr_workgroup_info 0
		.amdhsa_system_vgpr_workitem_id 1
		.amdhsa_next_free_vgpr 78
		.amdhsa_next_free_sgpr 36
		.amdhsa_named_barrier_count 0
		.amdhsa_reserve_vcc 1
		.amdhsa_float_round_mode_32 0
		.amdhsa_float_round_mode_16_64 0
		.amdhsa_float_denorm_mode_32 3
		.amdhsa_float_denorm_mode_16_64 3
		.amdhsa_fp16_overflow 0
		.amdhsa_memory_ordered 1
		.amdhsa_forward_progress 1
		.amdhsa_inst_pref_size 19
		.amdhsa_round_robin_scheduling 0
		.amdhsa_exception_fp_ieee_invalid_op 0
		.amdhsa_exception_fp_denorm_src 0
		.amdhsa_exception_fp_ieee_div_zero 0
		.amdhsa_exception_fp_ieee_overflow 0
		.amdhsa_exception_fp_ieee_underflow 0
		.amdhsa_exception_fp_ieee_inexact 0
		.amdhsa_exception_int_div_zero 0
	.end_amdhsa_kernel
	.section	.text._ZN12_GLOBAL__N_127rocblas_gemm_batched_kernelIfLi16ELi16ELi64ELi64ELi4ELi64ELi4ELi4ELi64ELc84ELc84EKPKfS3_KPfEEvlllT_PT11_llS8_llS6_PT12_llPT13_lli,"axG",@progbits,_ZN12_GLOBAL__N_127rocblas_gemm_batched_kernelIfLi16ELi16ELi64ELi64ELi4ELi64ELi4ELi4ELi64ELc84ELc84EKPKfS3_KPfEEvlllT_PT11_llS8_llS6_PT12_llPT13_lli,comdat
.Lfunc_end32:
	.size	_ZN12_GLOBAL__N_127rocblas_gemm_batched_kernelIfLi16ELi16ELi64ELi64ELi4ELi64ELi4ELi4ELi64ELc84ELc84EKPKfS3_KPfEEvlllT_PT11_llS8_llS6_PT12_llPT13_lli, .Lfunc_end32-_ZN12_GLOBAL__N_127rocblas_gemm_batched_kernelIfLi16ELi16ELi64ELi64ELi4ELi64ELi4ELi4ELi64ELc84ELc84EKPKfS3_KPfEEvlllT_PT11_llS8_llS6_PT12_llPT13_lli
                                        ; -- End function
	.set _ZN12_GLOBAL__N_127rocblas_gemm_batched_kernelIfLi16ELi16ELi64ELi64ELi4ELi64ELi4ELi4ELi64ELc84ELc84EKPKfS3_KPfEEvlllT_PT11_llS8_llS6_PT12_llPT13_lli.num_vgpr, 78
	.set _ZN12_GLOBAL__N_127rocblas_gemm_batched_kernelIfLi16ELi16ELi64ELi64ELi4ELi64ELi4ELi4ELi64ELc84ELc84EKPKfS3_KPfEEvlllT_PT11_llS8_llS6_PT12_llPT13_lli.num_agpr, 0
	.set _ZN12_GLOBAL__N_127rocblas_gemm_batched_kernelIfLi16ELi16ELi64ELi64ELi4ELi64ELi4ELi4ELi64ELc84ELc84EKPKfS3_KPfEEvlllT_PT11_llS8_llS6_PT12_llPT13_lli.numbered_sgpr, 36
	.set _ZN12_GLOBAL__N_127rocblas_gemm_batched_kernelIfLi16ELi16ELi64ELi64ELi4ELi64ELi4ELi4ELi64ELc84ELc84EKPKfS3_KPfEEvlllT_PT11_llS8_llS6_PT12_llPT13_lli.num_named_barrier, 0
	.set _ZN12_GLOBAL__N_127rocblas_gemm_batched_kernelIfLi16ELi16ELi64ELi64ELi4ELi64ELi4ELi4ELi64ELc84ELc84EKPKfS3_KPfEEvlllT_PT11_llS8_llS6_PT12_llPT13_lli.private_seg_size, 0
	.set _ZN12_GLOBAL__N_127rocblas_gemm_batched_kernelIfLi16ELi16ELi64ELi64ELi4ELi64ELi4ELi4ELi64ELc84ELc84EKPKfS3_KPfEEvlllT_PT11_llS8_llS6_PT12_llPT13_lli.uses_vcc, 1
	.set _ZN12_GLOBAL__N_127rocblas_gemm_batched_kernelIfLi16ELi16ELi64ELi64ELi4ELi64ELi4ELi4ELi64ELc84ELc84EKPKfS3_KPfEEvlllT_PT11_llS8_llS6_PT12_llPT13_lli.uses_flat_scratch, 1
	.set _ZN12_GLOBAL__N_127rocblas_gemm_batched_kernelIfLi16ELi16ELi64ELi64ELi4ELi64ELi4ELi4ELi64ELc84ELc84EKPKfS3_KPfEEvlllT_PT11_llS8_llS6_PT12_llPT13_lli.has_dyn_sized_stack, 0
	.set _ZN12_GLOBAL__N_127rocblas_gemm_batched_kernelIfLi16ELi16ELi64ELi64ELi4ELi64ELi4ELi4ELi64ELc84ELc84EKPKfS3_KPfEEvlllT_PT11_llS8_llS6_PT12_llPT13_lli.has_recursion, 0
	.set _ZN12_GLOBAL__N_127rocblas_gemm_batched_kernelIfLi16ELi16ELi64ELi64ELi4ELi64ELi4ELi4ELi64ELc84ELc84EKPKfS3_KPfEEvlllT_PT11_llS8_llS6_PT12_llPT13_lli.has_indirect_call, 0
	.section	.AMDGPU.csdata,"",@progbits
; Kernel info:
; codeLenInByte = 2372
; TotalNumSgprs: 38
; NumVgprs: 78
; ScratchSize: 0
; MemoryBound: 0
; FloatMode: 240
; IeeeMode: 1
; LDSByteSize: 2048 bytes/workgroup (compile time only)
; SGPRBlocks: 0
; VGPRBlocks: 4
; NumSGPRsForWavesPerEU: 38
; NumVGPRsForWavesPerEU: 78
; NamedBarCnt: 0
; Occupancy: 12
; WaveLimiterHint : 1
; COMPUTE_PGM_RSRC2:SCRATCH_EN: 0
; COMPUTE_PGM_RSRC2:USER_SGPR: 2
; COMPUTE_PGM_RSRC2:TRAP_HANDLER: 0
; COMPUTE_PGM_RSRC2:TGID_X_EN: 1
; COMPUTE_PGM_RSRC2:TGID_Y_EN: 1
; COMPUTE_PGM_RSRC2:TGID_Z_EN: 1
; COMPUTE_PGM_RSRC2:TIDIG_COMP_CNT: 1
	.section	.text._ZN12_GLOBAL__N_127rocblas_gemm_batched_kernelIfLi16ELi16ELi64ELi64ELi4ELi64ELi4ELi4ELi64ELc67ELc67EKPKfS3_KPfEEvlllT_PT11_llS8_llS6_PT12_llPT13_lli,"axG",@progbits,_ZN12_GLOBAL__N_127rocblas_gemm_batched_kernelIfLi16ELi16ELi64ELi64ELi4ELi64ELi4ELi4ELi64ELc67ELc67EKPKfS3_KPfEEvlllT_PT11_llS8_llS6_PT12_llPT13_lli,comdat
	.globl	_ZN12_GLOBAL__N_127rocblas_gemm_batched_kernelIfLi16ELi16ELi64ELi64ELi4ELi64ELi4ELi4ELi64ELc67ELc67EKPKfS3_KPfEEvlllT_PT11_llS8_llS6_PT12_llPT13_lli ; -- Begin function _ZN12_GLOBAL__N_127rocblas_gemm_batched_kernelIfLi16ELi16ELi64ELi64ELi4ELi64ELi4ELi4ELi64ELc67ELc67EKPKfS3_KPfEEvlllT_PT11_llS8_llS6_PT12_llPT13_lli
	.p2align	8
	.type	_ZN12_GLOBAL__N_127rocblas_gemm_batched_kernelIfLi16ELi16ELi64ELi64ELi4ELi64ELi4ELi4ELi64ELc67ELc67EKPKfS3_KPfEEvlllT_PT11_llS8_llS6_PT12_llPT13_lli,@function
_ZN12_GLOBAL__N_127rocblas_gemm_batched_kernelIfLi16ELi16ELi64ELi64ELi4ELi64ELi4ELi4ELi64ELc67ELc67EKPKfS3_KPfEEvlllT_PT11_llS8_llS6_PT12_llPT13_lli: ; @_ZN12_GLOBAL__N_127rocblas_gemm_batched_kernelIfLi16ELi16ELi64ELi64ELi4ELi64ELi4ELi4ELi64ELc67ELc67EKPKfS3_KPfEEvlllT_PT11_llS8_llS6_PT12_llPT13_lli
; %bb.0:
	s_load_b32 s31, s[0:1], 0x88
	s_bfe_u32 s2, ttmp6, 0x40014
	s_lshr_b32 s3, ttmp7, 16
	s_add_co_i32 s2, s2, 1
	s_bfe_u32 s4, ttmp6, 0x40008
	s_mul_i32 s2, s3, s2
	s_getreg_b32 s28, hwreg(HW_REG_IB_STS2, 6, 4)
	s_add_co_i32 s4, s4, s2
	s_cmp_eq_u32 s28, 0
	s_cselect_b32 s2, s3, s4
	s_mov_b32 s3, 0
	s_wait_kmcnt 0x0
	s_cmp_ge_i32 s2, s31
	s_cbranch_scc1 .LBB33_10
; %bb.1:
	v_bfe_u32 v2, v0, 10, 10
	v_and_b32_e32 v6, 0x3ff, v0
	s_bfe_u32 s30, ttmp6, 0x4000c
	s_bfe_u32 s34, ttmp6, 0x40010
	s_clause 0x2
	s_load_b256 s[4:11], s[0:1], 0x20
	s_load_b128 s[24:27], s[0:1], 0x40
	s_load_b128 s[20:23], s[0:1], 0x78
	v_dual_mov_b32 v3, 0 :: v_dual_lshlrev_b32 v14, 4, v2
	s_and_b32 s33, ttmp7, 0xffff
	s_add_co_i32 s30, s30, 1
	s_add_co_i32 s34, s34, 1
	s_and_b32 s29, ttmp6, 15
	s_mul_i32 s30, ttmp9, s30
	s_mul_i32 s34, s33, s34
	s_bfe_u32 s35, ttmp6, 0x40004
	v_dual_add_nc_u32 v7, v14, v6 :: v_dual_bitop2_b32 v16, 3, v0 bitop3:0x40
	s_add_co_i32 s29, s29, s30
	s_add_co_i32 s35, s35, s34
	s_cmp_eq_u32 s28, 0
	s_delay_alu instid0(VALU_DEP_1)
	v_dual_lshrrev_b32 v8, 2, v7 :: v_dual_bitop2_b32 v15, 63, v7 bitop3:0x40
	s_cselect_b32 s28, ttmp9, s29
	s_cselect_b32 s30, s33, s35
	s_ashr_i32 s29, s28, 31
	s_load_b256 s[12:19], s[0:1], 0x58
	s_lshl_b64 s[34:35], s[28:29], 6
	s_delay_alu instid0(SALU_CYCLE_1)
	v_dual_mov_b32 v9, v3 :: v_dual_bitop2_b32 v0, s34, v15 bitop3:0x54
	v_mov_b32_e32 v1, s35
	s_load_b32 s33, s[0:1], 0x50
	v_add_nc_u32_e32 v39, 0x400, v14
	s_wait_kmcnt 0x0
	v_mad_nc_u64_u32 v[10:11], s24, v16, v[8:9]
	v_lshlrev_b32_e32 v9, 2, v15
	v_mul_u64_e32 v[12:13], s[6:7], v[0:1]
	s_lshl_b32 s6, s30, 6
	s_mov_b32 s7, s3
	s_load_b96 s[28:30], s[0:1], 0x10
	v_add_nc_u64_e32 v[4:5], s[6:7], v[2:3]
	v_dual_lshrrev_b32 v2, 6, v7 :: v_dual_lshlrev_b32 v7, 2, v16
	v_lshlrev_b32_e32 v38, 2, v6
	v_mad_u32 v11, s25, v16, v11
	s_delay_alu instid0(VALU_DEP_3)
	v_lshl_or_b32 v36, v2, 8, v9
	v_mul_u64_e32 v[0:1], s[20:21], v[4:5]
	v_mul_u64_e32 v[4:5], s[14:15], v[4:5]
	v_lshl_or_b32 v15, v8, 4, v7
	v_dual_mov_b32 v7, v3 :: v_dual_lshlrev_b32 v2, 2, v2
	s_cmp_eq_f32 s33, 0
	s_delay_alu instid0(VALU_DEP_2)
	v_add_nc_u32_e32 v37, 0x400, v15
	v_add_nc_u64_e32 v[8:9], s[6:7], v[10:11]
	s_wait_xcnt 0x0
	s_cselect_b32 s1, -1, 0
	v_add_nc_u64_e32 v[10:11], s[34:35], v[6:7]
	s_wait_kmcnt 0x0
	v_cmp_gt_i64_e64 s0, s[28:29], 0
	s_lshl_b64 s[6:7], s[8:9], 2
	s_lshl_b64 s[20:21], s[20:21], 4
	;; [unrolled: 1-line block ×3, first 2 shown]
	v_lshlrev_b64_e32 v[6:7], 2, v[8:9]
	s_lshl_b64 s[8:9], s[22:23], 2
	v_lshlrev_b64_e32 v[10:11], 2, v[10:11]
	s_lshl_b64 s[14:15], s[20:21], 2
	s_lshl_b64 s[16:17], s[16:17], 2
	v_lshl_add_u64 v[8:9], v[12:13], 2, s[6:7]
	v_cndmask_b32_e64 v12, 0, 1, s0
	v_lshl_add_u64 v[6:7], s[26:27], 2, v[6:7]
	s_lshl_b64 s[6:7], s[24:25], 4
	s_lshl_b64 s[20:21], s[34:35], 2
	v_add_nc_u64_e32 v[8:9], v[8:9], v[2:3]
	v_cmp_ne_u32_e64 s0, 1, v12
	s_branch .LBB33_3
.LBB33_2:                               ;   in Loop: Header=BB33_3 Depth=1
	s_add_co_i32 s2, s2, 0x10000
	s_delay_alu instid0(SALU_CYCLE_1)
	s_cmp_lt_i32 s2, s31
	s_cbranch_scc0 .LBB33_10
.LBB33_3:                               ; =>This Loop Header: Depth=1
                                        ;     Child Loop BB33_5 Depth 2
	s_wait_xcnt 0x0
	v_dual_mov_b32 v2, s2 :: v_dual_mov_b32 v29, 0
	v_dual_mov_b32 v28, 0 :: v_dual_mov_b32 v27, 0
	;; [unrolled: 1-line block ×3, first 2 shown]
	s_clause 0x1
	global_load_b64 v[20:21], v2, s[12:13] scale_offset
	global_load_b64 v[30:31], v2, s[18:19] scale_offset
	v_dual_mov_b32 v24, 0 :: v_dual_mov_b32 v23, 0
	v_dual_mov_b32 v22, 0 :: v_dual_mov_b32 v19, 0
	;; [unrolled: 1-line block ×5, first 2 shown]
	v_mov_b32_e32 v12, 0
	s_and_b32 vcc_lo, exec_lo, s0
	s_cbranch_vccnz .LBB33_6
; %bb.4:                                ;   in Loop: Header=BB33_3 Depth=1
	s_lshl_b64 s[22:23], s[2:3], 3
	v_mov_b32_e32 v12, 0
	s_add_nc_u64 s[24:25], s[10:11], s[22:23]
	s_add_nc_u64 s[22:23], s[4:5], s[22:23]
	s_clause 0x1
	global_load_b64 v[28:29], v3, s[24:25]
	global_load_b64 v[34:35], v3, s[22:23]
	s_wait_xcnt 0x0
	s_mov_b64 s[22:23], 0
	v_dual_mov_b32 v13, v12 :: v_dual_mov_b32 v14, v12
	v_dual_mov_b32 v15, v12 :: v_dual_mov_b32 v16, v12
	;; [unrolled: 1-line block ×6, first 2 shown]
	v_mov_b32_e32 v27, v12
	s_wait_loadcnt 0x1
	v_add_nc_u64_e32 v[32:33], v[28:29], v[6:7]
	s_wait_loadcnt 0x0
	v_add_nc_u64_e32 v[34:35], v[34:35], v[8:9]
	v_dual_mov_b32 v28, v12 :: v_dual_mov_b32 v29, v12
.LBB33_5:                               ;   Parent Loop BB33_3 Depth=1
                                        ; =>  This Inner Loop Header: Depth=2
	flat_load_b32 v2, v[34:35]
	s_add_nc_u64 s[22:23], s[22:23], 4
	s_wait_xcnt 0x0
	v_add_nc_u64_e32 v[34:35], 16, v[34:35]
	v_cmp_lt_i64_e64 s24, s[22:23], s[28:29]
	s_and_b32 vcc_lo, exec_lo, s24
	s_wait_loadcnt_dscnt 0x0
	ds_store_b32 v36, v2
	flat_load_b32 v2, v[32:33]
	s_wait_xcnt 0x0
	v_add_nc_u64_e32 v[32:33], s[6:7], v[32:33]
	s_wait_loadcnt_dscnt 0x0
	ds_store_b32 v37, v2
	s_wait_dscnt 0x0
	s_barrier_signal -1
	s_barrier_wait -1
	ds_load_2addr_b32 v[56:57], v38 offset1:16
	ds_load_2addr_b32 v[58:59], v38 offset0:64 offset1:80
	ds_load_2addr_b32 v[60:61], v38 offset0:128 offset1:144
	;; [unrolled: 1-line block ×6, first 2 shown]
	ds_load_b128 v[40:43], v39
	ds_load_b128 v[44:47], v39 offset:256
	ds_load_2addr_b32 v[70:71], v38 offset0:224 offset1:240
	ds_load_b128 v[48:51], v39 offset:512
	ds_load_b128 v[52:55], v39 offset:768
	s_wait_dscnt 0x0
	s_barrier_signal -1
	s_barrier_wait -1
	v_dual_mov_b32 v72, v57 :: v_dual_mov_b32 v73, v56
	v_dual_mov_b32 v56, v59 :: v_dual_mov_b32 v57, v58
	;; [unrolled: 1-line block ×6, first 2 shown]
	v_pk_fma_f32 v[28:29], v[72:73], v[40:41], v[28:29] op_sel_hi:[1,0,1]
	v_pk_fma_f32 v[24:25], v[72:73], v[44:45], v[24:25] op_sel_hi:[1,0,1]
	s_delay_alu instid0(VALU_DEP_4)
	v_pk_fma_f32 v[26:27], v[62:63], v[40:41], v[26:27] op_sel_hi:[1,0,1]
	v_pk_fma_f32 v[18:19], v[72:73], v[48:49], v[18:19] op_sel_hi:[1,0,1]
	;; [unrolled: 1-line block ×6, first 2 shown]
	v_dual_mov_b32 v66, v69 :: v_dual_mov_b32 v67, v68
	v_pk_fma_f32 v[28:29], v[56:57], v[40:41], v[28:29] op_sel:[0,1,0]
	v_pk_fma_f32 v[26:27], v[64:65], v[40:41], v[26:27] op_sel:[0,1,0]
	;; [unrolled: 1-line block ×8, first 2 shown]
	v_dual_mov_b32 v2, v43 :: v_dual_mov_b32 v68, v71
	v_dual_mov_b32 v69, v70 :: v_dual_mov_b32 v70, v47
	v_dual_mov_b32 v74, v51 :: v_dual_mov_b32 v76, v55
	v_pk_fma_f32 v[28:29], v[58:59], v[42:43], v[28:29] op_sel_hi:[1,0,1]
	v_pk_fma_f32 v[26:27], v[66:67], v[42:43], v[26:27] op_sel_hi:[1,0,1]
	v_pk_fma_f32 v[24:25], v[58:59], v[46:47], v[24:25] op_sel_hi:[1,0,1]
	v_pk_fma_f32 v[22:23], v[66:67], v[46:47], v[22:23] op_sel_hi:[1,0,1]
	v_pk_fma_f32 v[18:19], v[58:59], v[50:51], v[18:19] op_sel_hi:[1,0,1]
	v_pk_fma_f32 v[16:17], v[66:67], v[50:51], v[16:17] op_sel_hi:[1,0,1]
	v_pk_fma_f32 v[14:15], v[58:59], v[54:55], v[14:15] op_sel_hi:[1,0,1]
	v_pk_fma_f32 v[12:13], v[66:67], v[54:55], v[12:13] op_sel_hi:[1,0,1]
	v_pk_fma_f32 v[28:29], v[60:61], v[2:3], v[28:29] op_sel_hi:[1,0,1]
	v_pk_fma_f32 v[26:27], v[68:69], v[2:3], v[26:27] op_sel_hi:[1,0,1]
	v_pk_fma_f32 v[24:25], v[60:61], v[70:71], v[24:25] op_sel_hi:[1,0,1]
	v_pk_fma_f32 v[22:23], v[68:69], v[70:71], v[22:23] op_sel_hi:[1,0,1]
	v_pk_fma_f32 v[18:19], v[60:61], v[74:75], v[18:19] op_sel_hi:[1,0,1]
	v_pk_fma_f32 v[16:17], v[68:69], v[74:75], v[16:17] op_sel_hi:[1,0,1]
	v_pk_fma_f32 v[14:15], v[60:61], v[76:77], v[14:15] op_sel_hi:[1,0,1]
	v_pk_fma_f32 v[12:13], v[68:69], v[76:77], v[12:13] op_sel_hi:[1,0,1]
	s_cbranch_vccnz .LBB33_5
.LBB33_6:                               ;   in Loop: Header=BB33_3 Depth=1
	s_wait_loadcnt 0x0
	v_add_nc_u64_e32 v[30:31], s[8:9], v[30:31]
	s_and_not1_b32 vcc_lo, exec_lo, s1
	s_delay_alu instid0(VALU_DEP_1) | instskip(NEXT) | instid1(VALU_DEP_1)
	v_lshl_add_u64 v[30:31], v[0:1], 2, v[30:31]
	v_add_nc_u64_e32 v[32:33], v[30:31], v[10:11]
	v_add_nc_u64_e32 v[30:31], s[14:15], v[30:31]
	s_cbranch_vccnz .LBB33_8
; %bb.7:                                ;   in Loop: Header=BB33_3 Depth=1
	s_wait_xcnt 0x0
	v_dual_mul_f32 v2, s30, v29 :: v_dual_mul_f32 v40, s30, v28
	s_delay_alu instid0(VALU_DEP_2)
	v_add_nc_u64_e32 v[34:35], s[14:15], v[30:31]
	v_dual_mul_f32 v41, s30, v27 :: v_dual_mul_f32 v42, s30, v26
	s_clause 0x3
	flat_store_b32 v[32:33], v2
	flat_store_b32 v[32:33], v40 offset:64
	flat_store_b32 v[32:33], v41 offset:128
	;; [unrolled: 1-line block ×3, first 2 shown]
	s_wait_xcnt 0x1
	v_add_nc_u64_e32 v[40:41], v[30:31], v[10:11]
	v_dual_mul_f32 v2, s30, v25 :: v_dual_mul_f32 v44, s30, v24
	s_wait_xcnt 0x0
	v_add_nc_u64_e32 v[42:43], v[34:35], v[10:11]
	v_add_nc_u64_e32 v[34:35], s[14:15], v[34:35]
	v_dual_mul_f32 v45, s30, v23 :: v_dual_mul_f32 v46, s30, v22
	s_clause 0x3
	flat_store_b32 v[40:41], v2
	flat_store_b32 v[40:41], v44 offset:64
	flat_store_b32 v[40:41], v45 offset:128
	;; [unrolled: 1-line block ×3, first 2 shown]
	s_wait_xcnt 0x0
	v_dual_mul_f32 v2, s30, v19 :: v_dual_mul_f32 v40, s30, v18
	v_dual_mul_f32 v41, s30, v17 :: v_dual_mul_f32 v44, s30, v16
	v_add_nc_u64_e32 v[34:35], v[34:35], v[10:11]
	s_clause 0x3
	flat_store_b32 v[42:43], v2
	flat_store_b32 v[42:43], v40 offset:64
	flat_store_b32 v[42:43], v41 offset:128
	flat_store_b32 v[42:43], v44 offset:192
	s_wait_xcnt 0x2
	v_dual_mul_f32 v2, s30, v15 :: v_dual_mul_f32 v40, s30, v14
	s_wait_xcnt 0x0
	v_dual_mul_f32 v41, s30, v13 :: v_dual_mul_f32 v42, s30, v12
	s_clause 0x3
	flat_store_b32 v[34:35], v2
	flat_store_b32 v[34:35], v40 offset:64
	flat_store_b32 v[34:35], v41 offset:128
	;; [unrolled: 1-line block ×3, first 2 shown]
	s_cbranch_execnz .LBB33_2
	s_branch .LBB33_9
.LBB33_8:                               ;   in Loop: Header=BB33_3 Depth=1
.LBB33_9:                               ;   in Loop: Header=BB33_3 Depth=1
	v_add_nc_u64_e32 v[20:21], s[16:17], v[20:21]
	s_delay_alu instid0(VALU_DEP_1) | instskip(SKIP_1) | instid1(VALU_DEP_1)
	v_lshl_add_u64 v[20:21], v[4:5], 2, v[20:21]
	s_wait_xcnt 0x0
	v_add_nc_u64_e32 v[34:35], v[20:21], v[10:11]
	v_add_nc_u64_e32 v[20:21], s[20:21], v[20:21]
	flat_load_b32 v2, v[34:35]
	s_wait_loadcnt_dscnt 0x0
	v_mul_f32_e32 v2, s33, v2
	s_delay_alu instid0(VALU_DEP_1) | instskip(SKIP_4) | instid1(VALU_DEP_1)
	v_fmac_f32_e32 v2, s30, v29
	flat_store_b32 v[32:33], v2
	flat_load_b32 v2, v[34:35] offset:64
	s_wait_loadcnt_dscnt 0x0
	v_mul_f32_e32 v2, s33, v2
	v_fmac_f32_e32 v2, s30, v28
	v_add_nc_u64_e32 v[28:29], v[20:21], v[10:11]
	v_add_nc_u64_e32 v[20:21], s[20:21], v[20:21]
	flat_store_b32 v[32:33], v2 offset:64
	flat_load_b32 v2, v[34:35] offset:128
	s_wait_loadcnt_dscnt 0x0
	v_mul_f32_e32 v2, s33, v2
	s_delay_alu instid0(VALU_DEP_1) | instskip(SKIP_4) | instid1(VALU_DEP_1)
	v_fmac_f32_e32 v2, s30, v27
	flat_store_b32 v[32:33], v2 offset:128
	flat_load_b32 v2, v[34:35] offset:192
	s_wait_loadcnt_dscnt 0x0
	v_mul_f32_e32 v2, s33, v2
	v_fmac_f32_e32 v2, s30, v26
	v_add_nc_u64_e32 v[26:27], v[30:31], v[10:11]
	flat_store_b32 v[32:33], v2 offset:192
	flat_load_b32 v2, v[28:29]
	s_wait_loadcnt_dscnt 0x0
	v_mul_f32_e32 v2, s33, v2
	s_delay_alu instid0(VALU_DEP_1) | instskip(SKIP_4) | instid1(VALU_DEP_1)
	v_fmac_f32_e32 v2, s30, v25
	flat_store_b32 v[26:27], v2
	flat_load_b32 v2, v[28:29] offset:64
	s_wait_loadcnt_dscnt 0x0
	v_mul_f32_e32 v2, s33, v2
	v_fmac_f32_e32 v2, s30, v24
	v_add_nc_u64_e32 v[24:25], v[20:21], v[10:11]
	flat_store_b32 v[26:27], v2 offset:64
	flat_load_b32 v2, v[28:29] offset:128
	s_wait_loadcnt_dscnt 0x0
	v_mul_f32_e32 v2, s33, v2
	s_delay_alu instid0(VALU_DEP_1) | instskip(SKIP_4) | instid1(VALU_DEP_1)
	v_fmac_f32_e32 v2, s30, v23
	flat_store_b32 v[26:27], v2 offset:128
	flat_load_b32 v2, v[28:29] offset:192
	s_wait_loadcnt_dscnt 0x0
	v_mul_f32_e32 v2, s33, v2
	v_fmac_f32_e32 v2, s30, v22
	v_add_nc_u64_e32 v[22:23], s[14:15], v[30:31]
	flat_store_b32 v[26:27], v2 offset:192
	flat_load_b32 v2, v[24:25]
	v_add_nc_u64_e32 v[26:27], v[22:23], v[10:11]
	s_wait_loadcnt_dscnt 0x0
	v_mul_f32_e32 v2, s33, v2
	s_delay_alu instid0(VALU_DEP_1) | instskip(SKIP_4) | instid1(VALU_DEP_1)
	v_fmac_f32_e32 v2, s30, v19
	flat_store_b32 v[26:27], v2
	flat_load_b32 v2, v[24:25] offset:64
	s_wait_loadcnt_dscnt 0x0
	v_mul_f32_e32 v2, s33, v2
	v_fmac_f32_e32 v2, s30, v18
	v_add_nc_u64_e32 v[18:19], s[20:21], v[20:21]
	flat_store_b32 v[26:27], v2 offset:64
	flat_load_b32 v2, v[24:25] offset:128
	v_add_nc_u64_e32 v[18:19], v[18:19], v[10:11]
	s_wait_loadcnt_dscnt 0x0
	v_mul_f32_e32 v2, s33, v2
	s_delay_alu instid0(VALU_DEP_1) | instskip(SKIP_4) | instid1(VALU_DEP_1)
	v_fmac_f32_e32 v2, s30, v17
	flat_store_b32 v[26:27], v2 offset:128
	flat_load_b32 v2, v[24:25] offset:192
	s_wait_loadcnt_dscnt 0x0
	v_mul_f32_e32 v2, s33, v2
	v_fmac_f32_e32 v2, s30, v16
	v_add_nc_u64_e32 v[16:17], s[14:15], v[22:23]
	flat_store_b32 v[26:27], v2 offset:192
	flat_load_b32 v2, v[18:19]
	v_add_nc_u64_e32 v[16:17], v[16:17], v[10:11]
	s_wait_loadcnt_dscnt 0x0
	v_mul_f32_e32 v2, s33, v2
	s_delay_alu instid0(VALU_DEP_1) | instskip(SKIP_4) | instid1(VALU_DEP_1)
	v_fmac_f32_e32 v2, s30, v15
	flat_store_b32 v[16:17], v2
	flat_load_b32 v2, v[18:19] offset:64
	s_wait_loadcnt_dscnt 0x0
	v_mul_f32_e32 v2, s33, v2
	v_fmac_f32_e32 v2, s30, v14
	flat_store_b32 v[16:17], v2 offset:64
	flat_load_b32 v2, v[18:19] offset:128
	s_wait_loadcnt_dscnt 0x0
	v_mul_f32_e32 v2, s33, v2
	s_delay_alu instid0(VALU_DEP_1) | instskip(SKIP_4) | instid1(VALU_DEP_1)
	v_fmac_f32_e32 v2, s30, v13
	flat_store_b32 v[16:17], v2 offset:128
	flat_load_b32 v2, v[18:19] offset:192
	s_wait_loadcnt_dscnt 0x0
	v_mul_f32_e32 v2, s33, v2
	v_fmac_f32_e32 v2, s30, v12
	flat_store_b32 v[16:17], v2 offset:192
	s_branch .LBB33_2
.LBB33_10:
	s_sendmsg sendmsg(MSG_DEALLOC_VGPRS)
	s_endpgm
	.section	.rodata,"a",@progbits
	.p2align	6, 0x0
	.amdhsa_kernel _ZN12_GLOBAL__N_127rocblas_gemm_batched_kernelIfLi16ELi16ELi64ELi64ELi4ELi64ELi4ELi4ELi64ELc67ELc67EKPKfS3_KPfEEvlllT_PT11_llS8_llS6_PT12_llPT13_lli
		.amdhsa_group_segment_fixed_size 2048
		.amdhsa_private_segment_fixed_size 0
		.amdhsa_kernarg_size 140
		.amdhsa_user_sgpr_count 2
		.amdhsa_user_sgpr_dispatch_ptr 0
		.amdhsa_user_sgpr_queue_ptr 0
		.amdhsa_user_sgpr_kernarg_segment_ptr 1
		.amdhsa_user_sgpr_dispatch_id 0
		.amdhsa_user_sgpr_kernarg_preload_length 0
		.amdhsa_user_sgpr_kernarg_preload_offset 0
		.amdhsa_user_sgpr_private_segment_size 0
		.amdhsa_wavefront_size32 1
		.amdhsa_uses_dynamic_stack 0
		.amdhsa_enable_private_segment 0
		.amdhsa_system_sgpr_workgroup_id_x 1
		.amdhsa_system_sgpr_workgroup_id_y 1
		.amdhsa_system_sgpr_workgroup_id_z 1
		.amdhsa_system_sgpr_workgroup_info 0
		.amdhsa_system_vgpr_workitem_id 1
		.amdhsa_next_free_vgpr 78
		.amdhsa_next_free_sgpr 36
		.amdhsa_named_barrier_count 0
		.amdhsa_reserve_vcc 1
		.amdhsa_float_round_mode_32 0
		.amdhsa_float_round_mode_16_64 0
		.amdhsa_float_denorm_mode_32 3
		.amdhsa_float_denorm_mode_16_64 3
		.amdhsa_fp16_overflow 0
		.amdhsa_memory_ordered 1
		.amdhsa_forward_progress 1
		.amdhsa_inst_pref_size 19
		.amdhsa_round_robin_scheduling 0
		.amdhsa_exception_fp_ieee_invalid_op 0
		.amdhsa_exception_fp_denorm_src 0
		.amdhsa_exception_fp_ieee_div_zero 0
		.amdhsa_exception_fp_ieee_overflow 0
		.amdhsa_exception_fp_ieee_underflow 0
		.amdhsa_exception_fp_ieee_inexact 0
		.amdhsa_exception_int_div_zero 0
	.end_amdhsa_kernel
	.section	.text._ZN12_GLOBAL__N_127rocblas_gemm_batched_kernelIfLi16ELi16ELi64ELi64ELi4ELi64ELi4ELi4ELi64ELc67ELc67EKPKfS3_KPfEEvlllT_PT11_llS8_llS6_PT12_llPT13_lli,"axG",@progbits,_ZN12_GLOBAL__N_127rocblas_gemm_batched_kernelIfLi16ELi16ELi64ELi64ELi4ELi64ELi4ELi4ELi64ELc67ELc67EKPKfS3_KPfEEvlllT_PT11_llS8_llS6_PT12_llPT13_lli,comdat
.Lfunc_end33:
	.size	_ZN12_GLOBAL__N_127rocblas_gemm_batched_kernelIfLi16ELi16ELi64ELi64ELi4ELi64ELi4ELi4ELi64ELc67ELc67EKPKfS3_KPfEEvlllT_PT11_llS8_llS6_PT12_llPT13_lli, .Lfunc_end33-_ZN12_GLOBAL__N_127rocblas_gemm_batched_kernelIfLi16ELi16ELi64ELi64ELi4ELi64ELi4ELi4ELi64ELc67ELc67EKPKfS3_KPfEEvlllT_PT11_llS8_llS6_PT12_llPT13_lli
                                        ; -- End function
	.set _ZN12_GLOBAL__N_127rocblas_gemm_batched_kernelIfLi16ELi16ELi64ELi64ELi4ELi64ELi4ELi4ELi64ELc67ELc67EKPKfS3_KPfEEvlllT_PT11_llS8_llS6_PT12_llPT13_lli.num_vgpr, 78
	.set _ZN12_GLOBAL__N_127rocblas_gemm_batched_kernelIfLi16ELi16ELi64ELi64ELi4ELi64ELi4ELi4ELi64ELc67ELc67EKPKfS3_KPfEEvlllT_PT11_llS8_llS6_PT12_llPT13_lli.num_agpr, 0
	.set _ZN12_GLOBAL__N_127rocblas_gemm_batched_kernelIfLi16ELi16ELi64ELi64ELi4ELi64ELi4ELi4ELi64ELc67ELc67EKPKfS3_KPfEEvlllT_PT11_llS8_llS6_PT12_llPT13_lli.numbered_sgpr, 36
	.set _ZN12_GLOBAL__N_127rocblas_gemm_batched_kernelIfLi16ELi16ELi64ELi64ELi4ELi64ELi4ELi4ELi64ELc67ELc67EKPKfS3_KPfEEvlllT_PT11_llS8_llS6_PT12_llPT13_lli.num_named_barrier, 0
	.set _ZN12_GLOBAL__N_127rocblas_gemm_batched_kernelIfLi16ELi16ELi64ELi64ELi4ELi64ELi4ELi4ELi64ELc67ELc67EKPKfS3_KPfEEvlllT_PT11_llS8_llS6_PT12_llPT13_lli.private_seg_size, 0
	.set _ZN12_GLOBAL__N_127rocblas_gemm_batched_kernelIfLi16ELi16ELi64ELi64ELi4ELi64ELi4ELi4ELi64ELc67ELc67EKPKfS3_KPfEEvlllT_PT11_llS8_llS6_PT12_llPT13_lli.uses_vcc, 1
	.set _ZN12_GLOBAL__N_127rocblas_gemm_batched_kernelIfLi16ELi16ELi64ELi64ELi4ELi64ELi4ELi4ELi64ELc67ELc67EKPKfS3_KPfEEvlllT_PT11_llS8_llS6_PT12_llPT13_lli.uses_flat_scratch, 1
	.set _ZN12_GLOBAL__N_127rocblas_gemm_batched_kernelIfLi16ELi16ELi64ELi64ELi4ELi64ELi4ELi4ELi64ELc67ELc67EKPKfS3_KPfEEvlllT_PT11_llS8_llS6_PT12_llPT13_lli.has_dyn_sized_stack, 0
	.set _ZN12_GLOBAL__N_127rocblas_gemm_batched_kernelIfLi16ELi16ELi64ELi64ELi4ELi64ELi4ELi4ELi64ELc67ELc67EKPKfS3_KPfEEvlllT_PT11_llS8_llS6_PT12_llPT13_lli.has_recursion, 0
	.set _ZN12_GLOBAL__N_127rocblas_gemm_batched_kernelIfLi16ELi16ELi64ELi64ELi4ELi64ELi4ELi4ELi64ELc67ELc67EKPKfS3_KPfEEvlllT_PT11_llS8_llS6_PT12_llPT13_lli.has_indirect_call, 0
	.section	.AMDGPU.csdata,"",@progbits
; Kernel info:
; codeLenInByte = 2372
; TotalNumSgprs: 38
; NumVgprs: 78
; ScratchSize: 0
; MemoryBound: 0
; FloatMode: 240
; IeeeMode: 1
; LDSByteSize: 2048 bytes/workgroup (compile time only)
; SGPRBlocks: 0
; VGPRBlocks: 4
; NumSGPRsForWavesPerEU: 38
; NumVGPRsForWavesPerEU: 78
; NamedBarCnt: 0
; Occupancy: 12
; WaveLimiterHint : 1
; COMPUTE_PGM_RSRC2:SCRATCH_EN: 0
; COMPUTE_PGM_RSRC2:USER_SGPR: 2
; COMPUTE_PGM_RSRC2:TRAP_HANDLER: 0
; COMPUTE_PGM_RSRC2:TGID_X_EN: 1
; COMPUTE_PGM_RSRC2:TGID_Y_EN: 1
; COMPUTE_PGM_RSRC2:TGID_Z_EN: 1
; COMPUTE_PGM_RSRC2:TIDIG_COMP_CNT: 1
	.section	.text._ZN12_GLOBAL__N_127rocblas_gemm_batched_kernelIfLi16ELi16ELi64ELi64ELi4ELi64ELi4ELi4ELi64ELc67ELc78EKPKfS3_KPfEEvlllT_PT11_llS8_llS6_PT12_llPT13_lli,"axG",@progbits,_ZN12_GLOBAL__N_127rocblas_gemm_batched_kernelIfLi16ELi16ELi64ELi64ELi4ELi64ELi4ELi4ELi64ELc67ELc78EKPKfS3_KPfEEvlllT_PT11_llS8_llS6_PT12_llPT13_lli,comdat
	.globl	_ZN12_GLOBAL__N_127rocblas_gemm_batched_kernelIfLi16ELi16ELi64ELi64ELi4ELi64ELi4ELi4ELi64ELc67ELc78EKPKfS3_KPfEEvlllT_PT11_llS8_llS6_PT12_llPT13_lli ; -- Begin function _ZN12_GLOBAL__N_127rocblas_gemm_batched_kernelIfLi16ELi16ELi64ELi64ELi4ELi64ELi4ELi4ELi64ELc67ELc78EKPKfS3_KPfEEvlllT_PT11_llS8_llS6_PT12_llPT13_lli
	.p2align	8
	.type	_ZN12_GLOBAL__N_127rocblas_gemm_batched_kernelIfLi16ELi16ELi64ELi64ELi4ELi64ELi4ELi4ELi64ELc67ELc78EKPKfS3_KPfEEvlllT_PT11_llS8_llS6_PT12_llPT13_lli,@function
_ZN12_GLOBAL__N_127rocblas_gemm_batched_kernelIfLi16ELi16ELi64ELi64ELi4ELi64ELi4ELi4ELi64ELc67ELc78EKPKfS3_KPfEEvlllT_PT11_llS8_llS6_PT12_llPT13_lli: ; @_ZN12_GLOBAL__N_127rocblas_gemm_batched_kernelIfLi16ELi16ELi64ELi64ELi4ELi64ELi4ELi4ELi64ELc67ELc78EKPKfS3_KPfEEvlllT_PT11_llS8_llS6_PT12_llPT13_lli
; %bb.0:
	s_load_b32 s31, s[0:1], 0x88
	s_bfe_u32 s2, ttmp6, 0x40014
	s_lshr_b32 s3, ttmp7, 16
	s_add_co_i32 s2, s2, 1
	s_bfe_u32 s4, ttmp6, 0x40008
	s_mul_i32 s2, s3, s2
	s_getreg_b32 s28, hwreg(HW_REG_IB_STS2, 6, 4)
	s_add_co_i32 s4, s4, s2
	s_cmp_eq_u32 s28, 0
	s_cselect_b32 s2, s3, s4
	s_mov_b32 s3, 0
	s_wait_kmcnt 0x0
	s_cmp_ge_i32 s2, s31
	s_cbranch_scc1 .LBB34_10
; %bb.1:
	v_bfe_u32 v2, v0, 10, 10
	v_and_b32_e32 v6, 0x3ff, v0
	s_clause 0x1
	s_load_b256 s[4:11], s[0:1], 0x20
	s_load_b128 s[24:27], s[0:1], 0x40
	s_bfe_u32 s30, ttmp6, 0x4000c
	s_bfe_u32 s34, ttmp6, 0x40010
	v_dual_mov_b32 v3, 0 :: v_dual_lshlrev_b32 v16, 4, v2
	s_and_b32 s33, ttmp7, 0xffff
	s_add_co_i32 s30, s30, 1
	s_add_co_i32 s34, s34, 1
	s_delay_alu instid0(VALU_DEP_1)
	v_dual_add_nc_u32 v17, v16, v6 :: v_dual_mov_b32 v9, v3
	s_and_b32 s29, ttmp6, 15
	s_mul_i32 s30, ttmp9, s30
	s_mul_i32 s34, s33, s34
	s_bfe_u32 s35, ttmp6, 0x40004
	s_add_co_i32 s29, s29, s30
	s_add_co_i32 s35, s35, s34
	s_cmp_eq_u32 s28, 0
	v_dual_lshrrev_b32 v8, 2, v17 :: v_dual_bitop2_b32 v18, 63, v17 bitop3:0x40
	s_cselect_b32 s28, ttmp9, s29
	s_cselect_b32 s30, s33, s35
	s_ashr_i32 s29, s28, 31
	s_lshl_b32 s34, s30, 6
	s_mov_b32 s35, s3
	s_clause 0x1
	s_load_b128 s[20:23], s[0:1], 0x78
	s_load_b256 s[12:19], s[0:1], 0x58
	s_lshl_b64 s[36:37], s[28:29], 6
	v_add_nc_u64_e32 v[4:5], s[34:35], v[8:9]
	v_dual_mov_b32 v11, s37 :: v_dual_bitop2_b32 v10, s36, v18 bitop3:0x54
	s_clause 0x1
	s_load_b32 s33, s[0:1], 0x50
	s_load_b96 s[28:30], s[0:1], 0x10
	v_dual_mov_b32 v7, v3 :: v_dual_lshlrev_b32 v36, 2, v6
	v_lshrrev_b32_e32 v19, 6, v17
	s_wait_kmcnt 0x0
	v_mul_u64_e32 v[10:11], s[6:7], v[10:11]
	v_mul_u64_e32 v[12:13], s[24:25], v[4:5]
	v_add_nc_u64_e32 v[4:5], s[34:35], v[2:3]
	v_lshlrev_b32_e32 v2, 2, v0
	v_add_nc_u32_e32 v37, 0x400, v16
	v_add_nc_u64_e32 v[16:17], s[36:37], v[6:7]
	v_dual_mov_b32 v15, v3 :: v_dual_lshlrev_b32 v18, 2, v18
	s_delay_alu instid0(VALU_DEP_4)
	v_and_b32_e32 v14, 12, v2
	v_mul_u64_e32 v[0:1], s[20:21], v[4:5]
	v_mul_u64_e32 v[4:5], s[14:15], v[4:5]
	v_lshlrev_b32_e32 v2, 2, v19
	v_lshl_or_b32 v38, v19, 8, v18
	v_lshl_or_b32 v20, v8, 4, v14
	s_cmp_eq_f32 s33, 0
	v_cmp_gt_i64_e64 s0, s[28:29], 0
	s_delay_alu instid0(VALU_DEP_2)
	v_add_nc_u32_e32 v39, 0x400, v20
	s_cselect_b32 s1, -1, 0
	s_lshl_b64 s[6:7], s[8:9], 2
	s_lshl_b64 s[8:9], s[26:27], 2
	;; [unrolled: 1-line block ×3, first 2 shown]
	v_cndmask_b32_e64 v21, 0, 1, s0
	s_lshl_b64 s[24:25], s[14:15], 4
	s_lshl_b64 s[14:15], s[16:17], 2
	;; [unrolled: 1-line block ×3, first 2 shown]
	s_delay_alu instid0(VALU_DEP_1)
	v_cmp_ne_u32_e64 s0, 1, v21
	v_lshl_add_u64 v[6:7], v[10:11], 2, s[6:7]
	v_lshl_add_u64 v[8:9], v[12:13], 2, s[8:9]
	v_lshlrev_b64_e32 v[10:11], 2, v[16:17]
	s_lshl_b64 s[6:7], s[22:23], 2
	s_lshl_b64 s[8:9], s[20:21], 2
	v_add_nc_u64_e32 v[6:7], v[6:7], v[2:3]
	v_add_nc_u64_e32 v[8:9], v[8:9], v[14:15]
	s_branch .LBB34_3
.LBB34_2:                               ;   in Loop: Header=BB34_3 Depth=1
	s_add_co_i32 s2, s2, 0x10000
	s_delay_alu instid0(SALU_CYCLE_1)
	s_cmp_lt_i32 s2, s31
	s_cbranch_scc0 .LBB34_10
.LBB34_3:                               ; =>This Loop Header: Depth=1
                                        ;     Child Loop BB34_5 Depth 2
	s_wait_xcnt 0x0
	v_dual_mov_b32 v2, s2 :: v_dual_mov_b32 v29, 0
	v_dual_mov_b32 v28, 0 :: v_dual_mov_b32 v27, 0
	;; [unrolled: 1-line block ×3, first 2 shown]
	s_clause 0x1
	global_load_b64 v[20:21], v2, s[12:13] scale_offset
	global_load_b64 v[30:31], v2, s[18:19] scale_offset
	v_dual_mov_b32 v24, 0 :: v_dual_mov_b32 v23, 0
	v_dual_mov_b32 v22, 0 :: v_dual_mov_b32 v19, 0
	;; [unrolled: 1-line block ×5, first 2 shown]
	v_mov_b32_e32 v12, 0
	s_and_b32 vcc_lo, exec_lo, s0
	s_cbranch_vccnz .LBB34_6
; %bb.4:                                ;   in Loop: Header=BB34_3 Depth=1
	s_lshl_b64 s[20:21], s[2:3], 3
	v_mov_b32_e32 v12, 0
	s_add_nc_u64 s[22:23], s[10:11], s[20:21]
	s_add_nc_u64 s[20:21], s[4:5], s[20:21]
	s_clause 0x1
	global_load_b64 v[28:29], v3, s[22:23]
	global_load_b64 v[34:35], v3, s[20:21]
	s_wait_xcnt 0x0
	s_mov_b64 s[20:21], 0
	v_dual_mov_b32 v13, v12 :: v_dual_mov_b32 v14, v12
	v_dual_mov_b32 v15, v12 :: v_dual_mov_b32 v16, v12
	;; [unrolled: 1-line block ×6, first 2 shown]
	v_mov_b32_e32 v27, v12
	s_wait_loadcnt 0x1
	v_add_nc_u64_e32 v[32:33], v[28:29], v[8:9]
	s_wait_loadcnt 0x0
	v_add_nc_u64_e32 v[34:35], v[34:35], v[6:7]
	v_dual_mov_b32 v28, v12 :: v_dual_mov_b32 v29, v12
.LBB34_5:                               ;   Parent Loop BB34_3 Depth=1
                                        ; =>  This Inner Loop Header: Depth=2
	flat_load_b32 v2, v[34:35]
	s_add_nc_u64 s[20:21], s[20:21], 4
	s_wait_xcnt 0x0
	v_add_nc_u64_e32 v[34:35], 16, v[34:35]
	v_cmp_lt_i64_e64 s22, s[20:21], s[28:29]
	s_and_b32 vcc_lo, exec_lo, s22
	s_wait_loadcnt_dscnt 0x0
	ds_store_b32 v38, v2
	flat_load_b32 v2, v[32:33]
	s_wait_xcnt 0x0
	v_add_nc_u64_e32 v[32:33], 16, v[32:33]
	s_wait_loadcnt_dscnt 0x0
	ds_store_b32 v39, v2
	s_wait_dscnt 0x0
	s_barrier_signal -1
	s_barrier_wait -1
	ds_load_2addr_b32 v[56:57], v36 offset1:16
	ds_load_2addr_b32 v[58:59], v36 offset0:64 offset1:80
	ds_load_2addr_b32 v[60:61], v36 offset0:128 offset1:144
	ds_load_2addr_b32 v[62:63], v36 offset0:192 offset1:208
	ds_load_2addr_b32 v[64:65], v36 offset0:32 offset1:48
	ds_load_2addr_b32 v[66:67], v36 offset0:96 offset1:112
	ds_load_2addr_b32 v[68:69], v36 offset0:160 offset1:176
	ds_load_b128 v[40:43], v37
	ds_load_b128 v[44:47], v37 offset:256
	ds_load_2addr_b32 v[70:71], v36 offset0:224 offset1:240
	ds_load_b128 v[48:51], v37 offset:512
	ds_load_b128 v[52:55], v37 offset:768
	s_wait_dscnt 0x0
	s_barrier_signal -1
	s_barrier_wait -1
	v_dual_mov_b32 v72, v57 :: v_dual_mov_b32 v73, v56
	v_dual_mov_b32 v56, v59 :: v_dual_mov_b32 v57, v58
	;; [unrolled: 1-line block ×6, first 2 shown]
	v_pk_fma_f32 v[28:29], v[72:73], v[40:41], v[28:29] op_sel_hi:[1,0,1]
	v_pk_fma_f32 v[24:25], v[72:73], v[44:45], v[24:25] op_sel_hi:[1,0,1]
	s_delay_alu instid0(VALU_DEP_4)
	v_pk_fma_f32 v[26:27], v[62:63], v[40:41], v[26:27] op_sel_hi:[1,0,1]
	v_pk_fma_f32 v[18:19], v[72:73], v[48:49], v[18:19] op_sel_hi:[1,0,1]
	v_pk_fma_f32 v[14:15], v[72:73], v[52:53], v[14:15] op_sel_hi:[1,0,1]
	v_pk_fma_f32 v[22:23], v[62:63], v[44:45], v[22:23] op_sel_hi:[1,0,1]
	v_pk_fma_f32 v[16:17], v[62:63], v[48:49], v[16:17] op_sel_hi:[1,0,1]
	v_pk_fma_f32 v[12:13], v[62:63], v[52:53], v[12:13] op_sel_hi:[1,0,1]
	v_dual_mov_b32 v66, v69 :: v_dual_mov_b32 v67, v68
	v_pk_fma_f32 v[28:29], v[56:57], v[40:41], v[28:29] op_sel:[0,1,0]
	v_pk_fma_f32 v[26:27], v[64:65], v[40:41], v[26:27] op_sel:[0,1,0]
	;; [unrolled: 1-line block ×8, first 2 shown]
	v_dual_mov_b32 v2, v43 :: v_dual_mov_b32 v68, v71
	v_dual_mov_b32 v69, v70 :: v_dual_mov_b32 v70, v47
	;; [unrolled: 1-line block ×3, first 2 shown]
	v_pk_fma_f32 v[28:29], v[58:59], v[42:43], v[28:29] op_sel_hi:[1,0,1]
	v_pk_fma_f32 v[26:27], v[66:67], v[42:43], v[26:27] op_sel_hi:[1,0,1]
	;; [unrolled: 1-line block ×16, first 2 shown]
	s_cbranch_vccnz .LBB34_5
.LBB34_6:                               ;   in Loop: Header=BB34_3 Depth=1
	s_wait_loadcnt 0x0
	v_add_nc_u64_e32 v[30:31], s[6:7], v[30:31]
	s_and_not1_b32 vcc_lo, exec_lo, s1
	s_delay_alu instid0(VALU_DEP_1) | instskip(NEXT) | instid1(VALU_DEP_1)
	v_lshl_add_u64 v[30:31], v[0:1], 2, v[30:31]
	v_add_nc_u64_e32 v[32:33], v[30:31], v[10:11]
	v_add_nc_u64_e32 v[30:31], s[8:9], v[30:31]
	s_cbranch_vccnz .LBB34_8
; %bb.7:                                ;   in Loop: Header=BB34_3 Depth=1
	s_wait_xcnt 0x0
	v_dual_mul_f32 v2, s30, v29 :: v_dual_mul_f32 v40, s30, v28
	s_delay_alu instid0(VALU_DEP_2)
	v_add_nc_u64_e32 v[34:35], s[8:9], v[30:31]
	v_dual_mul_f32 v41, s30, v27 :: v_dual_mul_f32 v42, s30, v26
	s_clause 0x3
	flat_store_b32 v[32:33], v2
	flat_store_b32 v[32:33], v40 offset:64
	flat_store_b32 v[32:33], v41 offset:128
	;; [unrolled: 1-line block ×3, first 2 shown]
	s_wait_xcnt 0x1
	v_add_nc_u64_e32 v[40:41], v[30:31], v[10:11]
	v_dual_mul_f32 v2, s30, v25 :: v_dual_mul_f32 v44, s30, v24
	s_wait_xcnt 0x0
	v_add_nc_u64_e32 v[42:43], v[34:35], v[10:11]
	v_add_nc_u64_e32 v[34:35], s[8:9], v[34:35]
	v_dual_mul_f32 v45, s30, v23 :: v_dual_mul_f32 v46, s30, v22
	s_clause 0x3
	flat_store_b32 v[40:41], v2
	flat_store_b32 v[40:41], v44 offset:64
	flat_store_b32 v[40:41], v45 offset:128
	;; [unrolled: 1-line block ×3, first 2 shown]
	s_wait_xcnt 0x0
	v_dual_mul_f32 v2, s30, v19 :: v_dual_mul_f32 v40, s30, v18
	v_dual_mul_f32 v41, s30, v17 :: v_dual_mul_f32 v44, s30, v16
	v_add_nc_u64_e32 v[34:35], v[34:35], v[10:11]
	s_clause 0x3
	flat_store_b32 v[42:43], v2
	flat_store_b32 v[42:43], v40 offset:64
	flat_store_b32 v[42:43], v41 offset:128
	;; [unrolled: 1-line block ×3, first 2 shown]
	s_wait_xcnt 0x2
	v_dual_mul_f32 v2, s30, v15 :: v_dual_mul_f32 v40, s30, v14
	s_wait_xcnt 0x0
	v_dual_mul_f32 v41, s30, v13 :: v_dual_mul_f32 v42, s30, v12
	s_clause 0x3
	flat_store_b32 v[34:35], v2
	flat_store_b32 v[34:35], v40 offset:64
	flat_store_b32 v[34:35], v41 offset:128
	;; [unrolled: 1-line block ×3, first 2 shown]
	s_cbranch_execnz .LBB34_2
	s_branch .LBB34_9
.LBB34_8:                               ;   in Loop: Header=BB34_3 Depth=1
.LBB34_9:                               ;   in Loop: Header=BB34_3 Depth=1
	v_add_nc_u64_e32 v[20:21], s[14:15], v[20:21]
	s_delay_alu instid0(VALU_DEP_1) | instskip(SKIP_1) | instid1(VALU_DEP_1)
	v_lshl_add_u64 v[20:21], v[4:5], 2, v[20:21]
	s_wait_xcnt 0x0
	v_add_nc_u64_e32 v[34:35], v[20:21], v[10:11]
	v_add_nc_u64_e32 v[20:21], s[16:17], v[20:21]
	flat_load_b32 v2, v[34:35]
	s_wait_loadcnt_dscnt 0x0
	v_mul_f32_e32 v2, s33, v2
	s_delay_alu instid0(VALU_DEP_1) | instskip(SKIP_4) | instid1(VALU_DEP_1)
	v_fmac_f32_e32 v2, s30, v29
	flat_store_b32 v[32:33], v2
	flat_load_b32 v2, v[34:35] offset:64
	s_wait_loadcnt_dscnt 0x0
	v_mul_f32_e32 v2, s33, v2
	v_fmac_f32_e32 v2, s30, v28
	v_add_nc_u64_e32 v[28:29], v[20:21], v[10:11]
	v_add_nc_u64_e32 v[20:21], s[16:17], v[20:21]
	flat_store_b32 v[32:33], v2 offset:64
	flat_load_b32 v2, v[34:35] offset:128
	s_wait_loadcnt_dscnt 0x0
	v_mul_f32_e32 v2, s33, v2
	s_delay_alu instid0(VALU_DEP_1) | instskip(SKIP_4) | instid1(VALU_DEP_1)
	v_fmac_f32_e32 v2, s30, v27
	flat_store_b32 v[32:33], v2 offset:128
	flat_load_b32 v2, v[34:35] offset:192
	s_wait_loadcnt_dscnt 0x0
	v_mul_f32_e32 v2, s33, v2
	v_fmac_f32_e32 v2, s30, v26
	v_add_nc_u64_e32 v[26:27], v[30:31], v[10:11]
	flat_store_b32 v[32:33], v2 offset:192
	flat_load_b32 v2, v[28:29]
	s_wait_loadcnt_dscnt 0x0
	v_mul_f32_e32 v2, s33, v2
	s_delay_alu instid0(VALU_DEP_1) | instskip(SKIP_4) | instid1(VALU_DEP_1)
	v_fmac_f32_e32 v2, s30, v25
	flat_store_b32 v[26:27], v2
	flat_load_b32 v2, v[28:29] offset:64
	s_wait_loadcnt_dscnt 0x0
	v_mul_f32_e32 v2, s33, v2
	v_fmac_f32_e32 v2, s30, v24
	v_add_nc_u64_e32 v[24:25], v[20:21], v[10:11]
	flat_store_b32 v[26:27], v2 offset:64
	flat_load_b32 v2, v[28:29] offset:128
	s_wait_loadcnt_dscnt 0x0
	v_mul_f32_e32 v2, s33, v2
	s_delay_alu instid0(VALU_DEP_1) | instskip(SKIP_4) | instid1(VALU_DEP_1)
	v_fmac_f32_e32 v2, s30, v23
	flat_store_b32 v[26:27], v2 offset:128
	flat_load_b32 v2, v[28:29] offset:192
	s_wait_loadcnt_dscnt 0x0
	v_mul_f32_e32 v2, s33, v2
	v_fmac_f32_e32 v2, s30, v22
	v_add_nc_u64_e32 v[22:23], s[8:9], v[30:31]
	flat_store_b32 v[26:27], v2 offset:192
	flat_load_b32 v2, v[24:25]
	v_add_nc_u64_e32 v[26:27], v[22:23], v[10:11]
	s_wait_loadcnt_dscnt 0x0
	v_mul_f32_e32 v2, s33, v2
	s_delay_alu instid0(VALU_DEP_1) | instskip(SKIP_4) | instid1(VALU_DEP_1)
	v_fmac_f32_e32 v2, s30, v19
	flat_store_b32 v[26:27], v2
	flat_load_b32 v2, v[24:25] offset:64
	s_wait_loadcnt_dscnt 0x0
	v_mul_f32_e32 v2, s33, v2
	v_fmac_f32_e32 v2, s30, v18
	v_add_nc_u64_e32 v[18:19], s[16:17], v[20:21]
	flat_store_b32 v[26:27], v2 offset:64
	flat_load_b32 v2, v[24:25] offset:128
	v_add_nc_u64_e32 v[18:19], v[18:19], v[10:11]
	s_wait_loadcnt_dscnt 0x0
	v_mul_f32_e32 v2, s33, v2
	s_delay_alu instid0(VALU_DEP_1) | instskip(SKIP_4) | instid1(VALU_DEP_1)
	v_fmac_f32_e32 v2, s30, v17
	flat_store_b32 v[26:27], v2 offset:128
	flat_load_b32 v2, v[24:25] offset:192
	s_wait_loadcnt_dscnt 0x0
	v_mul_f32_e32 v2, s33, v2
	v_fmac_f32_e32 v2, s30, v16
	v_add_nc_u64_e32 v[16:17], s[8:9], v[22:23]
	flat_store_b32 v[26:27], v2 offset:192
	flat_load_b32 v2, v[18:19]
	v_add_nc_u64_e32 v[16:17], v[16:17], v[10:11]
	s_wait_loadcnt_dscnt 0x0
	v_mul_f32_e32 v2, s33, v2
	s_delay_alu instid0(VALU_DEP_1) | instskip(SKIP_4) | instid1(VALU_DEP_1)
	v_fmac_f32_e32 v2, s30, v15
	flat_store_b32 v[16:17], v2
	flat_load_b32 v2, v[18:19] offset:64
	s_wait_loadcnt_dscnt 0x0
	v_mul_f32_e32 v2, s33, v2
	v_fmac_f32_e32 v2, s30, v14
	flat_store_b32 v[16:17], v2 offset:64
	flat_load_b32 v2, v[18:19] offset:128
	s_wait_loadcnt_dscnt 0x0
	v_mul_f32_e32 v2, s33, v2
	s_delay_alu instid0(VALU_DEP_1) | instskip(SKIP_4) | instid1(VALU_DEP_1)
	v_fmac_f32_e32 v2, s30, v13
	flat_store_b32 v[16:17], v2 offset:128
	flat_load_b32 v2, v[18:19] offset:192
	s_wait_loadcnt_dscnt 0x0
	v_mul_f32_e32 v2, s33, v2
	v_fmac_f32_e32 v2, s30, v12
	flat_store_b32 v[16:17], v2 offset:192
	s_branch .LBB34_2
.LBB34_10:
	s_sendmsg sendmsg(MSG_DEALLOC_VGPRS)
	s_endpgm
	.section	.rodata,"a",@progbits
	.p2align	6, 0x0
	.amdhsa_kernel _ZN12_GLOBAL__N_127rocblas_gemm_batched_kernelIfLi16ELi16ELi64ELi64ELi4ELi64ELi4ELi4ELi64ELc67ELc78EKPKfS3_KPfEEvlllT_PT11_llS8_llS6_PT12_llPT13_lli
		.amdhsa_group_segment_fixed_size 2048
		.amdhsa_private_segment_fixed_size 0
		.amdhsa_kernarg_size 140
		.amdhsa_user_sgpr_count 2
		.amdhsa_user_sgpr_dispatch_ptr 0
		.amdhsa_user_sgpr_queue_ptr 0
		.amdhsa_user_sgpr_kernarg_segment_ptr 1
		.amdhsa_user_sgpr_dispatch_id 0
		.amdhsa_user_sgpr_kernarg_preload_length 0
		.amdhsa_user_sgpr_kernarg_preload_offset 0
		.amdhsa_user_sgpr_private_segment_size 0
		.amdhsa_wavefront_size32 1
		.amdhsa_uses_dynamic_stack 0
		.amdhsa_enable_private_segment 0
		.amdhsa_system_sgpr_workgroup_id_x 1
		.amdhsa_system_sgpr_workgroup_id_y 1
		.amdhsa_system_sgpr_workgroup_id_z 1
		.amdhsa_system_sgpr_workgroup_info 0
		.amdhsa_system_vgpr_workitem_id 1
		.amdhsa_next_free_vgpr 78
		.amdhsa_next_free_sgpr 38
		.amdhsa_named_barrier_count 0
		.amdhsa_reserve_vcc 1
		.amdhsa_float_round_mode_32 0
		.amdhsa_float_round_mode_16_64 0
		.amdhsa_float_denorm_mode_32 3
		.amdhsa_float_denorm_mode_16_64 3
		.amdhsa_fp16_overflow 0
		.amdhsa_memory_ordered 1
		.amdhsa_forward_progress 1
		.amdhsa_inst_pref_size 19
		.amdhsa_round_robin_scheduling 0
		.amdhsa_exception_fp_ieee_invalid_op 0
		.amdhsa_exception_fp_denorm_src 0
		.amdhsa_exception_fp_ieee_div_zero 0
		.amdhsa_exception_fp_ieee_overflow 0
		.amdhsa_exception_fp_ieee_underflow 0
		.amdhsa_exception_fp_ieee_inexact 0
		.amdhsa_exception_int_div_zero 0
	.end_amdhsa_kernel
	.section	.text._ZN12_GLOBAL__N_127rocblas_gemm_batched_kernelIfLi16ELi16ELi64ELi64ELi4ELi64ELi4ELi4ELi64ELc67ELc78EKPKfS3_KPfEEvlllT_PT11_llS8_llS6_PT12_llPT13_lli,"axG",@progbits,_ZN12_GLOBAL__N_127rocblas_gemm_batched_kernelIfLi16ELi16ELi64ELi64ELi4ELi64ELi4ELi4ELi64ELc67ELc78EKPKfS3_KPfEEvlllT_PT11_llS8_llS6_PT12_llPT13_lli,comdat
.Lfunc_end34:
	.size	_ZN12_GLOBAL__N_127rocblas_gemm_batched_kernelIfLi16ELi16ELi64ELi64ELi4ELi64ELi4ELi4ELi64ELc67ELc78EKPKfS3_KPfEEvlllT_PT11_llS8_llS6_PT12_llPT13_lli, .Lfunc_end34-_ZN12_GLOBAL__N_127rocblas_gemm_batched_kernelIfLi16ELi16ELi64ELi64ELi4ELi64ELi4ELi4ELi64ELc67ELc78EKPKfS3_KPfEEvlllT_PT11_llS8_llS6_PT12_llPT13_lli
                                        ; -- End function
	.set _ZN12_GLOBAL__N_127rocblas_gemm_batched_kernelIfLi16ELi16ELi64ELi64ELi4ELi64ELi4ELi4ELi64ELc67ELc78EKPKfS3_KPfEEvlllT_PT11_llS8_llS6_PT12_llPT13_lli.num_vgpr, 78
	.set _ZN12_GLOBAL__N_127rocblas_gemm_batched_kernelIfLi16ELi16ELi64ELi64ELi4ELi64ELi4ELi4ELi64ELc67ELc78EKPKfS3_KPfEEvlllT_PT11_llS8_llS6_PT12_llPT13_lli.num_agpr, 0
	.set _ZN12_GLOBAL__N_127rocblas_gemm_batched_kernelIfLi16ELi16ELi64ELi64ELi4ELi64ELi4ELi4ELi64ELc67ELc78EKPKfS3_KPfEEvlllT_PT11_llS8_llS6_PT12_llPT13_lli.numbered_sgpr, 38
	.set _ZN12_GLOBAL__N_127rocblas_gemm_batched_kernelIfLi16ELi16ELi64ELi64ELi4ELi64ELi4ELi4ELi64ELc67ELc78EKPKfS3_KPfEEvlllT_PT11_llS8_llS6_PT12_llPT13_lli.num_named_barrier, 0
	.set _ZN12_GLOBAL__N_127rocblas_gemm_batched_kernelIfLi16ELi16ELi64ELi64ELi4ELi64ELi4ELi4ELi64ELc67ELc78EKPKfS3_KPfEEvlllT_PT11_llS8_llS6_PT12_llPT13_lli.private_seg_size, 0
	.set _ZN12_GLOBAL__N_127rocblas_gemm_batched_kernelIfLi16ELi16ELi64ELi64ELi4ELi64ELi4ELi4ELi64ELc67ELc78EKPKfS3_KPfEEvlllT_PT11_llS8_llS6_PT12_llPT13_lli.uses_vcc, 1
	.set _ZN12_GLOBAL__N_127rocblas_gemm_batched_kernelIfLi16ELi16ELi64ELi64ELi4ELi64ELi4ELi4ELi64ELc67ELc78EKPKfS3_KPfEEvlllT_PT11_llS8_llS6_PT12_llPT13_lli.uses_flat_scratch, 1
	.set _ZN12_GLOBAL__N_127rocblas_gemm_batched_kernelIfLi16ELi16ELi64ELi64ELi4ELi64ELi4ELi4ELi64ELc67ELc78EKPKfS3_KPfEEvlllT_PT11_llS8_llS6_PT12_llPT13_lli.has_dyn_sized_stack, 0
	.set _ZN12_GLOBAL__N_127rocblas_gemm_batched_kernelIfLi16ELi16ELi64ELi64ELi4ELi64ELi4ELi4ELi64ELc67ELc78EKPKfS3_KPfEEvlllT_PT11_llS8_llS6_PT12_llPT13_lli.has_recursion, 0
	.set _ZN12_GLOBAL__N_127rocblas_gemm_batched_kernelIfLi16ELi16ELi64ELi64ELi4ELi64ELi4ELi4ELi64ELc67ELc78EKPKfS3_KPfEEvlllT_PT11_llS8_llS6_PT12_llPT13_lli.has_indirect_call, 0
	.section	.AMDGPU.csdata,"",@progbits
; Kernel info:
; codeLenInByte = 2360
; TotalNumSgprs: 40
; NumVgprs: 78
; ScratchSize: 0
; MemoryBound: 0
; FloatMode: 240
; IeeeMode: 1
; LDSByteSize: 2048 bytes/workgroup (compile time only)
; SGPRBlocks: 0
; VGPRBlocks: 4
; NumSGPRsForWavesPerEU: 40
; NumVGPRsForWavesPerEU: 78
; NamedBarCnt: 0
; Occupancy: 12
; WaveLimiterHint : 1
; COMPUTE_PGM_RSRC2:SCRATCH_EN: 0
; COMPUTE_PGM_RSRC2:USER_SGPR: 2
; COMPUTE_PGM_RSRC2:TRAP_HANDLER: 0
; COMPUTE_PGM_RSRC2:TGID_X_EN: 1
; COMPUTE_PGM_RSRC2:TGID_Y_EN: 1
; COMPUTE_PGM_RSRC2:TGID_Z_EN: 1
; COMPUTE_PGM_RSRC2:TIDIG_COMP_CNT: 1
	.section	.text._ZN12_GLOBAL__N_127rocblas_gemm_batched_kernelIfLi16ELi16ELi64ELi64ELi4ELi64ELi4ELi4ELi64ELc67ELc84EKPKfS3_KPfEEvlllT_PT11_llS8_llS6_PT12_llPT13_lli,"axG",@progbits,_ZN12_GLOBAL__N_127rocblas_gemm_batched_kernelIfLi16ELi16ELi64ELi64ELi4ELi64ELi4ELi4ELi64ELc67ELc84EKPKfS3_KPfEEvlllT_PT11_llS8_llS6_PT12_llPT13_lli,comdat
	.globl	_ZN12_GLOBAL__N_127rocblas_gemm_batched_kernelIfLi16ELi16ELi64ELi64ELi4ELi64ELi4ELi4ELi64ELc67ELc84EKPKfS3_KPfEEvlllT_PT11_llS8_llS6_PT12_llPT13_lli ; -- Begin function _ZN12_GLOBAL__N_127rocblas_gemm_batched_kernelIfLi16ELi16ELi64ELi64ELi4ELi64ELi4ELi4ELi64ELc67ELc84EKPKfS3_KPfEEvlllT_PT11_llS8_llS6_PT12_llPT13_lli
	.p2align	8
	.type	_ZN12_GLOBAL__N_127rocblas_gemm_batched_kernelIfLi16ELi16ELi64ELi64ELi4ELi64ELi4ELi4ELi64ELc67ELc84EKPKfS3_KPfEEvlllT_PT11_llS8_llS6_PT12_llPT13_lli,@function
_ZN12_GLOBAL__N_127rocblas_gemm_batched_kernelIfLi16ELi16ELi64ELi64ELi4ELi64ELi4ELi4ELi64ELc67ELc84EKPKfS3_KPfEEvlllT_PT11_llS8_llS6_PT12_llPT13_lli: ; @_ZN12_GLOBAL__N_127rocblas_gemm_batched_kernelIfLi16ELi16ELi64ELi64ELi4ELi64ELi4ELi4ELi64ELc67ELc84EKPKfS3_KPfEEvlllT_PT11_llS8_llS6_PT12_llPT13_lli
; %bb.0:
	s_load_b32 s31, s[0:1], 0x88
	s_bfe_u32 s2, ttmp6, 0x40014
	s_lshr_b32 s3, ttmp7, 16
	s_add_co_i32 s2, s2, 1
	s_bfe_u32 s4, ttmp6, 0x40008
	s_mul_i32 s2, s3, s2
	s_getreg_b32 s28, hwreg(HW_REG_IB_STS2, 6, 4)
	s_add_co_i32 s4, s4, s2
	s_cmp_eq_u32 s28, 0
	s_cselect_b32 s2, s3, s4
	s_mov_b32 s3, 0
	s_wait_kmcnt 0x0
	s_cmp_ge_i32 s2, s31
	s_cbranch_scc1 .LBB35_10
; %bb.1:
	v_bfe_u32 v2, v0, 10, 10
	v_and_b32_e32 v6, 0x3ff, v0
	s_bfe_u32 s30, ttmp6, 0x4000c
	s_bfe_u32 s34, ttmp6, 0x40010
	s_clause 0x2
	s_load_b256 s[4:11], s[0:1], 0x20
	s_load_b128 s[24:27], s[0:1], 0x40
	s_load_b128 s[20:23], s[0:1], 0x78
	v_dual_mov_b32 v3, 0 :: v_dual_lshlrev_b32 v14, 4, v2
	s_and_b32 s33, ttmp7, 0xffff
	s_add_co_i32 s30, s30, 1
	s_add_co_i32 s34, s34, 1
	s_and_b32 s29, ttmp6, 15
	s_mul_i32 s30, ttmp9, s30
	s_mul_i32 s34, s33, s34
	s_bfe_u32 s35, ttmp6, 0x40004
	v_dual_add_nc_u32 v7, v14, v6 :: v_dual_bitop2_b32 v16, 3, v0 bitop3:0x40
	s_add_co_i32 s29, s29, s30
	s_add_co_i32 s35, s35, s34
	s_cmp_eq_u32 s28, 0
	s_delay_alu instid0(VALU_DEP_1)
	v_dual_lshrrev_b32 v8, 2, v7 :: v_dual_bitop2_b32 v15, 63, v7 bitop3:0x40
	s_cselect_b32 s28, ttmp9, s29
	s_cselect_b32 s30, s33, s35
	s_ashr_i32 s29, s28, 31
	s_load_b256 s[12:19], s[0:1], 0x58
	s_lshl_b64 s[34:35], s[28:29], 6
	s_delay_alu instid0(SALU_CYCLE_1)
	v_dual_mov_b32 v9, v3 :: v_dual_bitop2_b32 v0, s34, v15 bitop3:0x54
	v_mov_b32_e32 v1, s35
	s_load_b32 s33, s[0:1], 0x50
	v_add_nc_u32_e32 v39, 0x400, v14
	s_wait_kmcnt 0x0
	v_mad_nc_u64_u32 v[10:11], s24, v16, v[8:9]
	v_lshlrev_b32_e32 v9, 2, v15
	v_mul_u64_e32 v[12:13], s[6:7], v[0:1]
	s_lshl_b32 s6, s30, 6
	s_mov_b32 s7, s3
	s_load_b96 s[28:30], s[0:1], 0x10
	v_add_nc_u64_e32 v[4:5], s[6:7], v[2:3]
	v_dual_lshrrev_b32 v2, 6, v7 :: v_dual_lshlrev_b32 v7, 2, v16
	v_lshlrev_b32_e32 v38, 2, v6
	v_mad_u32 v11, s25, v16, v11
	s_delay_alu instid0(VALU_DEP_3)
	v_lshl_or_b32 v36, v2, 8, v9
	v_mul_u64_e32 v[0:1], s[20:21], v[4:5]
	v_mul_u64_e32 v[4:5], s[14:15], v[4:5]
	v_lshl_or_b32 v15, v8, 4, v7
	v_dual_mov_b32 v7, v3 :: v_dual_lshlrev_b32 v2, 2, v2
	s_cmp_eq_f32 s33, 0
	s_delay_alu instid0(VALU_DEP_2)
	v_add_nc_u32_e32 v37, 0x400, v15
	v_add_nc_u64_e32 v[8:9], s[6:7], v[10:11]
	s_wait_xcnt 0x0
	s_cselect_b32 s1, -1, 0
	v_add_nc_u64_e32 v[10:11], s[34:35], v[6:7]
	s_wait_kmcnt 0x0
	v_cmp_gt_i64_e64 s0, s[28:29], 0
	s_lshl_b64 s[6:7], s[8:9], 2
	s_lshl_b64 s[20:21], s[20:21], 4
	;; [unrolled: 1-line block ×3, first 2 shown]
	v_lshlrev_b64_e32 v[6:7], 2, v[8:9]
	s_lshl_b64 s[8:9], s[22:23], 2
	v_lshlrev_b64_e32 v[10:11], 2, v[10:11]
	s_lshl_b64 s[14:15], s[20:21], 2
	s_lshl_b64 s[16:17], s[16:17], 2
	v_lshl_add_u64 v[8:9], v[12:13], 2, s[6:7]
	v_cndmask_b32_e64 v12, 0, 1, s0
	v_lshl_add_u64 v[6:7], s[26:27], 2, v[6:7]
	s_lshl_b64 s[6:7], s[24:25], 4
	s_lshl_b64 s[20:21], s[34:35], 2
	v_add_nc_u64_e32 v[8:9], v[8:9], v[2:3]
	v_cmp_ne_u32_e64 s0, 1, v12
	s_branch .LBB35_3
.LBB35_2:                               ;   in Loop: Header=BB35_3 Depth=1
	s_add_co_i32 s2, s2, 0x10000
	s_delay_alu instid0(SALU_CYCLE_1)
	s_cmp_lt_i32 s2, s31
	s_cbranch_scc0 .LBB35_10
.LBB35_3:                               ; =>This Loop Header: Depth=1
                                        ;     Child Loop BB35_5 Depth 2
	s_wait_xcnt 0x0
	v_dual_mov_b32 v2, s2 :: v_dual_mov_b32 v29, 0
	v_dual_mov_b32 v28, 0 :: v_dual_mov_b32 v27, 0
	;; [unrolled: 1-line block ×3, first 2 shown]
	s_clause 0x1
	global_load_b64 v[20:21], v2, s[12:13] scale_offset
	global_load_b64 v[30:31], v2, s[18:19] scale_offset
	v_dual_mov_b32 v24, 0 :: v_dual_mov_b32 v23, 0
	v_dual_mov_b32 v22, 0 :: v_dual_mov_b32 v19, 0
	v_dual_mov_b32 v18, 0 :: v_dual_mov_b32 v17, 0
	v_dual_mov_b32 v16, 0 :: v_dual_mov_b32 v15, 0
	v_dual_mov_b32 v14, 0 :: v_dual_mov_b32 v13, 0
	v_mov_b32_e32 v12, 0
	s_and_b32 vcc_lo, exec_lo, s0
	s_cbranch_vccnz .LBB35_6
; %bb.4:                                ;   in Loop: Header=BB35_3 Depth=1
	s_lshl_b64 s[22:23], s[2:3], 3
	v_mov_b32_e32 v12, 0
	s_add_nc_u64 s[24:25], s[10:11], s[22:23]
	s_add_nc_u64 s[22:23], s[4:5], s[22:23]
	s_clause 0x1
	global_load_b64 v[28:29], v3, s[24:25]
	global_load_b64 v[34:35], v3, s[22:23]
	s_wait_xcnt 0x0
	s_mov_b64 s[22:23], 0
	v_dual_mov_b32 v13, v12 :: v_dual_mov_b32 v14, v12
	v_dual_mov_b32 v15, v12 :: v_dual_mov_b32 v16, v12
	;; [unrolled: 1-line block ×6, first 2 shown]
	v_mov_b32_e32 v27, v12
	s_wait_loadcnt 0x1
	v_add_nc_u64_e32 v[32:33], v[28:29], v[6:7]
	s_wait_loadcnt 0x0
	v_add_nc_u64_e32 v[34:35], v[34:35], v[8:9]
	v_dual_mov_b32 v28, v12 :: v_dual_mov_b32 v29, v12
.LBB35_5:                               ;   Parent Loop BB35_3 Depth=1
                                        ; =>  This Inner Loop Header: Depth=2
	flat_load_b32 v2, v[34:35]
	s_add_nc_u64 s[22:23], s[22:23], 4
	s_wait_xcnt 0x0
	v_add_nc_u64_e32 v[34:35], 16, v[34:35]
	v_cmp_lt_i64_e64 s24, s[22:23], s[28:29]
	s_and_b32 vcc_lo, exec_lo, s24
	s_wait_loadcnt_dscnt 0x0
	ds_store_b32 v36, v2
	flat_load_b32 v2, v[32:33]
	s_wait_xcnt 0x0
	v_add_nc_u64_e32 v[32:33], s[6:7], v[32:33]
	s_wait_loadcnt_dscnt 0x0
	ds_store_b32 v37, v2
	s_wait_dscnt 0x0
	s_barrier_signal -1
	s_barrier_wait -1
	ds_load_2addr_b32 v[56:57], v38 offset1:16
	ds_load_2addr_b32 v[58:59], v38 offset0:64 offset1:80
	ds_load_2addr_b32 v[60:61], v38 offset0:128 offset1:144
	;; [unrolled: 1-line block ×6, first 2 shown]
	ds_load_b128 v[40:43], v39
	ds_load_b128 v[44:47], v39 offset:256
	ds_load_2addr_b32 v[70:71], v38 offset0:224 offset1:240
	ds_load_b128 v[48:51], v39 offset:512
	ds_load_b128 v[52:55], v39 offset:768
	s_wait_dscnt 0x0
	s_barrier_signal -1
	s_barrier_wait -1
	v_dual_mov_b32 v72, v57 :: v_dual_mov_b32 v73, v56
	v_dual_mov_b32 v56, v59 :: v_dual_mov_b32 v57, v58
	;; [unrolled: 1-line block ×6, first 2 shown]
	v_pk_fma_f32 v[28:29], v[72:73], v[40:41], v[28:29] op_sel_hi:[1,0,1]
	v_pk_fma_f32 v[24:25], v[72:73], v[44:45], v[24:25] op_sel_hi:[1,0,1]
	s_delay_alu instid0(VALU_DEP_4)
	v_pk_fma_f32 v[26:27], v[62:63], v[40:41], v[26:27] op_sel_hi:[1,0,1]
	v_pk_fma_f32 v[18:19], v[72:73], v[48:49], v[18:19] op_sel_hi:[1,0,1]
	;; [unrolled: 1-line block ×6, first 2 shown]
	v_dual_mov_b32 v66, v69 :: v_dual_mov_b32 v67, v68
	v_pk_fma_f32 v[28:29], v[56:57], v[40:41], v[28:29] op_sel:[0,1,0]
	v_pk_fma_f32 v[26:27], v[64:65], v[40:41], v[26:27] op_sel:[0,1,0]
	;; [unrolled: 1-line block ×8, first 2 shown]
	v_dual_mov_b32 v2, v43 :: v_dual_mov_b32 v68, v71
	v_dual_mov_b32 v69, v70 :: v_dual_mov_b32 v70, v47
	;; [unrolled: 1-line block ×3, first 2 shown]
	v_pk_fma_f32 v[28:29], v[58:59], v[42:43], v[28:29] op_sel_hi:[1,0,1]
	v_pk_fma_f32 v[26:27], v[66:67], v[42:43], v[26:27] op_sel_hi:[1,0,1]
	;; [unrolled: 1-line block ×16, first 2 shown]
	s_cbranch_vccnz .LBB35_5
.LBB35_6:                               ;   in Loop: Header=BB35_3 Depth=1
	s_wait_loadcnt 0x0
	v_add_nc_u64_e32 v[30:31], s[8:9], v[30:31]
	s_and_not1_b32 vcc_lo, exec_lo, s1
	s_delay_alu instid0(VALU_DEP_1) | instskip(NEXT) | instid1(VALU_DEP_1)
	v_lshl_add_u64 v[30:31], v[0:1], 2, v[30:31]
	v_add_nc_u64_e32 v[32:33], v[30:31], v[10:11]
	v_add_nc_u64_e32 v[30:31], s[14:15], v[30:31]
	s_cbranch_vccnz .LBB35_8
; %bb.7:                                ;   in Loop: Header=BB35_3 Depth=1
	s_wait_xcnt 0x0
	v_dual_mul_f32 v2, s30, v29 :: v_dual_mul_f32 v40, s30, v28
	s_delay_alu instid0(VALU_DEP_2)
	v_add_nc_u64_e32 v[34:35], s[14:15], v[30:31]
	v_dual_mul_f32 v41, s30, v27 :: v_dual_mul_f32 v42, s30, v26
	s_clause 0x3
	flat_store_b32 v[32:33], v2
	flat_store_b32 v[32:33], v40 offset:64
	flat_store_b32 v[32:33], v41 offset:128
	;; [unrolled: 1-line block ×3, first 2 shown]
	s_wait_xcnt 0x1
	v_add_nc_u64_e32 v[40:41], v[30:31], v[10:11]
	v_dual_mul_f32 v2, s30, v25 :: v_dual_mul_f32 v44, s30, v24
	s_wait_xcnt 0x0
	v_add_nc_u64_e32 v[42:43], v[34:35], v[10:11]
	v_add_nc_u64_e32 v[34:35], s[14:15], v[34:35]
	v_dual_mul_f32 v45, s30, v23 :: v_dual_mul_f32 v46, s30, v22
	s_clause 0x3
	flat_store_b32 v[40:41], v2
	flat_store_b32 v[40:41], v44 offset:64
	flat_store_b32 v[40:41], v45 offset:128
	;; [unrolled: 1-line block ×3, first 2 shown]
	s_wait_xcnt 0x0
	v_dual_mul_f32 v2, s30, v19 :: v_dual_mul_f32 v40, s30, v18
	v_dual_mul_f32 v41, s30, v17 :: v_dual_mul_f32 v44, s30, v16
	v_add_nc_u64_e32 v[34:35], v[34:35], v[10:11]
	s_clause 0x3
	flat_store_b32 v[42:43], v2
	flat_store_b32 v[42:43], v40 offset:64
	flat_store_b32 v[42:43], v41 offset:128
	;; [unrolled: 1-line block ×3, first 2 shown]
	s_wait_xcnt 0x2
	v_dual_mul_f32 v2, s30, v15 :: v_dual_mul_f32 v40, s30, v14
	s_wait_xcnt 0x0
	v_dual_mul_f32 v41, s30, v13 :: v_dual_mul_f32 v42, s30, v12
	s_clause 0x3
	flat_store_b32 v[34:35], v2
	flat_store_b32 v[34:35], v40 offset:64
	flat_store_b32 v[34:35], v41 offset:128
	;; [unrolled: 1-line block ×3, first 2 shown]
	s_cbranch_execnz .LBB35_2
	s_branch .LBB35_9
.LBB35_8:                               ;   in Loop: Header=BB35_3 Depth=1
.LBB35_9:                               ;   in Loop: Header=BB35_3 Depth=1
	v_add_nc_u64_e32 v[20:21], s[16:17], v[20:21]
	s_delay_alu instid0(VALU_DEP_1) | instskip(SKIP_1) | instid1(VALU_DEP_1)
	v_lshl_add_u64 v[20:21], v[4:5], 2, v[20:21]
	s_wait_xcnt 0x0
	v_add_nc_u64_e32 v[34:35], v[20:21], v[10:11]
	v_add_nc_u64_e32 v[20:21], s[20:21], v[20:21]
	flat_load_b32 v2, v[34:35]
	s_wait_loadcnt_dscnt 0x0
	v_mul_f32_e32 v2, s33, v2
	s_delay_alu instid0(VALU_DEP_1) | instskip(SKIP_4) | instid1(VALU_DEP_1)
	v_fmac_f32_e32 v2, s30, v29
	flat_store_b32 v[32:33], v2
	flat_load_b32 v2, v[34:35] offset:64
	s_wait_loadcnt_dscnt 0x0
	v_mul_f32_e32 v2, s33, v2
	v_fmac_f32_e32 v2, s30, v28
	v_add_nc_u64_e32 v[28:29], v[20:21], v[10:11]
	v_add_nc_u64_e32 v[20:21], s[20:21], v[20:21]
	flat_store_b32 v[32:33], v2 offset:64
	flat_load_b32 v2, v[34:35] offset:128
	s_wait_loadcnt_dscnt 0x0
	v_mul_f32_e32 v2, s33, v2
	s_delay_alu instid0(VALU_DEP_1) | instskip(SKIP_4) | instid1(VALU_DEP_1)
	v_fmac_f32_e32 v2, s30, v27
	flat_store_b32 v[32:33], v2 offset:128
	flat_load_b32 v2, v[34:35] offset:192
	s_wait_loadcnt_dscnt 0x0
	v_mul_f32_e32 v2, s33, v2
	v_fmac_f32_e32 v2, s30, v26
	v_add_nc_u64_e32 v[26:27], v[30:31], v[10:11]
	flat_store_b32 v[32:33], v2 offset:192
	flat_load_b32 v2, v[28:29]
	s_wait_loadcnt_dscnt 0x0
	v_mul_f32_e32 v2, s33, v2
	s_delay_alu instid0(VALU_DEP_1) | instskip(SKIP_4) | instid1(VALU_DEP_1)
	v_fmac_f32_e32 v2, s30, v25
	flat_store_b32 v[26:27], v2
	flat_load_b32 v2, v[28:29] offset:64
	s_wait_loadcnt_dscnt 0x0
	v_mul_f32_e32 v2, s33, v2
	v_fmac_f32_e32 v2, s30, v24
	v_add_nc_u64_e32 v[24:25], v[20:21], v[10:11]
	flat_store_b32 v[26:27], v2 offset:64
	flat_load_b32 v2, v[28:29] offset:128
	s_wait_loadcnt_dscnt 0x0
	v_mul_f32_e32 v2, s33, v2
	s_delay_alu instid0(VALU_DEP_1) | instskip(SKIP_4) | instid1(VALU_DEP_1)
	v_fmac_f32_e32 v2, s30, v23
	flat_store_b32 v[26:27], v2 offset:128
	flat_load_b32 v2, v[28:29] offset:192
	s_wait_loadcnt_dscnt 0x0
	v_mul_f32_e32 v2, s33, v2
	v_fmac_f32_e32 v2, s30, v22
	v_add_nc_u64_e32 v[22:23], s[14:15], v[30:31]
	flat_store_b32 v[26:27], v2 offset:192
	flat_load_b32 v2, v[24:25]
	v_add_nc_u64_e32 v[26:27], v[22:23], v[10:11]
	s_wait_loadcnt_dscnt 0x0
	v_mul_f32_e32 v2, s33, v2
	s_delay_alu instid0(VALU_DEP_1) | instskip(SKIP_4) | instid1(VALU_DEP_1)
	v_fmac_f32_e32 v2, s30, v19
	flat_store_b32 v[26:27], v2
	flat_load_b32 v2, v[24:25] offset:64
	s_wait_loadcnt_dscnt 0x0
	v_mul_f32_e32 v2, s33, v2
	v_fmac_f32_e32 v2, s30, v18
	v_add_nc_u64_e32 v[18:19], s[20:21], v[20:21]
	flat_store_b32 v[26:27], v2 offset:64
	flat_load_b32 v2, v[24:25] offset:128
	v_add_nc_u64_e32 v[18:19], v[18:19], v[10:11]
	s_wait_loadcnt_dscnt 0x0
	v_mul_f32_e32 v2, s33, v2
	s_delay_alu instid0(VALU_DEP_1) | instskip(SKIP_4) | instid1(VALU_DEP_1)
	v_fmac_f32_e32 v2, s30, v17
	flat_store_b32 v[26:27], v2 offset:128
	flat_load_b32 v2, v[24:25] offset:192
	s_wait_loadcnt_dscnt 0x0
	v_mul_f32_e32 v2, s33, v2
	v_fmac_f32_e32 v2, s30, v16
	v_add_nc_u64_e32 v[16:17], s[14:15], v[22:23]
	flat_store_b32 v[26:27], v2 offset:192
	flat_load_b32 v2, v[18:19]
	v_add_nc_u64_e32 v[16:17], v[16:17], v[10:11]
	s_wait_loadcnt_dscnt 0x0
	v_mul_f32_e32 v2, s33, v2
	s_delay_alu instid0(VALU_DEP_1) | instskip(SKIP_4) | instid1(VALU_DEP_1)
	v_fmac_f32_e32 v2, s30, v15
	flat_store_b32 v[16:17], v2
	flat_load_b32 v2, v[18:19] offset:64
	s_wait_loadcnt_dscnt 0x0
	v_mul_f32_e32 v2, s33, v2
	v_fmac_f32_e32 v2, s30, v14
	flat_store_b32 v[16:17], v2 offset:64
	flat_load_b32 v2, v[18:19] offset:128
	s_wait_loadcnt_dscnt 0x0
	v_mul_f32_e32 v2, s33, v2
	s_delay_alu instid0(VALU_DEP_1) | instskip(SKIP_4) | instid1(VALU_DEP_1)
	v_fmac_f32_e32 v2, s30, v13
	flat_store_b32 v[16:17], v2 offset:128
	flat_load_b32 v2, v[18:19] offset:192
	s_wait_loadcnt_dscnt 0x0
	v_mul_f32_e32 v2, s33, v2
	v_fmac_f32_e32 v2, s30, v12
	flat_store_b32 v[16:17], v2 offset:192
	s_branch .LBB35_2
.LBB35_10:
	s_sendmsg sendmsg(MSG_DEALLOC_VGPRS)
	s_endpgm
	.section	.rodata,"a",@progbits
	.p2align	6, 0x0
	.amdhsa_kernel _ZN12_GLOBAL__N_127rocblas_gemm_batched_kernelIfLi16ELi16ELi64ELi64ELi4ELi64ELi4ELi4ELi64ELc67ELc84EKPKfS3_KPfEEvlllT_PT11_llS8_llS6_PT12_llPT13_lli
		.amdhsa_group_segment_fixed_size 2048
		.amdhsa_private_segment_fixed_size 0
		.amdhsa_kernarg_size 140
		.amdhsa_user_sgpr_count 2
		.amdhsa_user_sgpr_dispatch_ptr 0
		.amdhsa_user_sgpr_queue_ptr 0
		.amdhsa_user_sgpr_kernarg_segment_ptr 1
		.amdhsa_user_sgpr_dispatch_id 0
		.amdhsa_user_sgpr_kernarg_preload_length 0
		.amdhsa_user_sgpr_kernarg_preload_offset 0
		.amdhsa_user_sgpr_private_segment_size 0
		.amdhsa_wavefront_size32 1
		.amdhsa_uses_dynamic_stack 0
		.amdhsa_enable_private_segment 0
		.amdhsa_system_sgpr_workgroup_id_x 1
		.amdhsa_system_sgpr_workgroup_id_y 1
		.amdhsa_system_sgpr_workgroup_id_z 1
		.amdhsa_system_sgpr_workgroup_info 0
		.amdhsa_system_vgpr_workitem_id 1
		.amdhsa_next_free_vgpr 78
		.amdhsa_next_free_sgpr 36
		.amdhsa_named_barrier_count 0
		.amdhsa_reserve_vcc 1
		.amdhsa_float_round_mode_32 0
		.amdhsa_float_round_mode_16_64 0
		.amdhsa_float_denorm_mode_32 3
		.amdhsa_float_denorm_mode_16_64 3
		.amdhsa_fp16_overflow 0
		.amdhsa_memory_ordered 1
		.amdhsa_forward_progress 1
		.amdhsa_inst_pref_size 19
		.amdhsa_round_robin_scheduling 0
		.amdhsa_exception_fp_ieee_invalid_op 0
		.amdhsa_exception_fp_denorm_src 0
		.amdhsa_exception_fp_ieee_div_zero 0
		.amdhsa_exception_fp_ieee_overflow 0
		.amdhsa_exception_fp_ieee_underflow 0
		.amdhsa_exception_fp_ieee_inexact 0
		.amdhsa_exception_int_div_zero 0
	.end_amdhsa_kernel
	.section	.text._ZN12_GLOBAL__N_127rocblas_gemm_batched_kernelIfLi16ELi16ELi64ELi64ELi4ELi64ELi4ELi4ELi64ELc67ELc84EKPKfS3_KPfEEvlllT_PT11_llS8_llS6_PT12_llPT13_lli,"axG",@progbits,_ZN12_GLOBAL__N_127rocblas_gemm_batched_kernelIfLi16ELi16ELi64ELi64ELi4ELi64ELi4ELi4ELi64ELc67ELc84EKPKfS3_KPfEEvlllT_PT11_llS8_llS6_PT12_llPT13_lli,comdat
.Lfunc_end35:
	.size	_ZN12_GLOBAL__N_127rocblas_gemm_batched_kernelIfLi16ELi16ELi64ELi64ELi4ELi64ELi4ELi4ELi64ELc67ELc84EKPKfS3_KPfEEvlllT_PT11_llS8_llS6_PT12_llPT13_lli, .Lfunc_end35-_ZN12_GLOBAL__N_127rocblas_gemm_batched_kernelIfLi16ELi16ELi64ELi64ELi4ELi64ELi4ELi4ELi64ELc67ELc84EKPKfS3_KPfEEvlllT_PT11_llS8_llS6_PT12_llPT13_lli
                                        ; -- End function
	.set _ZN12_GLOBAL__N_127rocblas_gemm_batched_kernelIfLi16ELi16ELi64ELi64ELi4ELi64ELi4ELi4ELi64ELc67ELc84EKPKfS3_KPfEEvlllT_PT11_llS8_llS6_PT12_llPT13_lli.num_vgpr, 78
	.set _ZN12_GLOBAL__N_127rocblas_gemm_batched_kernelIfLi16ELi16ELi64ELi64ELi4ELi64ELi4ELi4ELi64ELc67ELc84EKPKfS3_KPfEEvlllT_PT11_llS8_llS6_PT12_llPT13_lli.num_agpr, 0
	.set _ZN12_GLOBAL__N_127rocblas_gemm_batched_kernelIfLi16ELi16ELi64ELi64ELi4ELi64ELi4ELi4ELi64ELc67ELc84EKPKfS3_KPfEEvlllT_PT11_llS8_llS6_PT12_llPT13_lli.numbered_sgpr, 36
	.set _ZN12_GLOBAL__N_127rocblas_gemm_batched_kernelIfLi16ELi16ELi64ELi64ELi4ELi64ELi4ELi4ELi64ELc67ELc84EKPKfS3_KPfEEvlllT_PT11_llS8_llS6_PT12_llPT13_lli.num_named_barrier, 0
	.set _ZN12_GLOBAL__N_127rocblas_gemm_batched_kernelIfLi16ELi16ELi64ELi64ELi4ELi64ELi4ELi4ELi64ELc67ELc84EKPKfS3_KPfEEvlllT_PT11_llS8_llS6_PT12_llPT13_lli.private_seg_size, 0
	.set _ZN12_GLOBAL__N_127rocblas_gemm_batched_kernelIfLi16ELi16ELi64ELi64ELi4ELi64ELi4ELi4ELi64ELc67ELc84EKPKfS3_KPfEEvlllT_PT11_llS8_llS6_PT12_llPT13_lli.uses_vcc, 1
	.set _ZN12_GLOBAL__N_127rocblas_gemm_batched_kernelIfLi16ELi16ELi64ELi64ELi4ELi64ELi4ELi4ELi64ELc67ELc84EKPKfS3_KPfEEvlllT_PT11_llS8_llS6_PT12_llPT13_lli.uses_flat_scratch, 1
	.set _ZN12_GLOBAL__N_127rocblas_gemm_batched_kernelIfLi16ELi16ELi64ELi64ELi4ELi64ELi4ELi4ELi64ELc67ELc84EKPKfS3_KPfEEvlllT_PT11_llS8_llS6_PT12_llPT13_lli.has_dyn_sized_stack, 0
	.set _ZN12_GLOBAL__N_127rocblas_gemm_batched_kernelIfLi16ELi16ELi64ELi64ELi4ELi64ELi4ELi4ELi64ELc67ELc84EKPKfS3_KPfEEvlllT_PT11_llS8_llS6_PT12_llPT13_lli.has_recursion, 0
	.set _ZN12_GLOBAL__N_127rocblas_gemm_batched_kernelIfLi16ELi16ELi64ELi64ELi4ELi64ELi4ELi4ELi64ELc67ELc84EKPKfS3_KPfEEvlllT_PT11_llS8_llS6_PT12_llPT13_lli.has_indirect_call, 0
	.section	.AMDGPU.csdata,"",@progbits
; Kernel info:
; codeLenInByte = 2372
; TotalNumSgprs: 38
; NumVgprs: 78
; ScratchSize: 0
; MemoryBound: 0
; FloatMode: 240
; IeeeMode: 1
; LDSByteSize: 2048 bytes/workgroup (compile time only)
; SGPRBlocks: 0
; VGPRBlocks: 4
; NumSGPRsForWavesPerEU: 38
; NumVGPRsForWavesPerEU: 78
; NamedBarCnt: 0
; Occupancy: 12
; WaveLimiterHint : 1
; COMPUTE_PGM_RSRC2:SCRATCH_EN: 0
; COMPUTE_PGM_RSRC2:USER_SGPR: 2
; COMPUTE_PGM_RSRC2:TRAP_HANDLER: 0
; COMPUTE_PGM_RSRC2:TGID_X_EN: 1
; COMPUTE_PGM_RSRC2:TGID_Y_EN: 1
; COMPUTE_PGM_RSRC2:TGID_Z_EN: 1
; COMPUTE_PGM_RSRC2:TIDIG_COMP_CNT: 1
	.section	.text._ZN12_GLOBAL__N_127rocblas_gemm_batched_kernelIfLi16ELi16ELi64ELi64ELi4ELi64ELi4ELi4ELi64ELc78ELc67EKPKfS3_KPfEEvlllT_PT11_llS8_llS6_PT12_llPT13_lli,"axG",@progbits,_ZN12_GLOBAL__N_127rocblas_gemm_batched_kernelIfLi16ELi16ELi64ELi64ELi4ELi64ELi4ELi4ELi64ELc78ELc67EKPKfS3_KPfEEvlllT_PT11_llS8_llS6_PT12_llPT13_lli,comdat
	.globl	_ZN12_GLOBAL__N_127rocblas_gemm_batched_kernelIfLi16ELi16ELi64ELi64ELi4ELi64ELi4ELi4ELi64ELc78ELc67EKPKfS3_KPfEEvlllT_PT11_llS8_llS6_PT12_llPT13_lli ; -- Begin function _ZN12_GLOBAL__N_127rocblas_gemm_batched_kernelIfLi16ELi16ELi64ELi64ELi4ELi64ELi4ELi4ELi64ELc78ELc67EKPKfS3_KPfEEvlllT_PT11_llS8_llS6_PT12_llPT13_lli
	.p2align	8
	.type	_ZN12_GLOBAL__N_127rocblas_gemm_batched_kernelIfLi16ELi16ELi64ELi64ELi4ELi64ELi4ELi4ELi64ELc78ELc67EKPKfS3_KPfEEvlllT_PT11_llS8_llS6_PT12_llPT13_lli,@function
_ZN12_GLOBAL__N_127rocblas_gemm_batched_kernelIfLi16ELi16ELi64ELi64ELi4ELi64ELi4ELi4ELi64ELc78ELc67EKPKfS3_KPfEEvlllT_PT11_llS8_llS6_PT12_llPT13_lli: ; @_ZN12_GLOBAL__N_127rocblas_gemm_batched_kernelIfLi16ELi16ELi64ELi64ELi4ELi64ELi4ELi4ELi64ELc78ELc67EKPKfS3_KPfEEvlllT_PT11_llS8_llS6_PT12_llPT13_lli
; %bb.0:
	s_load_b32 s31, s[0:1], 0x88
	s_bfe_u32 s2, ttmp6, 0x40014
	s_lshr_b32 s3, ttmp7, 16
	s_add_co_i32 s2, s2, 1
	s_bfe_u32 s4, ttmp6, 0x40008
	s_mul_i32 s2, s3, s2
	s_getreg_b32 s28, hwreg(HW_REG_IB_STS2, 6, 4)
	s_add_co_i32 s4, s4, s2
	s_cmp_eq_u32 s28, 0
	s_cselect_b32 s2, s3, s4
	s_mov_b32 s3, 0
	s_wait_kmcnt 0x0
	s_cmp_ge_i32 s2, s31
	s_cbranch_scc1 .LBB36_10
; %bb.1:
	v_bfe_u32 v2, v0, 10, 10
	s_clause 0x2
	s_load_b256 s[4:11], s[0:1], 0x20
	s_load_b128 s[24:27], s[0:1], 0x40
	s_load_b32 s33, s[0:1], 0x50
	v_and_b32_e32 v6, 0x3ff, v0
	s_bfe_u32 s29, ttmp6, 0x4000c
	s_bfe_u32 s34, ttmp6, 0x40010
	v_dual_mov_b32 v3, 0 :: v_dual_lshlrev_b32 v16, 4, v2
	s_add_co_i32 s29, s29, 1
	s_and_b32 s35, ttmp7, 0xffff
	s_add_co_i32 s34, s34, 1
	s_and_b32 s30, ttmp6, 15
	s_mul_i32 s29, ttmp9, s29
	s_mul_i32 s34, s35, s34
	s_bfe_u32 s36, ttmp6, 0x40004
	v_dual_add_nc_u32 v1, v16, v6 :: v_dual_bitop2_b32 v0, 3, v0 bitop3:0x40
	s_clause 0x1
	s_load_b128 s[20:23], s[0:1], 0x78
	s_load_b256 s[12:19], s[0:1], 0x58
	s_add_co_i32 s30, s30, s29
	s_add_co_i32 s36, s36, s34
	s_cmp_eq_u32 s28, 0
	v_dual_mov_b32 v9, v3 :: v_dual_lshrrev_b32 v8, 2, v1
	s_cselect_b32 s28, ttmp9, s30
	v_dual_lshrrev_b32 v17, 6, v1 :: v_dual_bitop2_b32 v14, 63, v1 bitop3:0x40
	s_cselect_b32 s30, s35, s36
	s_ashr_i32 s29, s28, 31
	s_wait_kmcnt 0x0
	v_mad_nc_u64_u32 v[10:11], s24, v0, v[8:9]
	s_lshl_b64 s[34:35], s[28:29], 6
	s_lshl_b32 s36, s30, 6
	v_mad_nc_u64_u32 v[12:13], s6, v17, s[34:35]
	s_mov_b32 s37, s3
	s_load_b96 s[28:30], s[0:1], 0x10
	v_add_nc_u64_e32 v[4:5], s[36:37], v[2:3]
	v_dual_lshlrev_b32 v2, 2, v0 :: v_dual_lshlrev_b32 v18, 2, v14
	v_dual_mov_b32 v15, v3 :: v_dual_mov_b32 v7, v3
	v_mad_u32 v11, s25, v0, v11
	s_delay_alu instid0(VALU_DEP_3)
	v_lshl_or_b32 v19, v8, 4, v2
	v_mul_u64_e32 v[0:1], s[20:21], v[4:5]
	v_mad_u32 v13, s7, v17, v13
	v_mul_u64_e32 v[4:5], s[14:15], v[4:5]
	s_cmp_eq_f32 s33, 0
	v_lshlrev_b32_e32 v37, 2, v6
	v_lshl_or_b32 v2, v17, 8, v18
	v_add_nc_u32_e32 v36, 0x400, v19
	v_add_nc_u32_e32 v38, 0x400, v16
	s_wait_xcnt 0x0
	s_cselect_b32 s1, -1, 0
	v_add_nc_u64_e32 v[8:9], s[36:37], v[10:11]
	s_lshl_b64 s[20:21], s[20:21], 4
	s_lshl_b64 s[6:7], s[6:7], 4
	v_add_nc_u64_e32 v[10:11], v[12:13], v[14:15]
	s_wait_kmcnt 0x0
	v_cmp_gt_i64_e64 s0, s[28:29], 0
	v_add_nc_u64_e32 v[12:13], s[34:35], v[6:7]
	s_lshl_b64 s[34:35], s[14:15], 4
	v_lshlrev_b64_e32 v[8:9], 2, v[8:9]
	s_lshl_b64 s[14:15], s[24:25], 4
	s_lshl_b64 s[20:21], s[20:21], 2
	v_lshlrev_b64_e32 v[10:11], 2, v[10:11]
	v_cndmask_b32_e64 v14, 0, 1, s0
	s_lshl_b64 s[16:17], s[16:17], 2
	s_delay_alu instid0(VALU_DEP_3) | instskip(NEXT) | instid1(VALU_DEP_2)
	v_lshl_add_u64 v[6:7], s[26:27], 2, v[8:9]
	v_cmp_ne_u32_e64 s0, 1, v14
	s_delay_alu instid0(VALU_DEP_4)
	v_lshl_add_u64 v[8:9], s[8:9], 2, v[10:11]
	v_lshlrev_b64_e32 v[10:11], 2, v[12:13]
	s_lshl_b64 s[8:9], s[22:23], 2
	s_lshl_b64 s[22:23], s[34:35], 2
	s_branch .LBB36_3
.LBB36_2:                               ;   in Loop: Header=BB36_3 Depth=1
	s_add_co_i32 s2, s2, 0x10000
	s_delay_alu instid0(SALU_CYCLE_1)
	s_cmp_lt_i32 s2, s31
	s_cbranch_scc0 .LBB36_10
.LBB36_3:                               ; =>This Loop Header: Depth=1
                                        ;     Child Loop BB36_5 Depth 2
	v_dual_mov_b32 v12, s2 :: v_dual_mov_b32 v29, 0
	v_dual_mov_b32 v28, 0 :: v_dual_mov_b32 v27, 0
	;; [unrolled: 1-line block ×3, first 2 shown]
	s_clause 0x1
	global_load_b64 v[20:21], v12, s[12:13] scale_offset
	global_load_b64 v[30:31], v12, s[18:19] scale_offset
	v_dual_mov_b32 v24, 0 :: v_dual_mov_b32 v23, 0
	s_wait_xcnt 0x3
	v_dual_mov_b32 v22, 0 :: v_dual_mov_b32 v19, 0
	s_wait_xcnt 0x2
	v_dual_mov_b32 v18, 0 :: v_dual_mov_b32 v17, 0
	v_dual_mov_b32 v16, 0 :: v_dual_mov_b32 v15, 0
	;; [unrolled: 1-line block ×3, first 2 shown]
	s_wait_xcnt 0x0
	v_mov_b32_e32 v12, 0
	s_and_b32 vcc_lo, exec_lo, s0
	s_cbranch_vccnz .LBB36_6
; %bb.4:                                ;   in Loop: Header=BB36_3 Depth=1
	s_lshl_b64 s[24:25], s[2:3], 3
	v_mov_b32_e32 v12, 0
	s_add_nc_u64 s[26:27], s[10:11], s[24:25]
	s_add_nc_u64 s[24:25], s[4:5], s[24:25]
	s_clause 0x1
	global_load_b64 v[28:29], v3, s[26:27]
	global_load_b64 v[34:35], v3, s[24:25]
	s_wait_xcnt 0x0
	s_mov_b64 s[24:25], 0
	v_dual_mov_b32 v13, v12 :: v_dual_mov_b32 v14, v12
	v_dual_mov_b32 v15, v12 :: v_dual_mov_b32 v16, v12
	;; [unrolled: 1-line block ×6, first 2 shown]
	v_mov_b32_e32 v27, v12
	s_wait_loadcnt 0x1
	v_add_nc_u64_e32 v[32:33], v[28:29], v[6:7]
	s_wait_loadcnt 0x0
	v_add_nc_u64_e32 v[34:35], v[34:35], v[8:9]
	v_dual_mov_b32 v28, v12 :: v_dual_mov_b32 v29, v12
.LBB36_5:                               ;   Parent Loop BB36_3 Depth=1
                                        ; =>  This Inner Loop Header: Depth=2
	flat_load_b32 v39, v[34:35]
	s_add_nc_u64 s[24:25], s[24:25], 4
	s_wait_xcnt 0x0
	v_add_nc_u64_e32 v[34:35], s[6:7], v[34:35]
	v_cmp_lt_i64_e64 s26, s[24:25], s[28:29]
	s_and_b32 vcc_lo, exec_lo, s26
	s_wait_loadcnt_dscnt 0x0
	ds_store_b32 v2, v39
	flat_load_b32 v39, v[32:33]
	s_wait_xcnt 0x0
	v_add_nc_u64_e32 v[32:33], s[14:15], v[32:33]
	s_wait_loadcnt_dscnt 0x0
	ds_store_b32 v36, v39
	s_wait_dscnt 0x0
	s_barrier_signal -1
	s_barrier_wait -1
	ds_load_2addr_b32 v[56:57], v37 offset1:16
	ds_load_2addr_b32 v[58:59], v37 offset0:64 offset1:80
	ds_load_2addr_b32 v[60:61], v37 offset0:128 offset1:144
	;; [unrolled: 1-line block ×6, first 2 shown]
	ds_load_b128 v[40:43], v38
	ds_load_b128 v[44:47], v38 offset:256
	ds_load_2addr_b32 v[70:71], v37 offset0:224 offset1:240
	ds_load_b128 v[48:51], v38 offset:512
	ds_load_b128 v[52:55], v38 offset:768
	s_wait_dscnt 0x0
	s_barrier_signal -1
	s_barrier_wait -1
	v_dual_mov_b32 v72, v57 :: v_dual_mov_b32 v73, v56
	v_dual_mov_b32 v56, v59 :: v_dual_mov_b32 v57, v58
	;; [unrolled: 1-line block ×6, first 2 shown]
	v_pk_fma_f32 v[28:29], v[72:73], v[40:41], v[28:29] op_sel_hi:[1,0,1]
	v_pk_fma_f32 v[24:25], v[72:73], v[44:45], v[24:25] op_sel_hi:[1,0,1]
	s_delay_alu instid0(VALU_DEP_4)
	v_pk_fma_f32 v[26:27], v[62:63], v[40:41], v[26:27] op_sel_hi:[1,0,1]
	v_pk_fma_f32 v[18:19], v[72:73], v[48:49], v[18:19] op_sel_hi:[1,0,1]
	;; [unrolled: 1-line block ×6, first 2 shown]
	v_dual_mov_b32 v66, v69 :: v_dual_mov_b32 v67, v68
	v_pk_fma_f32 v[28:29], v[56:57], v[40:41], v[28:29] op_sel:[0,1,0]
	v_pk_fma_f32 v[26:27], v[64:65], v[40:41], v[26:27] op_sel:[0,1,0]
	v_pk_fma_f32 v[24:25], v[56:57], v[44:45], v[24:25] op_sel:[0,1,0]
	v_pk_fma_f32 v[18:19], v[56:57], v[48:49], v[18:19] op_sel:[0,1,0]
	v_pk_fma_f32 v[14:15], v[56:57], v[52:53], v[14:15] op_sel:[0,1,0]
	v_pk_fma_f32 v[22:23], v[64:65], v[44:45], v[22:23] op_sel:[0,1,0]
	v_pk_fma_f32 v[16:17], v[64:65], v[48:49], v[16:17] op_sel:[0,1,0]
	v_pk_fma_f32 v[12:13], v[64:65], v[52:53], v[12:13] op_sel:[0,1,0]
	v_dual_mov_b32 v68, v43 :: v_dual_mov_b32 v74, v71
	v_dual_mov_b32 v75, v70 :: v_dual_mov_b32 v70, v47
	;; [unrolled: 1-line block ×3, first 2 shown]
	v_pk_fma_f32 v[28:29], v[58:59], v[42:43], v[28:29] op_sel_hi:[1,0,1]
	v_pk_fma_f32 v[26:27], v[66:67], v[42:43], v[26:27] op_sel_hi:[1,0,1]
	;; [unrolled: 1-line block ×16, first 2 shown]
	s_cbranch_vccnz .LBB36_5
.LBB36_6:                               ;   in Loop: Header=BB36_3 Depth=1
	s_wait_loadcnt 0x0
	v_add_nc_u64_e32 v[30:31], s[8:9], v[30:31]
	s_and_not1_b32 vcc_lo, exec_lo, s1
	s_delay_alu instid0(VALU_DEP_1) | instskip(NEXT) | instid1(VALU_DEP_1)
	v_lshl_add_u64 v[30:31], v[0:1], 2, v[30:31]
	v_add_nc_u64_e32 v[32:33], v[30:31], v[10:11]
	v_add_nc_u64_e32 v[30:31], s[20:21], v[30:31]
	s_cbranch_vccnz .LBB36_8
; %bb.7:                                ;   in Loop: Header=BB36_3 Depth=1
	v_dual_mul_f32 v39, s30, v29 :: v_dual_mul_f32 v40, s30, v28
	s_delay_alu instid0(VALU_DEP_2)
	v_add_nc_u64_e32 v[34:35], s[20:21], v[30:31]
	v_dual_mul_f32 v41, s30, v27 :: v_dual_mul_f32 v42, s30, v26
	s_clause 0x3
	flat_store_b32 v[32:33], v39
	flat_store_b32 v[32:33], v40 offset:64
	flat_store_b32 v[32:33], v41 offset:128
	;; [unrolled: 1-line block ×3, first 2 shown]
	s_wait_xcnt 0x1
	v_add_nc_u64_e32 v[40:41], v[30:31], v[10:11]
	v_dual_mul_f32 v39, s30, v25 :: v_dual_mul_f32 v44, s30, v24
	s_wait_xcnt 0x0
	v_add_nc_u64_e32 v[42:43], v[34:35], v[10:11]
	v_add_nc_u64_e32 v[34:35], s[20:21], v[34:35]
	v_dual_mul_f32 v45, s30, v23 :: v_dual_mul_f32 v46, s30, v22
	s_clause 0x3
	flat_store_b32 v[40:41], v39
	flat_store_b32 v[40:41], v44 offset:64
	flat_store_b32 v[40:41], v45 offset:128
	;; [unrolled: 1-line block ×3, first 2 shown]
	s_wait_xcnt 0x0
	v_dual_mul_f32 v39, s30, v19 :: v_dual_mul_f32 v40, s30, v18
	v_dual_mul_f32 v41, s30, v17 :: v_dual_mul_f32 v44, s30, v16
	v_add_nc_u64_e32 v[34:35], v[34:35], v[10:11]
	s_clause 0x3
	flat_store_b32 v[42:43], v39
	flat_store_b32 v[42:43], v40 offset:64
	flat_store_b32 v[42:43], v41 offset:128
	;; [unrolled: 1-line block ×3, first 2 shown]
	s_wait_xcnt 0x2
	v_dual_mul_f32 v39, s30, v15 :: v_dual_mul_f32 v40, s30, v14
	s_wait_xcnt 0x0
	v_dual_mul_f32 v41, s30, v13 :: v_dual_mul_f32 v42, s30, v12
	s_clause 0x3
	flat_store_b32 v[34:35], v39
	flat_store_b32 v[34:35], v40 offset:64
	flat_store_b32 v[34:35], v41 offset:128
	;; [unrolled: 1-line block ×3, first 2 shown]
	s_cbranch_execnz .LBB36_2
	s_branch .LBB36_9
.LBB36_8:                               ;   in Loop: Header=BB36_3 Depth=1
.LBB36_9:                               ;   in Loop: Header=BB36_3 Depth=1
	v_add_nc_u64_e32 v[20:21], s[16:17], v[20:21]
	s_delay_alu instid0(VALU_DEP_1) | instskip(SKIP_1) | instid1(VALU_DEP_1)
	v_lshl_add_u64 v[20:21], v[4:5], 2, v[20:21]
	s_wait_xcnt 0x0
	v_add_nc_u64_e32 v[34:35], v[20:21], v[10:11]
	v_add_nc_u64_e32 v[20:21], s[22:23], v[20:21]
	flat_load_b32 v39, v[34:35]
	s_wait_loadcnt_dscnt 0x0
	v_mul_f32_e32 v39, s33, v39
	s_delay_alu instid0(VALU_DEP_1) | instskip(SKIP_4) | instid1(VALU_DEP_1)
	v_fmac_f32_e32 v39, s30, v29
	flat_store_b32 v[32:33], v39
	flat_load_b32 v29, v[34:35] offset:64
	s_wait_loadcnt_dscnt 0x0
	v_mul_f32_e32 v29, s33, v29
	v_fmac_f32_e32 v29, s30, v28
	flat_store_b32 v[32:33], v29 offset:64
	flat_load_b32 v28, v[34:35] offset:128
	s_wait_loadcnt_dscnt 0x0
	v_mul_f32_e32 v28, s33, v28
	s_delay_alu instid0(VALU_DEP_1)
	v_fmac_f32_e32 v28, s30, v27
	flat_store_b32 v[32:33], v28 offset:128
	flat_load_b32 v27, v[34:35] offset:192
	s_wait_xcnt 0x1
	v_add_nc_u64_e32 v[28:29], v[20:21], v[10:11]
	v_add_nc_u64_e32 v[20:21], s[22:23], v[20:21]
	s_wait_loadcnt_dscnt 0x0
	v_mul_f32_e32 v27, s33, v27
	s_delay_alu instid0(VALU_DEP_1)
	v_fmac_f32_e32 v27, s30, v26
	flat_store_b32 v[32:33], v27 offset:192
	flat_load_b32 v26, v[28:29]
	s_wait_loadcnt_dscnt 0x0
	s_wait_xcnt 0x1
	v_mul_f32_e32 v32, s33, v26
	v_add_nc_u64_e32 v[26:27], v[30:31], v[10:11]
	s_delay_alu instid0(VALU_DEP_2) | instskip(SKIP_4) | instid1(VALU_DEP_1)
	v_fmac_f32_e32 v32, s30, v25
	flat_store_b32 v[26:27], v32
	flat_load_b32 v25, v[28:29] offset:64
	s_wait_loadcnt_dscnt 0x0
	v_mul_f32_e32 v25, s33, v25
	v_fmac_f32_e32 v25, s30, v24
	flat_store_b32 v[26:27], v25 offset:64
	flat_load_b32 v24, v[28:29] offset:128
	s_wait_loadcnt_dscnt 0x0
	v_mul_f32_e32 v24, s33, v24
	s_delay_alu instid0(VALU_DEP_1)
	v_fmac_f32_e32 v24, s30, v23
	flat_store_b32 v[26:27], v24 offset:128
	flat_load_b32 v23, v[28:29] offset:192
	s_wait_xcnt 0x1
	v_add_nc_u64_e32 v[24:25], v[20:21], v[10:11]
	s_wait_loadcnt_dscnt 0x0
	v_mul_f32_e32 v23, s33, v23
	s_delay_alu instid0(VALU_DEP_1)
	v_fmac_f32_e32 v23, s30, v22
	flat_store_b32 v[26:27], v23 offset:192
	flat_load_b32 v26, v[24:25]
	v_add_nc_u64_e32 v[22:23], s[20:21], v[30:31]
	s_wait_loadcnt_dscnt 0x0
	v_mul_f32_e32 v28, s33, v26
	s_delay_alu instid0(VALU_DEP_2) | instskip(NEXT) | instid1(VALU_DEP_2)
	v_add_nc_u64_e32 v[26:27], v[22:23], v[10:11]
	v_fmac_f32_e32 v28, s30, v19
	flat_store_b32 v[26:27], v28
	flat_load_b32 v19, v[24:25] offset:64
	s_wait_loadcnt_dscnt 0x0
	v_mul_f32_e32 v19, s33, v19
	s_delay_alu instid0(VALU_DEP_1) | instskip(SKIP_4) | instid1(VALU_DEP_1)
	v_fmac_f32_e32 v19, s30, v18
	flat_store_b32 v[26:27], v19 offset:64
	flat_load_b32 v18, v[24:25] offset:128
	s_wait_loadcnt_dscnt 0x0
	v_mul_f32_e32 v18, s33, v18
	v_fmac_f32_e32 v18, s30, v17
	flat_store_b32 v[26:27], v18 offset:128
	flat_load_b32 v17, v[24:25] offset:192
	s_wait_xcnt 0x1
	v_add_nc_u64_e32 v[18:19], s[22:23], v[20:21]
	s_delay_alu instid0(VALU_DEP_1) | instskip(SKIP_2) | instid1(VALU_DEP_1)
	v_add_nc_u64_e32 v[18:19], v[18:19], v[10:11]
	s_wait_loadcnt_dscnt 0x0
	v_mul_f32_e32 v17, s33, v17
	v_fmac_f32_e32 v17, s30, v16
	flat_store_b32 v[26:27], v17 offset:192
	flat_load_b32 v20, v[18:19]
	s_wait_xcnt 0x1
	v_add_nc_u64_e32 v[16:17], s[20:21], v[22:23]
	s_delay_alu instid0(VALU_DEP_1) | instskip(SKIP_2) | instid1(VALU_DEP_1)
	v_add_nc_u64_e32 v[16:17], v[16:17], v[10:11]
	s_wait_loadcnt_dscnt 0x0
	v_mul_f32_e32 v20, s33, v20
	v_fmac_f32_e32 v20, s30, v15
	flat_store_b32 v[16:17], v20
	flat_load_b32 v15, v[18:19] offset:64
	s_wait_loadcnt_dscnt 0x0
	v_mul_f32_e32 v15, s33, v15
	s_delay_alu instid0(VALU_DEP_1) | instskip(SKIP_4) | instid1(VALU_DEP_1)
	v_fmac_f32_e32 v15, s30, v14
	flat_store_b32 v[16:17], v15 offset:64
	flat_load_b32 v14, v[18:19] offset:128
	s_wait_loadcnt_dscnt 0x0
	v_mul_f32_e32 v14, s33, v14
	v_fmac_f32_e32 v14, s30, v13
	flat_store_b32 v[16:17], v14 offset:128
	flat_load_b32 v13, v[18:19] offset:192
	s_wait_loadcnt_dscnt 0x0
	v_mul_f32_e32 v13, s33, v13
	s_delay_alu instid0(VALU_DEP_1)
	v_fmac_f32_e32 v13, s30, v12
	flat_store_b32 v[16:17], v13 offset:192
	s_branch .LBB36_2
.LBB36_10:
	s_sendmsg sendmsg(MSG_DEALLOC_VGPRS)
	s_endpgm
	.section	.rodata,"a",@progbits
	.p2align	6, 0x0
	.amdhsa_kernel _ZN12_GLOBAL__N_127rocblas_gemm_batched_kernelIfLi16ELi16ELi64ELi64ELi4ELi64ELi4ELi4ELi64ELc78ELc67EKPKfS3_KPfEEvlllT_PT11_llS8_llS6_PT12_llPT13_lli
		.amdhsa_group_segment_fixed_size 2048
		.amdhsa_private_segment_fixed_size 0
		.amdhsa_kernarg_size 140
		.amdhsa_user_sgpr_count 2
		.amdhsa_user_sgpr_dispatch_ptr 0
		.amdhsa_user_sgpr_queue_ptr 0
		.amdhsa_user_sgpr_kernarg_segment_ptr 1
		.amdhsa_user_sgpr_dispatch_id 0
		.amdhsa_user_sgpr_kernarg_preload_length 0
		.amdhsa_user_sgpr_kernarg_preload_offset 0
		.amdhsa_user_sgpr_private_segment_size 0
		.amdhsa_wavefront_size32 1
		.amdhsa_uses_dynamic_stack 0
		.amdhsa_enable_private_segment 0
		.amdhsa_system_sgpr_workgroup_id_x 1
		.amdhsa_system_sgpr_workgroup_id_y 1
		.amdhsa_system_sgpr_workgroup_id_z 1
		.amdhsa_system_sgpr_workgroup_info 0
		.amdhsa_system_vgpr_workitem_id 1
		.amdhsa_next_free_vgpr 80
		.amdhsa_next_free_sgpr 38
		.amdhsa_named_barrier_count 0
		.amdhsa_reserve_vcc 1
		.amdhsa_float_round_mode_32 0
		.amdhsa_float_round_mode_16_64 0
		.amdhsa_float_denorm_mode_32 3
		.amdhsa_float_denorm_mode_16_64 3
		.amdhsa_fp16_overflow 0
		.amdhsa_memory_ordered 1
		.amdhsa_forward_progress 1
		.amdhsa_inst_pref_size 19
		.amdhsa_round_robin_scheduling 0
		.amdhsa_exception_fp_ieee_invalid_op 0
		.amdhsa_exception_fp_denorm_src 0
		.amdhsa_exception_fp_ieee_div_zero 0
		.amdhsa_exception_fp_ieee_overflow 0
		.amdhsa_exception_fp_ieee_underflow 0
		.amdhsa_exception_fp_ieee_inexact 0
		.amdhsa_exception_int_div_zero 0
	.end_amdhsa_kernel
	.section	.text._ZN12_GLOBAL__N_127rocblas_gemm_batched_kernelIfLi16ELi16ELi64ELi64ELi4ELi64ELi4ELi4ELi64ELc78ELc67EKPKfS3_KPfEEvlllT_PT11_llS8_llS6_PT12_llPT13_lli,"axG",@progbits,_ZN12_GLOBAL__N_127rocblas_gemm_batched_kernelIfLi16ELi16ELi64ELi64ELi4ELi64ELi4ELi4ELi64ELc78ELc67EKPKfS3_KPfEEvlllT_PT11_llS8_llS6_PT12_llPT13_lli,comdat
.Lfunc_end36:
	.size	_ZN12_GLOBAL__N_127rocblas_gemm_batched_kernelIfLi16ELi16ELi64ELi64ELi4ELi64ELi4ELi4ELi64ELc78ELc67EKPKfS3_KPfEEvlllT_PT11_llS8_llS6_PT12_llPT13_lli, .Lfunc_end36-_ZN12_GLOBAL__N_127rocblas_gemm_batched_kernelIfLi16ELi16ELi64ELi64ELi4ELi64ELi4ELi4ELi64ELc78ELc67EKPKfS3_KPfEEvlllT_PT11_llS8_llS6_PT12_llPT13_lli
                                        ; -- End function
	.set _ZN12_GLOBAL__N_127rocblas_gemm_batched_kernelIfLi16ELi16ELi64ELi64ELi4ELi64ELi4ELi4ELi64ELc78ELc67EKPKfS3_KPfEEvlllT_PT11_llS8_llS6_PT12_llPT13_lli.num_vgpr, 80
	.set _ZN12_GLOBAL__N_127rocblas_gemm_batched_kernelIfLi16ELi16ELi64ELi64ELi4ELi64ELi4ELi4ELi64ELc78ELc67EKPKfS3_KPfEEvlllT_PT11_llS8_llS6_PT12_llPT13_lli.num_agpr, 0
	.set _ZN12_GLOBAL__N_127rocblas_gemm_batched_kernelIfLi16ELi16ELi64ELi64ELi4ELi64ELi4ELi4ELi64ELc78ELc67EKPKfS3_KPfEEvlllT_PT11_llS8_llS6_PT12_llPT13_lli.numbered_sgpr, 38
	.set _ZN12_GLOBAL__N_127rocblas_gemm_batched_kernelIfLi16ELi16ELi64ELi64ELi4ELi64ELi4ELi4ELi64ELc78ELc67EKPKfS3_KPfEEvlllT_PT11_llS8_llS6_PT12_llPT13_lli.num_named_barrier, 0
	.set _ZN12_GLOBAL__N_127rocblas_gemm_batched_kernelIfLi16ELi16ELi64ELi64ELi4ELi64ELi4ELi4ELi64ELc78ELc67EKPKfS3_KPfEEvlllT_PT11_llS8_llS6_PT12_llPT13_lli.private_seg_size, 0
	.set _ZN12_GLOBAL__N_127rocblas_gemm_batched_kernelIfLi16ELi16ELi64ELi64ELi4ELi64ELi4ELi4ELi64ELc78ELc67EKPKfS3_KPfEEvlllT_PT11_llS8_llS6_PT12_llPT13_lli.uses_vcc, 1
	.set _ZN12_GLOBAL__N_127rocblas_gemm_batched_kernelIfLi16ELi16ELi64ELi64ELi4ELi64ELi4ELi4ELi64ELc78ELc67EKPKfS3_KPfEEvlllT_PT11_llS8_llS6_PT12_llPT13_lli.uses_flat_scratch, 1
	.set _ZN12_GLOBAL__N_127rocblas_gemm_batched_kernelIfLi16ELi16ELi64ELi64ELi4ELi64ELi4ELi4ELi64ELc78ELc67EKPKfS3_KPfEEvlllT_PT11_llS8_llS6_PT12_llPT13_lli.has_dyn_sized_stack, 0
	.set _ZN12_GLOBAL__N_127rocblas_gemm_batched_kernelIfLi16ELi16ELi64ELi64ELi4ELi64ELi4ELi4ELi64ELc78ELc67EKPKfS3_KPfEEvlllT_PT11_llS8_llS6_PT12_llPT13_lli.has_recursion, 0
	.set _ZN12_GLOBAL__N_127rocblas_gemm_batched_kernelIfLi16ELi16ELi64ELi64ELi4ELi64ELi4ELi4ELi64ELc78ELc67EKPKfS3_KPfEEvlllT_PT11_llS8_llS6_PT12_llPT13_lli.has_indirect_call, 0
	.section	.AMDGPU.csdata,"",@progbits
; Kernel info:
; codeLenInByte = 2404
; TotalNumSgprs: 40
; NumVgprs: 80
; ScratchSize: 0
; MemoryBound: 0
; FloatMode: 240
; IeeeMode: 1
; LDSByteSize: 2048 bytes/workgroup (compile time only)
; SGPRBlocks: 0
; VGPRBlocks: 4
; NumSGPRsForWavesPerEU: 40
; NumVGPRsForWavesPerEU: 80
; NamedBarCnt: 0
; Occupancy: 12
; WaveLimiterHint : 1
; COMPUTE_PGM_RSRC2:SCRATCH_EN: 0
; COMPUTE_PGM_RSRC2:USER_SGPR: 2
; COMPUTE_PGM_RSRC2:TRAP_HANDLER: 0
; COMPUTE_PGM_RSRC2:TGID_X_EN: 1
; COMPUTE_PGM_RSRC2:TGID_Y_EN: 1
; COMPUTE_PGM_RSRC2:TGID_Z_EN: 1
; COMPUTE_PGM_RSRC2:TIDIG_COMP_CNT: 1
	.section	.text._ZN12_GLOBAL__N_127rocblas_gemm_batched_kernelIfLi16ELi16ELi64ELi64ELi4ELi64ELi4ELi4ELi64ELc84ELc67EKPKfS3_KPfEEvlllT_PT11_llS8_llS6_PT12_llPT13_lli,"axG",@progbits,_ZN12_GLOBAL__N_127rocblas_gemm_batched_kernelIfLi16ELi16ELi64ELi64ELi4ELi64ELi4ELi4ELi64ELc84ELc67EKPKfS3_KPfEEvlllT_PT11_llS8_llS6_PT12_llPT13_lli,comdat
	.globl	_ZN12_GLOBAL__N_127rocblas_gemm_batched_kernelIfLi16ELi16ELi64ELi64ELi4ELi64ELi4ELi4ELi64ELc84ELc67EKPKfS3_KPfEEvlllT_PT11_llS8_llS6_PT12_llPT13_lli ; -- Begin function _ZN12_GLOBAL__N_127rocblas_gemm_batched_kernelIfLi16ELi16ELi64ELi64ELi4ELi64ELi4ELi4ELi64ELc84ELc67EKPKfS3_KPfEEvlllT_PT11_llS8_llS6_PT12_llPT13_lli
	.p2align	8
	.type	_ZN12_GLOBAL__N_127rocblas_gemm_batched_kernelIfLi16ELi16ELi64ELi64ELi4ELi64ELi4ELi4ELi64ELc84ELc67EKPKfS3_KPfEEvlllT_PT11_llS8_llS6_PT12_llPT13_lli,@function
_ZN12_GLOBAL__N_127rocblas_gemm_batched_kernelIfLi16ELi16ELi64ELi64ELi4ELi64ELi4ELi4ELi64ELc84ELc67EKPKfS3_KPfEEvlllT_PT11_llS8_llS6_PT12_llPT13_lli: ; @_ZN12_GLOBAL__N_127rocblas_gemm_batched_kernelIfLi16ELi16ELi64ELi64ELi4ELi64ELi4ELi4ELi64ELc84ELc67EKPKfS3_KPfEEvlllT_PT11_llS8_llS6_PT12_llPT13_lli
; %bb.0:
	s_load_b32 s31, s[0:1], 0x88
	s_bfe_u32 s2, ttmp6, 0x40014
	s_lshr_b32 s3, ttmp7, 16
	s_add_co_i32 s2, s2, 1
	s_bfe_u32 s4, ttmp6, 0x40008
	s_mul_i32 s2, s3, s2
	s_getreg_b32 s28, hwreg(HW_REG_IB_STS2, 6, 4)
	s_add_co_i32 s4, s4, s2
	s_cmp_eq_u32 s28, 0
	s_cselect_b32 s2, s3, s4
	s_mov_b32 s3, 0
	s_wait_kmcnt 0x0
	s_cmp_ge_i32 s2, s31
	s_cbranch_scc1 .LBB37_10
; %bb.1:
	v_bfe_u32 v2, v0, 10, 10
	v_and_b32_e32 v6, 0x3ff, v0
	s_bfe_u32 s30, ttmp6, 0x4000c
	s_bfe_u32 s34, ttmp6, 0x40010
	s_clause 0x2
	s_load_b256 s[4:11], s[0:1], 0x20
	s_load_b128 s[24:27], s[0:1], 0x40
	s_load_b128 s[20:23], s[0:1], 0x78
	v_dual_mov_b32 v3, 0 :: v_dual_lshlrev_b32 v14, 4, v2
	s_and_b32 s33, ttmp7, 0xffff
	s_add_co_i32 s30, s30, 1
	s_add_co_i32 s34, s34, 1
	s_and_b32 s29, ttmp6, 15
	s_mul_i32 s30, ttmp9, s30
	s_mul_i32 s34, s33, s34
	s_bfe_u32 s35, ttmp6, 0x40004
	v_dual_add_nc_u32 v7, v14, v6 :: v_dual_bitop2_b32 v16, 3, v0 bitop3:0x40
	s_add_co_i32 s29, s29, s30
	s_add_co_i32 s35, s35, s34
	s_cmp_eq_u32 s28, 0
	s_delay_alu instid0(VALU_DEP_1)
	v_dual_lshrrev_b32 v8, 2, v7 :: v_dual_bitop2_b32 v15, 63, v7 bitop3:0x40
	s_cselect_b32 s28, ttmp9, s29
	s_cselect_b32 s30, s33, s35
	s_ashr_i32 s29, s28, 31
	s_load_b256 s[12:19], s[0:1], 0x58
	s_lshl_b64 s[34:35], s[28:29], 6
	s_delay_alu instid0(SALU_CYCLE_1)
	v_dual_mov_b32 v9, v3 :: v_dual_bitop2_b32 v0, s34, v15 bitop3:0x54
	v_mov_b32_e32 v1, s35
	s_load_b32 s33, s[0:1], 0x50
	v_add_nc_u32_e32 v39, 0x400, v14
	s_wait_kmcnt 0x0
	v_mad_nc_u64_u32 v[10:11], s24, v16, v[8:9]
	v_lshlrev_b32_e32 v9, 2, v15
	v_mul_u64_e32 v[12:13], s[6:7], v[0:1]
	s_lshl_b32 s6, s30, 6
	s_mov_b32 s7, s3
	s_load_b96 s[28:30], s[0:1], 0x10
	v_add_nc_u64_e32 v[4:5], s[6:7], v[2:3]
	v_dual_lshrrev_b32 v2, 6, v7 :: v_dual_lshlrev_b32 v7, 2, v16
	v_lshlrev_b32_e32 v38, 2, v6
	v_mad_u32 v11, s25, v16, v11
	s_delay_alu instid0(VALU_DEP_3)
	v_lshl_or_b32 v36, v2, 8, v9
	v_mul_u64_e32 v[0:1], s[20:21], v[4:5]
	v_mul_u64_e32 v[4:5], s[14:15], v[4:5]
	v_lshl_or_b32 v15, v8, 4, v7
	v_dual_mov_b32 v7, v3 :: v_dual_lshlrev_b32 v2, 2, v2
	s_cmp_eq_f32 s33, 0
	s_delay_alu instid0(VALU_DEP_2)
	v_add_nc_u32_e32 v37, 0x400, v15
	v_add_nc_u64_e32 v[8:9], s[6:7], v[10:11]
	s_wait_xcnt 0x0
	s_cselect_b32 s1, -1, 0
	v_add_nc_u64_e32 v[10:11], s[34:35], v[6:7]
	s_wait_kmcnt 0x0
	v_cmp_gt_i64_e64 s0, s[28:29], 0
	s_lshl_b64 s[6:7], s[8:9], 2
	s_lshl_b64 s[20:21], s[20:21], 4
	;; [unrolled: 1-line block ×3, first 2 shown]
	v_lshlrev_b64_e32 v[6:7], 2, v[8:9]
	s_lshl_b64 s[8:9], s[22:23], 2
	v_lshlrev_b64_e32 v[10:11], 2, v[10:11]
	s_lshl_b64 s[14:15], s[20:21], 2
	s_lshl_b64 s[16:17], s[16:17], 2
	v_lshl_add_u64 v[8:9], v[12:13], 2, s[6:7]
	v_cndmask_b32_e64 v12, 0, 1, s0
	v_lshl_add_u64 v[6:7], s[26:27], 2, v[6:7]
	s_lshl_b64 s[6:7], s[24:25], 4
	s_lshl_b64 s[20:21], s[34:35], 2
	v_add_nc_u64_e32 v[8:9], v[8:9], v[2:3]
	v_cmp_ne_u32_e64 s0, 1, v12
	s_branch .LBB37_3
.LBB37_2:                               ;   in Loop: Header=BB37_3 Depth=1
	s_add_co_i32 s2, s2, 0x10000
	s_delay_alu instid0(SALU_CYCLE_1)
	s_cmp_lt_i32 s2, s31
	s_cbranch_scc0 .LBB37_10
.LBB37_3:                               ; =>This Loop Header: Depth=1
                                        ;     Child Loop BB37_5 Depth 2
	s_wait_xcnt 0x0
	v_dual_mov_b32 v2, s2 :: v_dual_mov_b32 v29, 0
	v_dual_mov_b32 v28, 0 :: v_dual_mov_b32 v27, 0
	;; [unrolled: 1-line block ×3, first 2 shown]
	s_clause 0x1
	global_load_b64 v[20:21], v2, s[12:13] scale_offset
	global_load_b64 v[30:31], v2, s[18:19] scale_offset
	v_dual_mov_b32 v24, 0 :: v_dual_mov_b32 v23, 0
	v_dual_mov_b32 v22, 0 :: v_dual_mov_b32 v19, 0
	v_dual_mov_b32 v18, 0 :: v_dual_mov_b32 v17, 0
	v_dual_mov_b32 v16, 0 :: v_dual_mov_b32 v15, 0
	v_dual_mov_b32 v14, 0 :: v_dual_mov_b32 v13, 0
	v_mov_b32_e32 v12, 0
	s_and_b32 vcc_lo, exec_lo, s0
	s_cbranch_vccnz .LBB37_6
; %bb.4:                                ;   in Loop: Header=BB37_3 Depth=1
	s_lshl_b64 s[22:23], s[2:3], 3
	v_mov_b32_e32 v12, 0
	s_add_nc_u64 s[24:25], s[10:11], s[22:23]
	s_add_nc_u64 s[22:23], s[4:5], s[22:23]
	s_clause 0x1
	global_load_b64 v[28:29], v3, s[24:25]
	global_load_b64 v[34:35], v3, s[22:23]
	s_wait_xcnt 0x0
	s_mov_b64 s[22:23], 0
	v_dual_mov_b32 v13, v12 :: v_dual_mov_b32 v14, v12
	v_dual_mov_b32 v15, v12 :: v_dual_mov_b32 v16, v12
	;; [unrolled: 1-line block ×6, first 2 shown]
	v_mov_b32_e32 v27, v12
	s_wait_loadcnt 0x1
	v_add_nc_u64_e32 v[32:33], v[28:29], v[6:7]
	s_wait_loadcnt 0x0
	v_add_nc_u64_e32 v[34:35], v[34:35], v[8:9]
	v_dual_mov_b32 v28, v12 :: v_dual_mov_b32 v29, v12
.LBB37_5:                               ;   Parent Loop BB37_3 Depth=1
                                        ; =>  This Inner Loop Header: Depth=2
	flat_load_b32 v2, v[34:35]
	s_add_nc_u64 s[22:23], s[22:23], 4
	s_wait_xcnt 0x0
	v_add_nc_u64_e32 v[34:35], 16, v[34:35]
	v_cmp_lt_i64_e64 s24, s[22:23], s[28:29]
	s_and_b32 vcc_lo, exec_lo, s24
	s_wait_loadcnt_dscnt 0x0
	ds_store_b32 v36, v2
	flat_load_b32 v2, v[32:33]
	s_wait_xcnt 0x0
	v_add_nc_u64_e32 v[32:33], s[6:7], v[32:33]
	s_wait_loadcnt_dscnt 0x0
	ds_store_b32 v37, v2
	s_wait_dscnt 0x0
	s_barrier_signal -1
	s_barrier_wait -1
	ds_load_2addr_b32 v[56:57], v38 offset1:16
	ds_load_2addr_b32 v[58:59], v38 offset0:64 offset1:80
	ds_load_2addr_b32 v[60:61], v38 offset0:128 offset1:144
	;; [unrolled: 1-line block ×6, first 2 shown]
	ds_load_b128 v[40:43], v39
	ds_load_b128 v[44:47], v39 offset:256
	ds_load_2addr_b32 v[70:71], v38 offset0:224 offset1:240
	ds_load_b128 v[48:51], v39 offset:512
	ds_load_b128 v[52:55], v39 offset:768
	s_wait_dscnt 0x0
	s_barrier_signal -1
	s_barrier_wait -1
	v_dual_mov_b32 v72, v57 :: v_dual_mov_b32 v73, v56
	v_dual_mov_b32 v56, v59 :: v_dual_mov_b32 v57, v58
	;; [unrolled: 1-line block ×6, first 2 shown]
	v_pk_fma_f32 v[28:29], v[72:73], v[40:41], v[28:29] op_sel_hi:[1,0,1]
	v_pk_fma_f32 v[24:25], v[72:73], v[44:45], v[24:25] op_sel_hi:[1,0,1]
	s_delay_alu instid0(VALU_DEP_4)
	v_pk_fma_f32 v[26:27], v[62:63], v[40:41], v[26:27] op_sel_hi:[1,0,1]
	v_pk_fma_f32 v[18:19], v[72:73], v[48:49], v[18:19] op_sel_hi:[1,0,1]
	;; [unrolled: 1-line block ×6, first 2 shown]
	v_dual_mov_b32 v66, v69 :: v_dual_mov_b32 v67, v68
	v_pk_fma_f32 v[28:29], v[56:57], v[40:41], v[28:29] op_sel:[0,1,0]
	v_pk_fma_f32 v[26:27], v[64:65], v[40:41], v[26:27] op_sel:[0,1,0]
	;; [unrolled: 1-line block ×8, first 2 shown]
	v_dual_mov_b32 v2, v43 :: v_dual_mov_b32 v68, v71
	v_dual_mov_b32 v69, v70 :: v_dual_mov_b32 v70, v47
	;; [unrolled: 1-line block ×3, first 2 shown]
	v_pk_fma_f32 v[28:29], v[58:59], v[42:43], v[28:29] op_sel_hi:[1,0,1]
	v_pk_fma_f32 v[26:27], v[66:67], v[42:43], v[26:27] op_sel_hi:[1,0,1]
	v_pk_fma_f32 v[24:25], v[58:59], v[46:47], v[24:25] op_sel_hi:[1,0,1]
	v_pk_fma_f32 v[22:23], v[66:67], v[46:47], v[22:23] op_sel_hi:[1,0,1]
	v_pk_fma_f32 v[18:19], v[58:59], v[50:51], v[18:19] op_sel_hi:[1,0,1]
	v_pk_fma_f32 v[16:17], v[66:67], v[50:51], v[16:17] op_sel_hi:[1,0,1]
	v_pk_fma_f32 v[14:15], v[58:59], v[54:55], v[14:15] op_sel_hi:[1,0,1]
	v_pk_fma_f32 v[12:13], v[66:67], v[54:55], v[12:13] op_sel_hi:[1,0,1]
	v_pk_fma_f32 v[28:29], v[60:61], v[2:3], v[28:29] op_sel_hi:[1,0,1]
	v_pk_fma_f32 v[26:27], v[68:69], v[2:3], v[26:27] op_sel_hi:[1,0,1]
	v_pk_fma_f32 v[24:25], v[60:61], v[70:71], v[24:25] op_sel_hi:[1,0,1]
	v_pk_fma_f32 v[22:23], v[68:69], v[70:71], v[22:23] op_sel_hi:[1,0,1]
	v_pk_fma_f32 v[18:19], v[60:61], v[74:75], v[18:19] op_sel_hi:[1,0,1]
	v_pk_fma_f32 v[16:17], v[68:69], v[74:75], v[16:17] op_sel_hi:[1,0,1]
	v_pk_fma_f32 v[14:15], v[60:61], v[76:77], v[14:15] op_sel_hi:[1,0,1]
	v_pk_fma_f32 v[12:13], v[68:69], v[76:77], v[12:13] op_sel_hi:[1,0,1]
	s_cbranch_vccnz .LBB37_5
.LBB37_6:                               ;   in Loop: Header=BB37_3 Depth=1
	s_wait_loadcnt 0x0
	v_add_nc_u64_e32 v[30:31], s[8:9], v[30:31]
	s_and_not1_b32 vcc_lo, exec_lo, s1
	s_delay_alu instid0(VALU_DEP_1) | instskip(NEXT) | instid1(VALU_DEP_1)
	v_lshl_add_u64 v[30:31], v[0:1], 2, v[30:31]
	v_add_nc_u64_e32 v[32:33], v[30:31], v[10:11]
	v_add_nc_u64_e32 v[30:31], s[14:15], v[30:31]
	s_cbranch_vccnz .LBB37_8
; %bb.7:                                ;   in Loop: Header=BB37_3 Depth=1
	s_wait_xcnt 0x0
	v_dual_mul_f32 v2, s30, v29 :: v_dual_mul_f32 v40, s30, v28
	s_delay_alu instid0(VALU_DEP_2)
	v_add_nc_u64_e32 v[34:35], s[14:15], v[30:31]
	v_dual_mul_f32 v41, s30, v27 :: v_dual_mul_f32 v42, s30, v26
	s_clause 0x3
	flat_store_b32 v[32:33], v2
	flat_store_b32 v[32:33], v40 offset:64
	flat_store_b32 v[32:33], v41 offset:128
	;; [unrolled: 1-line block ×3, first 2 shown]
	s_wait_xcnt 0x1
	v_add_nc_u64_e32 v[40:41], v[30:31], v[10:11]
	v_dual_mul_f32 v2, s30, v25 :: v_dual_mul_f32 v44, s30, v24
	s_wait_xcnt 0x0
	v_add_nc_u64_e32 v[42:43], v[34:35], v[10:11]
	v_add_nc_u64_e32 v[34:35], s[14:15], v[34:35]
	v_dual_mul_f32 v45, s30, v23 :: v_dual_mul_f32 v46, s30, v22
	s_clause 0x3
	flat_store_b32 v[40:41], v2
	flat_store_b32 v[40:41], v44 offset:64
	flat_store_b32 v[40:41], v45 offset:128
	;; [unrolled: 1-line block ×3, first 2 shown]
	s_wait_xcnt 0x0
	v_dual_mul_f32 v2, s30, v19 :: v_dual_mul_f32 v40, s30, v18
	v_dual_mul_f32 v41, s30, v17 :: v_dual_mul_f32 v44, s30, v16
	v_add_nc_u64_e32 v[34:35], v[34:35], v[10:11]
	s_clause 0x3
	flat_store_b32 v[42:43], v2
	flat_store_b32 v[42:43], v40 offset:64
	flat_store_b32 v[42:43], v41 offset:128
	;; [unrolled: 1-line block ×3, first 2 shown]
	s_wait_xcnt 0x2
	v_dual_mul_f32 v2, s30, v15 :: v_dual_mul_f32 v40, s30, v14
	s_wait_xcnt 0x0
	v_dual_mul_f32 v41, s30, v13 :: v_dual_mul_f32 v42, s30, v12
	s_clause 0x3
	flat_store_b32 v[34:35], v2
	flat_store_b32 v[34:35], v40 offset:64
	flat_store_b32 v[34:35], v41 offset:128
	;; [unrolled: 1-line block ×3, first 2 shown]
	s_cbranch_execnz .LBB37_2
	s_branch .LBB37_9
.LBB37_8:                               ;   in Loop: Header=BB37_3 Depth=1
.LBB37_9:                               ;   in Loop: Header=BB37_3 Depth=1
	v_add_nc_u64_e32 v[20:21], s[16:17], v[20:21]
	s_delay_alu instid0(VALU_DEP_1) | instskip(SKIP_1) | instid1(VALU_DEP_1)
	v_lshl_add_u64 v[20:21], v[4:5], 2, v[20:21]
	s_wait_xcnt 0x0
	v_add_nc_u64_e32 v[34:35], v[20:21], v[10:11]
	v_add_nc_u64_e32 v[20:21], s[20:21], v[20:21]
	flat_load_b32 v2, v[34:35]
	s_wait_loadcnt_dscnt 0x0
	v_mul_f32_e32 v2, s33, v2
	s_delay_alu instid0(VALU_DEP_1) | instskip(SKIP_4) | instid1(VALU_DEP_1)
	v_fmac_f32_e32 v2, s30, v29
	flat_store_b32 v[32:33], v2
	flat_load_b32 v2, v[34:35] offset:64
	s_wait_loadcnt_dscnt 0x0
	v_mul_f32_e32 v2, s33, v2
	v_fmac_f32_e32 v2, s30, v28
	v_add_nc_u64_e32 v[28:29], v[20:21], v[10:11]
	v_add_nc_u64_e32 v[20:21], s[20:21], v[20:21]
	flat_store_b32 v[32:33], v2 offset:64
	flat_load_b32 v2, v[34:35] offset:128
	s_wait_loadcnt_dscnt 0x0
	v_mul_f32_e32 v2, s33, v2
	s_delay_alu instid0(VALU_DEP_1) | instskip(SKIP_4) | instid1(VALU_DEP_1)
	v_fmac_f32_e32 v2, s30, v27
	flat_store_b32 v[32:33], v2 offset:128
	flat_load_b32 v2, v[34:35] offset:192
	s_wait_loadcnt_dscnt 0x0
	v_mul_f32_e32 v2, s33, v2
	v_fmac_f32_e32 v2, s30, v26
	v_add_nc_u64_e32 v[26:27], v[30:31], v[10:11]
	flat_store_b32 v[32:33], v2 offset:192
	flat_load_b32 v2, v[28:29]
	s_wait_loadcnt_dscnt 0x0
	v_mul_f32_e32 v2, s33, v2
	s_delay_alu instid0(VALU_DEP_1) | instskip(SKIP_4) | instid1(VALU_DEP_1)
	v_fmac_f32_e32 v2, s30, v25
	flat_store_b32 v[26:27], v2
	flat_load_b32 v2, v[28:29] offset:64
	s_wait_loadcnt_dscnt 0x0
	v_mul_f32_e32 v2, s33, v2
	v_fmac_f32_e32 v2, s30, v24
	v_add_nc_u64_e32 v[24:25], v[20:21], v[10:11]
	flat_store_b32 v[26:27], v2 offset:64
	flat_load_b32 v2, v[28:29] offset:128
	s_wait_loadcnt_dscnt 0x0
	v_mul_f32_e32 v2, s33, v2
	s_delay_alu instid0(VALU_DEP_1) | instskip(SKIP_4) | instid1(VALU_DEP_1)
	v_fmac_f32_e32 v2, s30, v23
	flat_store_b32 v[26:27], v2 offset:128
	flat_load_b32 v2, v[28:29] offset:192
	s_wait_loadcnt_dscnt 0x0
	v_mul_f32_e32 v2, s33, v2
	v_fmac_f32_e32 v2, s30, v22
	v_add_nc_u64_e32 v[22:23], s[14:15], v[30:31]
	flat_store_b32 v[26:27], v2 offset:192
	flat_load_b32 v2, v[24:25]
	v_add_nc_u64_e32 v[26:27], v[22:23], v[10:11]
	s_wait_loadcnt_dscnt 0x0
	v_mul_f32_e32 v2, s33, v2
	s_delay_alu instid0(VALU_DEP_1) | instskip(SKIP_4) | instid1(VALU_DEP_1)
	v_fmac_f32_e32 v2, s30, v19
	flat_store_b32 v[26:27], v2
	flat_load_b32 v2, v[24:25] offset:64
	s_wait_loadcnt_dscnt 0x0
	v_mul_f32_e32 v2, s33, v2
	v_fmac_f32_e32 v2, s30, v18
	v_add_nc_u64_e32 v[18:19], s[20:21], v[20:21]
	flat_store_b32 v[26:27], v2 offset:64
	flat_load_b32 v2, v[24:25] offset:128
	v_add_nc_u64_e32 v[18:19], v[18:19], v[10:11]
	s_wait_loadcnt_dscnt 0x0
	v_mul_f32_e32 v2, s33, v2
	s_delay_alu instid0(VALU_DEP_1) | instskip(SKIP_4) | instid1(VALU_DEP_1)
	v_fmac_f32_e32 v2, s30, v17
	flat_store_b32 v[26:27], v2 offset:128
	flat_load_b32 v2, v[24:25] offset:192
	s_wait_loadcnt_dscnt 0x0
	v_mul_f32_e32 v2, s33, v2
	v_fmac_f32_e32 v2, s30, v16
	v_add_nc_u64_e32 v[16:17], s[14:15], v[22:23]
	flat_store_b32 v[26:27], v2 offset:192
	flat_load_b32 v2, v[18:19]
	v_add_nc_u64_e32 v[16:17], v[16:17], v[10:11]
	s_wait_loadcnt_dscnt 0x0
	v_mul_f32_e32 v2, s33, v2
	s_delay_alu instid0(VALU_DEP_1) | instskip(SKIP_4) | instid1(VALU_DEP_1)
	v_fmac_f32_e32 v2, s30, v15
	flat_store_b32 v[16:17], v2
	flat_load_b32 v2, v[18:19] offset:64
	s_wait_loadcnt_dscnt 0x0
	v_mul_f32_e32 v2, s33, v2
	v_fmac_f32_e32 v2, s30, v14
	flat_store_b32 v[16:17], v2 offset:64
	flat_load_b32 v2, v[18:19] offset:128
	s_wait_loadcnt_dscnt 0x0
	v_mul_f32_e32 v2, s33, v2
	s_delay_alu instid0(VALU_DEP_1) | instskip(SKIP_4) | instid1(VALU_DEP_1)
	v_fmac_f32_e32 v2, s30, v13
	flat_store_b32 v[16:17], v2 offset:128
	flat_load_b32 v2, v[18:19] offset:192
	s_wait_loadcnt_dscnt 0x0
	v_mul_f32_e32 v2, s33, v2
	v_fmac_f32_e32 v2, s30, v12
	flat_store_b32 v[16:17], v2 offset:192
	s_branch .LBB37_2
.LBB37_10:
	s_sendmsg sendmsg(MSG_DEALLOC_VGPRS)
	s_endpgm
	.section	.rodata,"a",@progbits
	.p2align	6, 0x0
	.amdhsa_kernel _ZN12_GLOBAL__N_127rocblas_gemm_batched_kernelIfLi16ELi16ELi64ELi64ELi4ELi64ELi4ELi4ELi64ELc84ELc67EKPKfS3_KPfEEvlllT_PT11_llS8_llS6_PT12_llPT13_lli
		.amdhsa_group_segment_fixed_size 2048
		.amdhsa_private_segment_fixed_size 0
		.amdhsa_kernarg_size 140
		.amdhsa_user_sgpr_count 2
		.amdhsa_user_sgpr_dispatch_ptr 0
		.amdhsa_user_sgpr_queue_ptr 0
		.amdhsa_user_sgpr_kernarg_segment_ptr 1
		.amdhsa_user_sgpr_dispatch_id 0
		.amdhsa_user_sgpr_kernarg_preload_length 0
		.amdhsa_user_sgpr_kernarg_preload_offset 0
		.amdhsa_user_sgpr_private_segment_size 0
		.amdhsa_wavefront_size32 1
		.amdhsa_uses_dynamic_stack 0
		.amdhsa_enable_private_segment 0
		.amdhsa_system_sgpr_workgroup_id_x 1
		.amdhsa_system_sgpr_workgroup_id_y 1
		.amdhsa_system_sgpr_workgroup_id_z 1
		.amdhsa_system_sgpr_workgroup_info 0
		.amdhsa_system_vgpr_workitem_id 1
		.amdhsa_next_free_vgpr 78
		.amdhsa_next_free_sgpr 36
		.amdhsa_named_barrier_count 0
		.amdhsa_reserve_vcc 1
		.amdhsa_float_round_mode_32 0
		.amdhsa_float_round_mode_16_64 0
		.amdhsa_float_denorm_mode_32 3
		.amdhsa_float_denorm_mode_16_64 3
		.amdhsa_fp16_overflow 0
		.amdhsa_memory_ordered 1
		.amdhsa_forward_progress 1
		.amdhsa_inst_pref_size 19
		.amdhsa_round_robin_scheduling 0
		.amdhsa_exception_fp_ieee_invalid_op 0
		.amdhsa_exception_fp_denorm_src 0
		.amdhsa_exception_fp_ieee_div_zero 0
		.amdhsa_exception_fp_ieee_overflow 0
		.amdhsa_exception_fp_ieee_underflow 0
		.amdhsa_exception_fp_ieee_inexact 0
		.amdhsa_exception_int_div_zero 0
	.end_amdhsa_kernel
	.section	.text._ZN12_GLOBAL__N_127rocblas_gemm_batched_kernelIfLi16ELi16ELi64ELi64ELi4ELi64ELi4ELi4ELi64ELc84ELc67EKPKfS3_KPfEEvlllT_PT11_llS8_llS6_PT12_llPT13_lli,"axG",@progbits,_ZN12_GLOBAL__N_127rocblas_gemm_batched_kernelIfLi16ELi16ELi64ELi64ELi4ELi64ELi4ELi4ELi64ELc84ELc67EKPKfS3_KPfEEvlllT_PT11_llS8_llS6_PT12_llPT13_lli,comdat
.Lfunc_end37:
	.size	_ZN12_GLOBAL__N_127rocblas_gemm_batched_kernelIfLi16ELi16ELi64ELi64ELi4ELi64ELi4ELi4ELi64ELc84ELc67EKPKfS3_KPfEEvlllT_PT11_llS8_llS6_PT12_llPT13_lli, .Lfunc_end37-_ZN12_GLOBAL__N_127rocblas_gemm_batched_kernelIfLi16ELi16ELi64ELi64ELi4ELi64ELi4ELi4ELi64ELc84ELc67EKPKfS3_KPfEEvlllT_PT11_llS8_llS6_PT12_llPT13_lli
                                        ; -- End function
	.set _ZN12_GLOBAL__N_127rocblas_gemm_batched_kernelIfLi16ELi16ELi64ELi64ELi4ELi64ELi4ELi4ELi64ELc84ELc67EKPKfS3_KPfEEvlllT_PT11_llS8_llS6_PT12_llPT13_lli.num_vgpr, 78
	.set _ZN12_GLOBAL__N_127rocblas_gemm_batched_kernelIfLi16ELi16ELi64ELi64ELi4ELi64ELi4ELi4ELi64ELc84ELc67EKPKfS3_KPfEEvlllT_PT11_llS8_llS6_PT12_llPT13_lli.num_agpr, 0
	.set _ZN12_GLOBAL__N_127rocblas_gemm_batched_kernelIfLi16ELi16ELi64ELi64ELi4ELi64ELi4ELi4ELi64ELc84ELc67EKPKfS3_KPfEEvlllT_PT11_llS8_llS6_PT12_llPT13_lli.numbered_sgpr, 36
	.set _ZN12_GLOBAL__N_127rocblas_gemm_batched_kernelIfLi16ELi16ELi64ELi64ELi4ELi64ELi4ELi4ELi64ELc84ELc67EKPKfS3_KPfEEvlllT_PT11_llS8_llS6_PT12_llPT13_lli.num_named_barrier, 0
	.set _ZN12_GLOBAL__N_127rocblas_gemm_batched_kernelIfLi16ELi16ELi64ELi64ELi4ELi64ELi4ELi4ELi64ELc84ELc67EKPKfS3_KPfEEvlllT_PT11_llS8_llS6_PT12_llPT13_lli.private_seg_size, 0
	.set _ZN12_GLOBAL__N_127rocblas_gemm_batched_kernelIfLi16ELi16ELi64ELi64ELi4ELi64ELi4ELi4ELi64ELc84ELc67EKPKfS3_KPfEEvlllT_PT11_llS8_llS6_PT12_llPT13_lli.uses_vcc, 1
	.set _ZN12_GLOBAL__N_127rocblas_gemm_batched_kernelIfLi16ELi16ELi64ELi64ELi4ELi64ELi4ELi4ELi64ELc84ELc67EKPKfS3_KPfEEvlllT_PT11_llS8_llS6_PT12_llPT13_lli.uses_flat_scratch, 1
	.set _ZN12_GLOBAL__N_127rocblas_gemm_batched_kernelIfLi16ELi16ELi64ELi64ELi4ELi64ELi4ELi4ELi64ELc84ELc67EKPKfS3_KPfEEvlllT_PT11_llS8_llS6_PT12_llPT13_lli.has_dyn_sized_stack, 0
	.set _ZN12_GLOBAL__N_127rocblas_gemm_batched_kernelIfLi16ELi16ELi64ELi64ELi4ELi64ELi4ELi4ELi64ELc84ELc67EKPKfS3_KPfEEvlllT_PT11_llS8_llS6_PT12_llPT13_lli.has_recursion, 0
	.set _ZN12_GLOBAL__N_127rocblas_gemm_batched_kernelIfLi16ELi16ELi64ELi64ELi4ELi64ELi4ELi4ELi64ELc84ELc67EKPKfS3_KPfEEvlllT_PT11_llS8_llS6_PT12_llPT13_lli.has_indirect_call, 0
	.section	.AMDGPU.csdata,"",@progbits
; Kernel info:
; codeLenInByte = 2372
; TotalNumSgprs: 38
; NumVgprs: 78
; ScratchSize: 0
; MemoryBound: 0
; FloatMode: 240
; IeeeMode: 1
; LDSByteSize: 2048 bytes/workgroup (compile time only)
; SGPRBlocks: 0
; VGPRBlocks: 4
; NumSGPRsForWavesPerEU: 38
; NumVGPRsForWavesPerEU: 78
; NamedBarCnt: 0
; Occupancy: 12
; WaveLimiterHint : 1
; COMPUTE_PGM_RSRC2:SCRATCH_EN: 0
; COMPUTE_PGM_RSRC2:USER_SGPR: 2
; COMPUTE_PGM_RSRC2:TRAP_HANDLER: 0
; COMPUTE_PGM_RSRC2:TGID_X_EN: 1
; COMPUTE_PGM_RSRC2:TGID_Y_EN: 1
; COMPUTE_PGM_RSRC2:TGID_Z_EN: 1
; COMPUTE_PGM_RSRC2:TIDIG_COMP_CNT: 1
	.section	.text._ZN12_GLOBAL__N_127rocblas_gemm_batched_kernelIfLi16ELi16ELi32ELi32ELi8ELi32ELi8ELi8ELi32ELc78ELc78EKPKfS3_KPfEEvlllT_PT11_llS8_llS6_PT12_llPT13_lli,"axG",@progbits,_ZN12_GLOBAL__N_127rocblas_gemm_batched_kernelIfLi16ELi16ELi32ELi32ELi8ELi32ELi8ELi8ELi32ELc78ELc78EKPKfS3_KPfEEvlllT_PT11_llS8_llS6_PT12_llPT13_lli,comdat
	.globl	_ZN12_GLOBAL__N_127rocblas_gemm_batched_kernelIfLi16ELi16ELi32ELi32ELi8ELi32ELi8ELi8ELi32ELc78ELc78EKPKfS3_KPfEEvlllT_PT11_llS8_llS6_PT12_llPT13_lli ; -- Begin function _ZN12_GLOBAL__N_127rocblas_gemm_batched_kernelIfLi16ELi16ELi32ELi32ELi8ELi32ELi8ELi8ELi32ELc78ELc78EKPKfS3_KPfEEvlllT_PT11_llS8_llS6_PT12_llPT13_lli
	.p2align	8
	.type	_ZN12_GLOBAL__N_127rocblas_gemm_batched_kernelIfLi16ELi16ELi32ELi32ELi8ELi32ELi8ELi8ELi32ELc78ELc78EKPKfS3_KPfEEvlllT_PT11_llS8_llS6_PT12_llPT13_lli,@function
_ZN12_GLOBAL__N_127rocblas_gemm_batched_kernelIfLi16ELi16ELi32ELi32ELi8ELi32ELi8ELi8ELi32ELc78ELc78EKPKfS3_KPfEEvlllT_PT11_llS8_llS6_PT12_llPT13_lli: ; @_ZN12_GLOBAL__N_127rocblas_gemm_batched_kernelIfLi16ELi16ELi32ELi32ELi8ELi32ELi8ELi8ELi32ELc78ELc78EKPKfS3_KPfEEvlllT_PT11_llS8_llS6_PT12_llPT13_lli
; %bb.0:
	s_load_b32 s31, s[0:1], 0x88
	s_bfe_u32 s2, ttmp6, 0x40014
	s_lshr_b32 s3, ttmp7, 16
	s_add_co_i32 s2, s2, 1
	s_bfe_u32 s4, ttmp6, 0x40008
	s_mul_i32 s2, s3, s2
	s_getreg_b32 s12, hwreg(HW_REG_IB_STS2, 6, 4)
	s_add_co_i32 s4, s4, s2
	s_cmp_eq_u32 s12, 0
	s_cselect_b32 s2, s3, s4
	s_mov_b32 s3, 0
	s_wait_kmcnt 0x0
	s_cmp_ge_i32 s2, s31
	s_cbranch_scc1 .LBB38_10
; %bb.1:
	v_bfe_u32 v2, v0, 10, 10
	v_and_b32_e32 v6, 0x3ff, v0
	s_clause 0x1
	s_load_b256 s[4:11], s[0:1], 0x20
	s_load_b128 s[20:23], s[0:1], 0x40
	s_bfe_u32 s14, ttmp6, 0x4000c
	s_bfe_u32 s15, ttmp6, 0x40010
	s_add_co_i32 s14, s14, 1
	s_and_b32 s16, ttmp7, 0xffff
	s_add_co_i32 s15, s15, 1
	v_lshl_add_u32 v14, v2, 4, v6
	v_mov_b32_e32 v3, 0
	s_and_b32 s13, ttmp6, 15
	s_mul_i32 s14, ttmp9, s14
	s_mul_i32 s15, s16, s15
	s_bfe_u32 s17, ttmp6, 0x40004
	s_add_co_i32 s13, s13, s14
	s_add_co_i32 s17, s17, s15
	s_cmp_eq_u32 s12, 0
	v_dual_mov_b32 v9, v3 :: v_dual_lshrrev_b32 v8, 3, v14
	v_lshrrev_b32_e32 v17, 5, v14
	s_cselect_b32 s12, s16, s17
	s_cselect_b32 s28, ttmp9, s13
	s_lshl_b32 s34, s12, 5
	s_mov_b32 s35, s3
	s_clause 0x2
	s_load_b128 s[24:27], s[0:1], 0x78
	s_load_b256 s[12:19], s[0:1], 0x58
	s_load_b32 s33, s[0:1], 0x50
	v_add_nc_u64_e32 v[4:5], s[34:35], v[8:9]
	s_ashr_i32 s29, s28, 31
	v_dual_lshlrev_b32 v9, 2, v0 :: v_dual_mov_b32 v7, v3
	v_dual_mov_b32 v15, v3 :: v_dual_bitop2_b32 v14, 31, v14 bitop3:0x40
	s_delay_alu instid0(VALU_DEP_2) | instskip(SKIP_1) | instid1(VALU_DEP_4)
	v_dual_lshlrev_b32 v24, 2, v6 :: v_dual_bitop2_b32 v16, 28, v9 bitop3:0x40
	s_wait_kmcnt 0x0
	v_mul_u64_e32 v[10:11], s[20:21], v[4:5]
	s_lshl_b64 s[20:21], s[28:29], 5
	v_add_nc_u64_e32 v[4:5], s[34:35], v[2:3]
	v_mad_nc_u64_u32 v[12:13], s6, v17, s[20:21]
	s_load_b96 s[28:30], s[0:1], 0x10
	v_lshl_or_b32 v19, v8, 5, v16
	v_add_nc_u64_e32 v[8:9], s[20:21], v[6:7]
	v_lshlrev_b32_e32 v18, 2, v14
	v_lshl_add_u32 v2, v2, 5, 0x400
	v_mul_u64_e32 v[0:1], s[24:25], v[4:5]
	v_mul_u64_e32 v[4:5], s[14:15], v[4:5]
	s_cmp_eq_f32 s33, 0
	v_lshl_or_b32 v25, v17, 7, v18
	v_lshlrev_b64_e32 v[8:9], 2, v[8:9]
	v_mad_u32 v13, s7, v17, v13
	s_wait_xcnt 0x0
	s_cselect_b32 s1, -1, 0
	s_lshl_b64 s[20:21], s[22:23], 2
	v_dual_mov_b32 v17, v3 :: v_dual_add_nc_u32 v26, 0x400, v19
	s_lshl_b64 s[14:15], s[14:15], 4
	s_lshl_b64 s[6:7], s[6:7], 5
	;; [unrolled: 1-line block ×3, first 2 shown]
	s_wait_kmcnt 0x0
	v_cmp_gt_i64_e64 s0, s[28:29], 0
	s_delay_alu instid0(VALU_DEP_3) | instskip(NEXT) | instid1(VALU_DEP_2)
	v_add_nc_u64_e32 v[6:7], v[12:13], v[14:15]
	v_cndmask_b32_e64 v14, 0, 1, s0
	v_lshl_add_u64 v[10:11], v[10:11], 2, s[20:21]
	s_delay_alu instid0(VALU_DEP_3) | instskip(SKIP_1) | instid1(VALU_DEP_3)
	v_lshlrev_b64_e32 v[12:13], 2, v[6:7]
	s_lshl_b64 s[20:21], s[24:25], 4
	v_cmp_ne_u32_e64 s0, 1, v14
	s_delay_alu instid0(VALU_DEP_3) | instskip(NEXT) | instid1(VALU_DEP_3)
	v_add_nc_u64_e32 v[6:7], v[10:11], v[16:17]
	v_lshl_add_u64 v[10:11], s[8:9], 2, v[12:13]
	s_lshl_b64 s[8:9], s[26:27], 2
	s_branch .LBB38_3
.LBB38_2:                               ;   in Loop: Header=BB38_3 Depth=1
	s_add_co_i32 s2, s2, 0x10000
	s_delay_alu instid0(SALU_CYCLE_1)
	s_cmp_lt_i32 s2, s31
	s_cbranch_scc0 .LBB38_10
.LBB38_3:                               ; =>This Loop Header: Depth=1
                                        ;     Child Loop BB38_5 Depth 2
	v_dual_mov_b32 v14, s2 :: v_dual_mov_b32 v19, 0
	v_dual_mov_b32 v18, 0 :: v_dual_mov_b32 v15, 0
	s_and_b32 vcc_lo, exec_lo, s0
	s_clause 0x1
	global_load_b64 v[12:13], v14, s[12:13] scale_offset
	global_load_b64 v[16:17], v14, s[18:19] scale_offset
	s_wait_xcnt 0x0
	v_mov_b32_e32 v14, 0
	s_cbranch_vccnz .LBB38_6
; %bb.4:                                ;   in Loop: Header=BB38_3 Depth=1
	s_lshl_b64 s[22:23], s[2:3], 3
	v_mov_b32_e32 v14, 0
	s_add_nc_u64 s[24:25], s[10:11], s[22:23]
	s_add_nc_u64 s[22:23], s[4:5], s[22:23]
	s_clause 0x1
	global_load_b64 v[18:19], v3, s[24:25]
	global_load_b64 v[22:23], v3, s[22:23]
	s_wait_xcnt 0x0
	s_mov_b64 s[22:23], 0
	v_mov_b32_e32 v15, v14
	s_wait_loadcnt 0x1
	v_add_nc_u64_e32 v[20:21], v[18:19], v[6:7]
	s_wait_loadcnt 0x0
	v_add_nc_u64_e32 v[22:23], v[22:23], v[10:11]
	v_dual_mov_b32 v18, v14 :: v_dual_mov_b32 v19, v14
.LBB38_5:                               ;   Parent Loop BB38_3 Depth=1
                                        ; =>  This Inner Loop Header: Depth=2
	flat_load_b32 v27, v[22:23]
	s_add_nc_u64 s[22:23], s[22:23], 8
	s_wait_xcnt 0x0
	v_add_nc_u64_e32 v[22:23], s[6:7], v[22:23]
	v_cmp_lt_i64_e64 s24, s[22:23], s[28:29]
	s_and_b32 vcc_lo, exec_lo, s24
	s_wait_loadcnt_dscnt 0x0
	ds_store_b32 v25, v27
	flat_load_b32 v27, v[20:21]
	s_wait_xcnt 0x0
	v_add_nc_u64_e32 v[20:21], 32, v[20:21]
	s_wait_loadcnt_dscnt 0x0
	ds_store_b32 v26, v27
	s_wait_dscnt 0x0
	s_barrier_signal -1
	s_barrier_wait -1
	ds_load_2addr_b32 v[44:45], v24 offset1:16
	ds_load_2addr_b32 v[46:47], v24 offset0:32 offset1:48
	ds_load_b128 v[28:31], v2
	ds_load_b128 v[32:35], v2 offset:512
	ds_load_2addr_b32 v[48:49], v24 offset0:64 offset1:80
	ds_load_2addr_b32 v[50:51], v24 offset0:96 offset1:112
	ds_load_b128 v[36:39], v2 offset:16
	ds_load_2addr_b32 v[52:53], v24 offset0:128 offset1:144
	ds_load_b128 v[40:43], v2 offset:528
	ds_load_2addr_b32 v[54:55], v24 offset0:160 offset1:176
	ds_load_2addr_b32 v[56:57], v24 offset0:192 offset1:208
	s_wait_dscnt 0x9
	v_dual_mov_b32 v60, v47 :: v_dual_mov_b32 v61, v46
	s_wait_dscnt 0x6
	v_dual_mov_b32 v46, v49 :: v_dual_mov_b32 v47, v48
	;; [unrolled: 2-line block ×3, first 2 shown]
	v_dual_mov_b32 v58, v45 :: v_dual_mov_b32 v59, v44
	ds_load_2addr_b32 v[44:45], v24 offset0:224 offset1:240
	s_wait_dscnt 0x0
	s_barrier_signal -1
	s_barrier_wait -1
	v_pk_fma_f32 v[18:19], v[58:59], v[28:29], v[18:19] op_sel_hi:[1,0,1]
	v_pk_fma_f32 v[14:15], v[58:59], v[32:33], v[14:15] op_sel_hi:[1,0,1]
	s_delay_alu instid0(VALU_DEP_2) | instskip(NEXT) | instid1(VALU_DEP_2)
	v_pk_fma_f32 v[18:19], v[60:61], v[28:29], v[18:19] op_sel:[0,1,0]
	v_pk_fma_f32 v[14:15], v[60:61], v[32:33], v[14:15] op_sel:[0,1,0]
	v_dual_mov_b32 v28, v31 :: v_dual_mov_b32 v32, v35
	s_delay_alu instid0(VALU_DEP_3) | instskip(NEXT) | instid1(VALU_DEP_3)
	v_pk_fma_f32 v[18:19], v[46:47], v[30:31], v[18:19] op_sel_hi:[1,0,1]
	v_pk_fma_f32 v[14:15], v[46:47], v[34:35], v[14:15] op_sel_hi:[1,0,1]
	v_dual_mov_b32 v30, v53 :: v_dual_mov_b32 v31, v52
	v_mov_b32_e32 v34, v43
	s_delay_alu instid0(VALU_DEP_4) | instskip(NEXT) | instid1(VALU_DEP_4)
	v_pk_fma_f32 v[18:19], v[48:49], v[28:29], v[18:19] op_sel_hi:[1,0,1]
	v_pk_fma_f32 v[14:15], v[48:49], v[32:33], v[14:15] op_sel_hi:[1,0,1]
	v_dual_mov_b32 v28, v55 :: v_dual_mov_b32 v29, v54
	v_dual_mov_b32 v32, v45 :: v_dual_mov_b32 v33, v44
	s_delay_alu instid0(VALU_DEP_4) | instskip(NEXT) | instid1(VALU_DEP_4)
	v_pk_fma_f32 v[18:19], v[30:31], v[36:37], v[18:19] op_sel_hi:[1,0,1]
	v_pk_fma_f32 v[14:15], v[30:31], v[40:41], v[14:15] op_sel_hi:[1,0,1]
	v_dual_mov_b32 v30, v57 :: v_dual_mov_b32 v31, v56
	s_delay_alu instid0(VALU_DEP_3) | instskip(NEXT) | instid1(VALU_DEP_3)
	v_pk_fma_f32 v[18:19], v[28:29], v[36:37], v[18:19] op_sel:[0,1,0]
	v_pk_fma_f32 v[14:15], v[28:29], v[40:41], v[14:15] op_sel:[0,1,0]
	v_mov_b32_e32 v28, v39
	s_delay_alu instid0(VALU_DEP_3) | instskip(NEXT) | instid1(VALU_DEP_3)
	v_pk_fma_f32 v[18:19], v[30:31], v[38:39], v[18:19] op_sel_hi:[1,0,1]
	v_pk_fma_f32 v[14:15], v[30:31], v[42:43], v[14:15] op_sel_hi:[1,0,1]
	s_delay_alu instid0(VALU_DEP_2) | instskip(NEXT) | instid1(VALU_DEP_2)
	v_pk_fma_f32 v[18:19], v[32:33], v[28:29], v[18:19] op_sel_hi:[1,0,1]
	v_pk_fma_f32 v[14:15], v[32:33], v[34:35], v[14:15] op_sel_hi:[1,0,1]
	s_cbranch_vccnz .LBB38_5
.LBB38_6:                               ;   in Loop: Header=BB38_3 Depth=1
	s_wait_loadcnt 0x0
	v_add_nc_u64_e32 v[16:17], s[8:9], v[16:17]
	s_and_not1_b32 vcc_lo, exec_lo, s1
	s_delay_alu instid0(VALU_DEP_1) | instskip(NEXT) | instid1(VALU_DEP_1)
	v_lshl_add_u64 v[16:17], v[0:1], 2, v[16:17]
	v_add_nc_u64_e32 v[20:21], v[16:17], v[8:9]
	v_lshl_add_u64 v[16:17], s[20:21], 2, v[16:17]
	s_cbranch_vccnz .LBB38_8
; %bb.7:                                ;   in Loop: Header=BB38_3 Depth=1
	s_delay_alu instid0(VALU_DEP_1)
	v_add_nc_u64_e32 v[22:23], v[16:17], v[8:9]
	v_dual_mul_f32 v27, s30, v19 :: v_dual_mul_f32 v28, s30, v18
	v_dual_mul_f32 v29, s30, v15 :: v_dual_mul_f32 v30, s30, v14
	s_clause 0x3
	flat_store_b32 v[20:21], v27
	flat_store_b32 v[20:21], v28 offset:64
	flat_store_b32 v[22:23], v29
	flat_store_b32 v[22:23], v30 offset:64
	s_cbranch_execnz .LBB38_2
	s_branch .LBB38_9
.LBB38_8:                               ;   in Loop: Header=BB38_3 Depth=1
.LBB38_9:                               ;   in Loop: Header=BB38_3 Depth=1
	v_add_nc_u64_e32 v[12:13], s[16:17], v[12:13]
	s_delay_alu instid0(VALU_DEP_2) | instskip(NEXT) | instid1(VALU_DEP_2)
	v_add_nc_u64_e32 v[16:17], v[16:17], v[8:9]
	v_lshl_add_u64 v[12:13], v[4:5], 2, v[12:13]
	s_wait_xcnt 0x0
	s_delay_alu instid0(VALU_DEP_1) | instskip(SKIP_1) | instid1(VALU_DEP_1)
	v_add_nc_u64_e32 v[22:23], v[12:13], v[8:9]
	v_lshl_add_u64 v[12:13], s[14:15], 2, v[12:13]
	v_add_nc_u64_e32 v[12:13], v[12:13], v[8:9]
	flat_load_b32 v27, v[22:23]
	s_wait_loadcnt_dscnt 0x0
	v_mul_f32_e32 v27, s33, v27
	s_delay_alu instid0(VALU_DEP_1) | instskip(SKIP_4) | instid1(VALU_DEP_1)
	v_fmac_f32_e32 v27, s30, v19
	flat_store_b32 v[20:21], v27
	flat_load_b32 v19, v[22:23] offset:64
	s_wait_loadcnt_dscnt 0x0
	v_mul_f32_e32 v19, s33, v19
	v_fmac_f32_e32 v19, s30, v18
	flat_store_b32 v[20:21], v19 offset:64
	flat_load_b32 v18, v[12:13]
	s_wait_loadcnt_dscnt 0x0
	v_mul_f32_e32 v18, s33, v18
	s_delay_alu instid0(VALU_DEP_1)
	v_fmac_f32_e32 v18, s30, v15
	flat_store_b32 v[16:17], v18
	flat_load_b32 v12, v[12:13] offset:64
	s_wait_loadcnt_dscnt 0x0
	s_wait_xcnt 0x0
	v_mul_f32_e32 v12, s33, v12
	s_delay_alu instid0(VALU_DEP_1)
	v_fmac_f32_e32 v12, s30, v14
	flat_store_b32 v[16:17], v12 offset:64
	s_branch .LBB38_2
.LBB38_10:
	s_endpgm
	.section	.rodata,"a",@progbits
	.p2align	6, 0x0
	.amdhsa_kernel _ZN12_GLOBAL__N_127rocblas_gemm_batched_kernelIfLi16ELi16ELi32ELi32ELi8ELi32ELi8ELi8ELi32ELc78ELc78EKPKfS3_KPfEEvlllT_PT11_llS8_llS6_PT12_llPT13_lli
		.amdhsa_group_segment_fixed_size 2048
		.amdhsa_private_segment_fixed_size 0
		.amdhsa_kernarg_size 140
		.amdhsa_user_sgpr_count 2
		.amdhsa_user_sgpr_dispatch_ptr 0
		.amdhsa_user_sgpr_queue_ptr 0
		.amdhsa_user_sgpr_kernarg_segment_ptr 1
		.amdhsa_user_sgpr_dispatch_id 0
		.amdhsa_user_sgpr_kernarg_preload_length 0
		.amdhsa_user_sgpr_kernarg_preload_offset 0
		.amdhsa_user_sgpr_private_segment_size 0
		.amdhsa_wavefront_size32 1
		.amdhsa_uses_dynamic_stack 0
		.amdhsa_enable_private_segment 0
		.amdhsa_system_sgpr_workgroup_id_x 1
		.amdhsa_system_sgpr_workgroup_id_y 1
		.amdhsa_system_sgpr_workgroup_id_z 1
		.amdhsa_system_sgpr_workgroup_info 0
		.amdhsa_system_vgpr_workitem_id 1
		.amdhsa_next_free_vgpr 62
		.amdhsa_next_free_sgpr 36
		.amdhsa_named_barrier_count 0
		.amdhsa_reserve_vcc 1
		.amdhsa_float_round_mode_32 0
		.amdhsa_float_round_mode_16_64 0
		.amdhsa_float_denorm_mode_32 3
		.amdhsa_float_denorm_mode_16_64 3
		.amdhsa_fp16_overflow 0
		.amdhsa_memory_ordered 1
		.amdhsa_forward_progress 1
		.amdhsa_inst_pref_size 12
		.amdhsa_round_robin_scheduling 0
		.amdhsa_exception_fp_ieee_invalid_op 0
		.amdhsa_exception_fp_denorm_src 0
		.amdhsa_exception_fp_ieee_div_zero 0
		.amdhsa_exception_fp_ieee_overflow 0
		.amdhsa_exception_fp_ieee_underflow 0
		.amdhsa_exception_fp_ieee_inexact 0
		.amdhsa_exception_int_div_zero 0
	.end_amdhsa_kernel
	.section	.text._ZN12_GLOBAL__N_127rocblas_gemm_batched_kernelIfLi16ELi16ELi32ELi32ELi8ELi32ELi8ELi8ELi32ELc78ELc78EKPKfS3_KPfEEvlllT_PT11_llS8_llS6_PT12_llPT13_lli,"axG",@progbits,_ZN12_GLOBAL__N_127rocblas_gemm_batched_kernelIfLi16ELi16ELi32ELi32ELi8ELi32ELi8ELi8ELi32ELc78ELc78EKPKfS3_KPfEEvlllT_PT11_llS8_llS6_PT12_llPT13_lli,comdat
.Lfunc_end38:
	.size	_ZN12_GLOBAL__N_127rocblas_gemm_batched_kernelIfLi16ELi16ELi32ELi32ELi8ELi32ELi8ELi8ELi32ELc78ELc78EKPKfS3_KPfEEvlllT_PT11_llS8_llS6_PT12_llPT13_lli, .Lfunc_end38-_ZN12_GLOBAL__N_127rocblas_gemm_batched_kernelIfLi16ELi16ELi32ELi32ELi8ELi32ELi8ELi8ELi32ELc78ELc78EKPKfS3_KPfEEvlllT_PT11_llS8_llS6_PT12_llPT13_lli
                                        ; -- End function
	.set _ZN12_GLOBAL__N_127rocblas_gemm_batched_kernelIfLi16ELi16ELi32ELi32ELi8ELi32ELi8ELi8ELi32ELc78ELc78EKPKfS3_KPfEEvlllT_PT11_llS8_llS6_PT12_llPT13_lli.num_vgpr, 62
	.set _ZN12_GLOBAL__N_127rocblas_gemm_batched_kernelIfLi16ELi16ELi32ELi32ELi8ELi32ELi8ELi8ELi32ELc78ELc78EKPKfS3_KPfEEvlllT_PT11_llS8_llS6_PT12_llPT13_lli.num_agpr, 0
	.set _ZN12_GLOBAL__N_127rocblas_gemm_batched_kernelIfLi16ELi16ELi32ELi32ELi8ELi32ELi8ELi8ELi32ELc78ELc78EKPKfS3_KPfEEvlllT_PT11_llS8_llS6_PT12_llPT13_lli.numbered_sgpr, 36
	.set _ZN12_GLOBAL__N_127rocblas_gemm_batched_kernelIfLi16ELi16ELi32ELi32ELi8ELi32ELi8ELi8ELi32ELc78ELc78EKPKfS3_KPfEEvlllT_PT11_llS8_llS6_PT12_llPT13_lli.num_named_barrier, 0
	.set _ZN12_GLOBAL__N_127rocblas_gemm_batched_kernelIfLi16ELi16ELi32ELi32ELi8ELi32ELi8ELi8ELi32ELc78ELc78EKPKfS3_KPfEEvlllT_PT11_llS8_llS6_PT12_llPT13_lli.private_seg_size, 0
	.set _ZN12_GLOBAL__N_127rocblas_gemm_batched_kernelIfLi16ELi16ELi32ELi32ELi8ELi32ELi8ELi8ELi32ELc78ELc78EKPKfS3_KPfEEvlllT_PT11_llS8_llS6_PT12_llPT13_lli.uses_vcc, 1
	.set _ZN12_GLOBAL__N_127rocblas_gemm_batched_kernelIfLi16ELi16ELi32ELi32ELi8ELi32ELi8ELi8ELi32ELc78ELc78EKPKfS3_KPfEEvlllT_PT11_llS8_llS6_PT12_llPT13_lli.uses_flat_scratch, 1
	.set _ZN12_GLOBAL__N_127rocblas_gemm_batched_kernelIfLi16ELi16ELi32ELi32ELi8ELi32ELi8ELi8ELi32ELc78ELc78EKPKfS3_KPfEEvlllT_PT11_llS8_llS6_PT12_llPT13_lli.has_dyn_sized_stack, 0
	.set _ZN12_GLOBAL__N_127rocblas_gemm_batched_kernelIfLi16ELi16ELi32ELi32ELi8ELi32ELi8ELi8ELi32ELc78ELc78EKPKfS3_KPfEEvlllT_PT11_llS8_llS6_PT12_llPT13_lli.has_recursion, 0
	.set _ZN12_GLOBAL__N_127rocblas_gemm_batched_kernelIfLi16ELi16ELi32ELi32ELi8ELi32ELi8ELi8ELi32ELc78ELc78EKPKfS3_KPfEEvlllT_PT11_llS8_llS6_PT12_llPT13_lli.has_indirect_call, 0
	.section	.AMDGPU.csdata,"",@progbits
; Kernel info:
; codeLenInByte = 1444
; TotalNumSgprs: 38
; NumVgprs: 62
; ScratchSize: 0
; MemoryBound: 0
; FloatMode: 240
; IeeeMode: 1
; LDSByteSize: 2048 bytes/workgroup (compile time only)
; SGPRBlocks: 0
; VGPRBlocks: 3
; NumSGPRsForWavesPerEU: 38
; NumVGPRsForWavesPerEU: 62
; NamedBarCnt: 0
; Occupancy: 16
; WaveLimiterHint : 1
; COMPUTE_PGM_RSRC2:SCRATCH_EN: 0
; COMPUTE_PGM_RSRC2:USER_SGPR: 2
; COMPUTE_PGM_RSRC2:TRAP_HANDLER: 0
; COMPUTE_PGM_RSRC2:TGID_X_EN: 1
; COMPUTE_PGM_RSRC2:TGID_Y_EN: 1
; COMPUTE_PGM_RSRC2:TGID_Z_EN: 1
; COMPUTE_PGM_RSRC2:TIDIG_COMP_CNT: 1
	.section	.text._ZN12_GLOBAL__N_127rocblas_gemm_batched_kernelIfLi16ELi16ELi32ELi32ELi8ELi32ELi8ELi8ELi32ELc84ELc78EKPKfS3_KPfEEvlllT_PT11_llS8_llS6_PT12_llPT13_lli,"axG",@progbits,_ZN12_GLOBAL__N_127rocblas_gemm_batched_kernelIfLi16ELi16ELi32ELi32ELi8ELi32ELi8ELi8ELi32ELc84ELc78EKPKfS3_KPfEEvlllT_PT11_llS8_llS6_PT12_llPT13_lli,comdat
	.globl	_ZN12_GLOBAL__N_127rocblas_gemm_batched_kernelIfLi16ELi16ELi32ELi32ELi8ELi32ELi8ELi8ELi32ELc84ELc78EKPKfS3_KPfEEvlllT_PT11_llS8_llS6_PT12_llPT13_lli ; -- Begin function _ZN12_GLOBAL__N_127rocblas_gemm_batched_kernelIfLi16ELi16ELi32ELi32ELi8ELi32ELi8ELi8ELi32ELc84ELc78EKPKfS3_KPfEEvlllT_PT11_llS8_llS6_PT12_llPT13_lli
	.p2align	8
	.type	_ZN12_GLOBAL__N_127rocblas_gemm_batched_kernelIfLi16ELi16ELi32ELi32ELi8ELi32ELi8ELi8ELi32ELc84ELc78EKPKfS3_KPfEEvlllT_PT11_llS8_llS6_PT12_llPT13_lli,@function
_ZN12_GLOBAL__N_127rocblas_gemm_batched_kernelIfLi16ELi16ELi32ELi32ELi8ELi32ELi8ELi8ELi32ELc84ELc78EKPKfS3_KPfEEvlllT_PT11_llS8_llS6_PT12_llPT13_lli: ; @_ZN12_GLOBAL__N_127rocblas_gemm_batched_kernelIfLi16ELi16ELi32ELi32ELi8ELi32ELi8ELi8ELi32ELc84ELc78EKPKfS3_KPfEEvlllT_PT11_llS8_llS6_PT12_llPT13_lli
; %bb.0:
	s_load_b32 s31, s[0:1], 0x88
	s_bfe_u32 s2, ttmp6, 0x40014
	s_lshr_b32 s3, ttmp7, 16
	s_add_co_i32 s2, s2, 1
	s_bfe_u32 s4, ttmp6, 0x40008
	s_mul_i32 s2, s3, s2
	s_getreg_b32 s12, hwreg(HW_REG_IB_STS2, 6, 4)
	s_add_co_i32 s4, s4, s2
	s_cmp_eq_u32 s12, 0
	s_cselect_b32 s2, s3, s4
	s_mov_b32 s3, 0
	s_wait_kmcnt 0x0
	s_cmp_ge_i32 s2, s31
	s_cbranch_scc1 .LBB39_10
; %bb.1:
	v_bfe_u32 v2, v0, 10, 10
	v_and_b32_e32 v6, 0x3ff, v0
	s_bfe_u32 s14, ttmp6, 0x4000c
	s_bfe_u32 s15, ttmp6, 0x40010
	s_clause 0x1
	s_load_b256 s[4:11], s[0:1], 0x20
	s_load_b128 s[24:27], s[0:1], 0x40
	s_add_co_i32 s14, s14, 1
	s_and_b32 s16, ttmp7, 0xffff
	s_add_co_i32 s15, s15, 1
	v_lshl_add_u32 v15, v2, 4, v6
	v_mov_b32_e32 v3, 0
	s_and_b32 s13, ttmp6, 15
	s_mul_i32 s14, ttmp9, s14
	s_mul_i32 s15, s16, s15
	s_bfe_u32 s17, ttmp6, 0x40004
	s_add_co_i32 s13, s13, s14
	s_add_co_i32 s17, s17, s15
	s_cmp_eq_u32 s12, 0
	v_dual_lshrrev_b32 v8, 3, v15 :: v_dual_bitop2_b32 v16, 31, v15 bitop3:0x40
	v_mov_b32_e32 v9, v3
	s_cselect_b32 s12, ttmp9, s13
	s_cselect_b32 s14, s16, s17
	s_ashr_i32 s13, s12, 31
	s_lshl_b32 s28, s14, 5
	s_mov_b32 s29, s3
	s_load_b128 s[20:23], s[0:1], 0x78
	s_lshl_b64 s[34:35], s[12:13], 5
	s_load_b256 s[12:19], s[0:1], 0x58
	v_add_nc_u64_e32 v[4:5], s[28:29], v[8:9]
	v_dual_mov_b32 v11, s35 :: v_dual_bitop2_b32 v10, s34, v16 bitop3:0x54
	s_load_b32 s33, s[0:1], 0x50
	v_lshlrev_b32_e32 v7, 2, v0
	v_lshl_add_u32 v24, v2, 5, 0x400
	v_lshlrev_b32_e32 v9, 2, v16
	s_wait_kmcnt 0x0
	v_mul_u64_e32 v[12:13], s[24:25], v[4:5]
	v_mul_u64_e32 v[10:11], s[6:7], v[10:11]
	v_add_nc_u64_e32 v[4:5], s[28:29], v[2:3]
	s_load_b96 s[28:30], s[0:1], 0x10
	v_lshrrev_b32_e32 v2, 5, v15
	v_dual_mov_b32 v7, v3 :: v_dual_bitop2_b32 v14, 28, v7 bitop3:0x40
	v_dual_mov_b32 v15, v3 :: v_dual_lshlrev_b32 v27, 2, v6
	s_delay_alu instid0(VALU_DEP_3) | instskip(SKIP_1) | instid1(VALU_DEP_4)
	v_lshl_or_b32 v25, v2, 7, v9
	v_mul_u64_e32 v[0:1], s[20:21], v[4:5]
	v_lshl_or_b32 v8, v8, 5, v14
	v_mul_u64_e32 v[4:5], s[14:15], v[4:5]
	v_add_nc_u64_e32 v[16:17], s[34:35], v[6:7]
	v_lshlrev_b32_e32 v2, 2, v2
	s_cmp_eq_f32 s33, 0
	v_add_nc_u32_e32 v26, 0x400, v8
	s_wait_xcnt 0x0
	s_cselect_b32 s1, -1, 0
	s_lshl_b64 s[6:7], s[26:27], 2
	s_lshl_b64 s[8:9], s[8:9], 2
	s_wait_kmcnt 0x0
	v_cmp_gt_i64_e64 s0, s[28:29], 0
	s_lshl_b64 s[16:17], s[16:17], 2
	v_lshl_add_u64 v[8:9], v[12:13], 2, s[6:7]
	v_lshl_add_u64 v[10:11], v[10:11], 2, s[8:9]
	v_cndmask_b32_e64 v12, 0, 1, s0
	s_lshl_b64 s[6:7], s[20:21], 4
	s_lshl_b64 s[8:9], s[14:15], 4
	v_add_nc_u64_e32 v[6:7], v[8:9], v[14:15]
	v_add_nc_u64_e32 v[8:9], v[10:11], v[2:3]
	v_lshlrev_b64_e32 v[10:11], 2, v[16:17]
	v_cmp_ne_u32_e64 s0, 1, v12
	s_lshl_b64 s[14:15], s[22:23], 2
	s_branch .LBB39_3
.LBB39_2:                               ;   in Loop: Header=BB39_3 Depth=1
	s_add_co_i32 s2, s2, 0x10000
	s_delay_alu instid0(SALU_CYCLE_1)
	s_cmp_lt_i32 s2, s31
	s_cbranch_scc0 .LBB39_10
.LBB39_3:                               ; =>This Loop Header: Depth=1
                                        ;     Child Loop BB39_5 Depth 2
	s_wait_xcnt 0x0
	v_dual_mov_b32 v2, s2 :: v_dual_mov_b32 v19, 0
	v_dual_mov_b32 v18, 0 :: v_dual_mov_b32 v15, 0
	v_mov_b32_e32 v14, 0
	s_clause 0x1
	global_load_b64 v[12:13], v2, s[12:13] scale_offset
	global_load_b64 v[16:17], v2, s[18:19] scale_offset
	s_and_b32 vcc_lo, exec_lo, s0
	s_cbranch_vccnz .LBB39_6
; %bb.4:                                ;   in Loop: Header=BB39_3 Depth=1
	s_lshl_b64 s[20:21], s[2:3], 3
	v_mov_b32_e32 v14, 0
	s_add_nc_u64 s[22:23], s[10:11], s[20:21]
	s_add_nc_u64 s[20:21], s[4:5], s[20:21]
	s_clause 0x1
	global_load_b64 v[18:19], v3, s[22:23]
	global_load_b64 v[22:23], v3, s[20:21]
	s_wait_xcnt 0x0
	s_mov_b64 s[20:21], 0
	v_mov_b32_e32 v15, v14
	s_wait_loadcnt 0x1
	v_add_nc_u64_e32 v[20:21], v[18:19], v[6:7]
	s_wait_loadcnt 0x0
	v_add_nc_u64_e32 v[22:23], v[22:23], v[8:9]
	v_dual_mov_b32 v18, v14 :: v_dual_mov_b32 v19, v14
.LBB39_5:                               ;   Parent Loop BB39_3 Depth=1
                                        ; =>  This Inner Loop Header: Depth=2
	flat_load_b32 v2, v[22:23]
	s_add_nc_u64 s[20:21], s[20:21], 8
	s_wait_xcnt 0x0
	v_add_nc_u64_e32 v[22:23], 32, v[22:23]
	v_cmp_lt_i64_e64 s22, s[20:21], s[28:29]
	s_and_b32 vcc_lo, exec_lo, s22
	s_wait_loadcnt_dscnt 0x0
	ds_store_b32 v25, v2
	flat_load_b32 v2, v[20:21]
	s_wait_xcnt 0x0
	v_add_nc_u64_e32 v[20:21], 32, v[20:21]
	s_wait_loadcnt_dscnt 0x0
	ds_store_b32 v26, v2
	s_wait_dscnt 0x0
	s_barrier_signal -1
	s_barrier_wait -1
	ds_load_2addr_b32 v[44:45], v27 offset1:16
	ds_load_2addr_b32 v[46:47], v27 offset0:32 offset1:48
	ds_load_b128 v[28:31], v24
	ds_load_b128 v[32:35], v24 offset:512
	ds_load_2addr_b32 v[48:49], v27 offset0:64 offset1:80
	ds_load_2addr_b32 v[50:51], v27 offset0:96 offset1:112
	ds_load_b128 v[36:39], v24 offset:16
	ds_load_2addr_b32 v[52:53], v27 offset0:128 offset1:144
	ds_load_b128 v[40:43], v24 offset:528
	ds_load_2addr_b32 v[54:55], v27 offset0:160 offset1:176
	ds_load_2addr_b32 v[56:57], v27 offset0:192 offset1:208
	s_wait_dscnt 0x9
	v_dual_mov_b32 v60, v47 :: v_dual_mov_b32 v61, v46
	s_wait_dscnt 0x6
	v_dual_mov_b32 v2, v31 :: v_dual_mov_b32 v46, v49
	;; [unrolled: 2-line block ×3, first 2 shown]
	v_dual_mov_b32 v49, v50 :: v_dual_mov_b32 v58, v45
	v_mov_b32_e32 v59, v44
	ds_load_2addr_b32 v[44:45], v27 offset0:224 offset1:240
	s_wait_dscnt 0x0
	s_barrier_signal -1
	s_barrier_wait -1
	v_pk_fma_f32 v[18:19], v[58:59], v[28:29], v[18:19] op_sel_hi:[1,0,1]
	v_pk_fma_f32 v[14:15], v[58:59], v[32:33], v[14:15] op_sel_hi:[1,0,1]
	s_delay_alu instid0(VALU_DEP_2) | instskip(NEXT) | instid1(VALU_DEP_2)
	v_pk_fma_f32 v[18:19], v[60:61], v[28:29], v[18:19] op_sel:[0,1,0]
	v_pk_fma_f32 v[14:15], v[60:61], v[32:33], v[14:15] op_sel:[0,1,0]
	v_mov_b32_e32 v28, v35
	s_delay_alu instid0(VALU_DEP_3) | instskip(NEXT) | instid1(VALU_DEP_3)
	v_pk_fma_f32 v[18:19], v[46:47], v[30:31], v[18:19] op_sel_hi:[1,0,1]
	v_pk_fma_f32 v[14:15], v[46:47], v[34:35], v[14:15] op_sel_hi:[1,0,1]
	v_dual_mov_b32 v30, v53 :: v_dual_mov_b32 v31, v52
	s_delay_alu instid0(VALU_DEP_3) | instskip(NEXT) | instid1(VALU_DEP_3)
	v_pk_fma_f32 v[18:19], v[48:49], v[2:3], v[18:19] op_sel_hi:[1,0,1]
	v_pk_fma_f32 v[14:15], v[48:49], v[28:29], v[14:15] op_sel_hi:[1,0,1]
	v_dual_mov_b32 v28, v55 :: v_dual_mov_b32 v29, v54
	v_dual_mov_b32 v32, v45 :: v_dual_mov_b32 v33, v44
	s_delay_alu instid0(VALU_DEP_4) | instskip(NEXT) | instid1(VALU_DEP_4)
	v_pk_fma_f32 v[18:19], v[30:31], v[36:37], v[18:19] op_sel_hi:[1,0,1]
	v_pk_fma_f32 v[14:15], v[30:31], v[40:41], v[14:15] op_sel_hi:[1,0,1]
	v_dual_mov_b32 v30, v57 :: v_dual_mov_b32 v31, v56
	v_mov_b32_e32 v2, v39
	s_delay_alu instid0(VALU_DEP_4) | instskip(NEXT) | instid1(VALU_DEP_4)
	v_pk_fma_f32 v[18:19], v[28:29], v[36:37], v[18:19] op_sel:[0,1,0]
	v_pk_fma_f32 v[14:15], v[28:29], v[40:41], v[14:15] op_sel:[0,1,0]
	v_mov_b32_e32 v28, v43
	s_delay_alu instid0(VALU_DEP_3) | instskip(NEXT) | instid1(VALU_DEP_3)
	v_pk_fma_f32 v[18:19], v[30:31], v[38:39], v[18:19] op_sel_hi:[1,0,1]
	v_pk_fma_f32 v[14:15], v[30:31], v[42:43], v[14:15] op_sel_hi:[1,0,1]
	s_delay_alu instid0(VALU_DEP_2) | instskip(NEXT) | instid1(VALU_DEP_2)
	v_pk_fma_f32 v[18:19], v[32:33], v[2:3], v[18:19] op_sel_hi:[1,0,1]
	v_pk_fma_f32 v[14:15], v[32:33], v[28:29], v[14:15] op_sel_hi:[1,0,1]
	s_cbranch_vccnz .LBB39_5
.LBB39_6:                               ;   in Loop: Header=BB39_3 Depth=1
	s_wait_loadcnt 0x0
	v_add_nc_u64_e32 v[16:17], s[14:15], v[16:17]
	s_and_not1_b32 vcc_lo, exec_lo, s1
	s_delay_alu instid0(VALU_DEP_1) | instskip(NEXT) | instid1(VALU_DEP_1)
	v_lshl_add_u64 v[16:17], v[0:1], 2, v[16:17]
	v_add_nc_u64_e32 v[20:21], v[16:17], v[10:11]
	v_lshl_add_u64 v[16:17], s[6:7], 2, v[16:17]
	s_cbranch_vccnz .LBB39_8
; %bb.7:                                ;   in Loop: Header=BB39_3 Depth=1
	s_delay_alu instid0(VALU_DEP_1)
	v_add_nc_u64_e32 v[22:23], v[16:17], v[10:11]
	s_wait_xcnt 0x0
	v_dual_mul_f32 v2, s30, v19 :: v_dual_mul_f32 v28, s30, v18
	v_dual_mul_f32 v29, s30, v15 :: v_dual_mul_f32 v30, s30, v14
	s_clause 0x3
	flat_store_b32 v[20:21], v2
	flat_store_b32 v[20:21], v28 offset:64
	flat_store_b32 v[22:23], v29
	flat_store_b32 v[22:23], v30 offset:64
	s_cbranch_execnz .LBB39_2
	s_branch .LBB39_9
.LBB39_8:                               ;   in Loop: Header=BB39_3 Depth=1
.LBB39_9:                               ;   in Loop: Header=BB39_3 Depth=1
	v_add_nc_u64_e32 v[12:13], s[16:17], v[12:13]
	s_delay_alu instid0(VALU_DEP_2) | instskip(NEXT) | instid1(VALU_DEP_2)
	v_add_nc_u64_e32 v[16:17], v[16:17], v[10:11]
	v_lshl_add_u64 v[12:13], v[4:5], 2, v[12:13]
	s_wait_xcnt 0x0
	s_delay_alu instid0(VALU_DEP_1) | instskip(SKIP_1) | instid1(VALU_DEP_1)
	v_add_nc_u64_e32 v[22:23], v[12:13], v[10:11]
	v_lshl_add_u64 v[12:13], s[8:9], 2, v[12:13]
	v_add_nc_u64_e32 v[12:13], v[12:13], v[10:11]
	flat_load_b32 v2, v[22:23]
	s_wait_loadcnt_dscnt 0x0
	v_mul_f32_e32 v2, s33, v2
	s_delay_alu instid0(VALU_DEP_1) | instskip(SKIP_4) | instid1(VALU_DEP_1)
	v_fmac_f32_e32 v2, s30, v19
	flat_store_b32 v[20:21], v2
	flat_load_b32 v2, v[22:23] offset:64
	s_wait_loadcnt_dscnt 0x0
	v_mul_f32_e32 v2, s33, v2
	v_fmac_f32_e32 v2, s30, v18
	flat_store_b32 v[20:21], v2 offset:64
	flat_load_b32 v2, v[12:13]
	s_wait_loadcnt_dscnt 0x0
	v_mul_f32_e32 v2, s33, v2
	s_delay_alu instid0(VALU_DEP_1) | instskip(SKIP_4) | instid1(VALU_DEP_1)
	v_fmac_f32_e32 v2, s30, v15
	flat_store_b32 v[16:17], v2
	flat_load_b32 v2, v[12:13] offset:64
	s_wait_loadcnt_dscnt 0x0
	v_mul_f32_e32 v2, s33, v2
	v_fmac_f32_e32 v2, s30, v14
	flat_store_b32 v[16:17], v2 offset:64
	s_branch .LBB39_2
.LBB39_10:
	s_endpgm
	.section	.rodata,"a",@progbits
	.p2align	6, 0x0
	.amdhsa_kernel _ZN12_GLOBAL__N_127rocblas_gemm_batched_kernelIfLi16ELi16ELi32ELi32ELi8ELi32ELi8ELi8ELi32ELc84ELc78EKPKfS3_KPfEEvlllT_PT11_llS8_llS6_PT12_llPT13_lli
		.amdhsa_group_segment_fixed_size 2048
		.amdhsa_private_segment_fixed_size 0
		.amdhsa_kernarg_size 140
		.amdhsa_user_sgpr_count 2
		.amdhsa_user_sgpr_dispatch_ptr 0
		.amdhsa_user_sgpr_queue_ptr 0
		.amdhsa_user_sgpr_kernarg_segment_ptr 1
		.amdhsa_user_sgpr_dispatch_id 0
		.amdhsa_user_sgpr_kernarg_preload_length 0
		.amdhsa_user_sgpr_kernarg_preload_offset 0
		.amdhsa_user_sgpr_private_segment_size 0
		.amdhsa_wavefront_size32 1
		.amdhsa_uses_dynamic_stack 0
		.amdhsa_enable_private_segment 0
		.amdhsa_system_sgpr_workgroup_id_x 1
		.amdhsa_system_sgpr_workgroup_id_y 1
		.amdhsa_system_sgpr_workgroup_id_z 1
		.amdhsa_system_sgpr_workgroup_info 0
		.amdhsa_system_vgpr_workitem_id 1
		.amdhsa_next_free_vgpr 62
		.amdhsa_next_free_sgpr 36
		.amdhsa_named_barrier_count 0
		.amdhsa_reserve_vcc 1
		.amdhsa_float_round_mode_32 0
		.amdhsa_float_round_mode_16_64 0
		.amdhsa_float_denorm_mode_32 3
		.amdhsa_float_denorm_mode_16_64 3
		.amdhsa_fp16_overflow 0
		.amdhsa_memory_ordered 1
		.amdhsa_forward_progress 1
		.amdhsa_inst_pref_size 12
		.amdhsa_round_robin_scheduling 0
		.amdhsa_exception_fp_ieee_invalid_op 0
		.amdhsa_exception_fp_denorm_src 0
		.amdhsa_exception_fp_ieee_div_zero 0
		.amdhsa_exception_fp_ieee_overflow 0
		.amdhsa_exception_fp_ieee_underflow 0
		.amdhsa_exception_fp_ieee_inexact 0
		.amdhsa_exception_int_div_zero 0
	.end_amdhsa_kernel
	.section	.text._ZN12_GLOBAL__N_127rocblas_gemm_batched_kernelIfLi16ELi16ELi32ELi32ELi8ELi32ELi8ELi8ELi32ELc84ELc78EKPKfS3_KPfEEvlllT_PT11_llS8_llS6_PT12_llPT13_lli,"axG",@progbits,_ZN12_GLOBAL__N_127rocblas_gemm_batched_kernelIfLi16ELi16ELi32ELi32ELi8ELi32ELi8ELi8ELi32ELc84ELc78EKPKfS3_KPfEEvlllT_PT11_llS8_llS6_PT12_llPT13_lli,comdat
.Lfunc_end39:
	.size	_ZN12_GLOBAL__N_127rocblas_gemm_batched_kernelIfLi16ELi16ELi32ELi32ELi8ELi32ELi8ELi8ELi32ELc84ELc78EKPKfS3_KPfEEvlllT_PT11_llS8_llS6_PT12_llPT13_lli, .Lfunc_end39-_ZN12_GLOBAL__N_127rocblas_gemm_batched_kernelIfLi16ELi16ELi32ELi32ELi8ELi32ELi8ELi8ELi32ELc84ELc78EKPKfS3_KPfEEvlllT_PT11_llS8_llS6_PT12_llPT13_lli
                                        ; -- End function
	.set _ZN12_GLOBAL__N_127rocblas_gemm_batched_kernelIfLi16ELi16ELi32ELi32ELi8ELi32ELi8ELi8ELi32ELc84ELc78EKPKfS3_KPfEEvlllT_PT11_llS8_llS6_PT12_llPT13_lli.num_vgpr, 62
	.set _ZN12_GLOBAL__N_127rocblas_gemm_batched_kernelIfLi16ELi16ELi32ELi32ELi8ELi32ELi8ELi8ELi32ELc84ELc78EKPKfS3_KPfEEvlllT_PT11_llS8_llS6_PT12_llPT13_lli.num_agpr, 0
	.set _ZN12_GLOBAL__N_127rocblas_gemm_batched_kernelIfLi16ELi16ELi32ELi32ELi8ELi32ELi8ELi8ELi32ELc84ELc78EKPKfS3_KPfEEvlllT_PT11_llS8_llS6_PT12_llPT13_lli.numbered_sgpr, 36
	.set _ZN12_GLOBAL__N_127rocblas_gemm_batched_kernelIfLi16ELi16ELi32ELi32ELi8ELi32ELi8ELi8ELi32ELc84ELc78EKPKfS3_KPfEEvlllT_PT11_llS8_llS6_PT12_llPT13_lli.num_named_barrier, 0
	.set _ZN12_GLOBAL__N_127rocblas_gemm_batched_kernelIfLi16ELi16ELi32ELi32ELi8ELi32ELi8ELi8ELi32ELc84ELc78EKPKfS3_KPfEEvlllT_PT11_llS8_llS6_PT12_llPT13_lli.private_seg_size, 0
	.set _ZN12_GLOBAL__N_127rocblas_gemm_batched_kernelIfLi16ELi16ELi32ELi32ELi8ELi32ELi8ELi8ELi32ELc84ELc78EKPKfS3_KPfEEvlllT_PT11_llS8_llS6_PT12_llPT13_lli.uses_vcc, 1
	.set _ZN12_GLOBAL__N_127rocblas_gemm_batched_kernelIfLi16ELi16ELi32ELi32ELi8ELi32ELi8ELi8ELi32ELc84ELc78EKPKfS3_KPfEEvlllT_PT11_llS8_llS6_PT12_llPT13_lli.uses_flat_scratch, 1
	.set _ZN12_GLOBAL__N_127rocblas_gemm_batched_kernelIfLi16ELi16ELi32ELi32ELi8ELi32ELi8ELi8ELi32ELc84ELc78EKPKfS3_KPfEEvlllT_PT11_llS8_llS6_PT12_llPT13_lli.has_dyn_sized_stack, 0
	.set _ZN12_GLOBAL__N_127rocblas_gemm_batched_kernelIfLi16ELi16ELi32ELi32ELi8ELi32ELi8ELi8ELi32ELc84ELc78EKPKfS3_KPfEEvlllT_PT11_llS8_llS6_PT12_llPT13_lli.has_recursion, 0
	.set _ZN12_GLOBAL__N_127rocblas_gemm_batched_kernelIfLi16ELi16ELi32ELi32ELi8ELi32ELi8ELi8ELi32ELc84ELc78EKPKfS3_KPfEEvlllT_PT11_llS8_llS6_PT12_llPT13_lli.has_indirect_call, 0
	.section	.AMDGPU.csdata,"",@progbits
; Kernel info:
; codeLenInByte = 1424
; TotalNumSgprs: 38
; NumVgprs: 62
; ScratchSize: 0
; MemoryBound: 0
; FloatMode: 240
; IeeeMode: 1
; LDSByteSize: 2048 bytes/workgroup (compile time only)
; SGPRBlocks: 0
; VGPRBlocks: 3
; NumSGPRsForWavesPerEU: 38
; NumVGPRsForWavesPerEU: 62
; NamedBarCnt: 0
; Occupancy: 16
; WaveLimiterHint : 1
; COMPUTE_PGM_RSRC2:SCRATCH_EN: 0
; COMPUTE_PGM_RSRC2:USER_SGPR: 2
; COMPUTE_PGM_RSRC2:TRAP_HANDLER: 0
; COMPUTE_PGM_RSRC2:TGID_X_EN: 1
; COMPUTE_PGM_RSRC2:TGID_Y_EN: 1
; COMPUTE_PGM_RSRC2:TGID_Z_EN: 1
; COMPUTE_PGM_RSRC2:TIDIG_COMP_CNT: 1
	.section	.text._ZN12_GLOBAL__N_127rocblas_gemm_batched_kernelIfLi16ELi16ELi32ELi32ELi8ELi32ELi8ELi8ELi32ELc78ELc84EKPKfS3_KPfEEvlllT_PT11_llS8_llS6_PT12_llPT13_lli,"axG",@progbits,_ZN12_GLOBAL__N_127rocblas_gemm_batched_kernelIfLi16ELi16ELi32ELi32ELi8ELi32ELi8ELi8ELi32ELc78ELc84EKPKfS3_KPfEEvlllT_PT11_llS8_llS6_PT12_llPT13_lli,comdat
	.globl	_ZN12_GLOBAL__N_127rocblas_gemm_batched_kernelIfLi16ELi16ELi32ELi32ELi8ELi32ELi8ELi8ELi32ELc78ELc84EKPKfS3_KPfEEvlllT_PT11_llS8_llS6_PT12_llPT13_lli ; -- Begin function _ZN12_GLOBAL__N_127rocblas_gemm_batched_kernelIfLi16ELi16ELi32ELi32ELi8ELi32ELi8ELi8ELi32ELc78ELc84EKPKfS3_KPfEEvlllT_PT11_llS8_llS6_PT12_llPT13_lli
	.p2align	8
	.type	_ZN12_GLOBAL__N_127rocblas_gemm_batched_kernelIfLi16ELi16ELi32ELi32ELi8ELi32ELi8ELi8ELi32ELc78ELc84EKPKfS3_KPfEEvlllT_PT11_llS8_llS6_PT12_llPT13_lli,@function
_ZN12_GLOBAL__N_127rocblas_gemm_batched_kernelIfLi16ELi16ELi32ELi32ELi8ELi32ELi8ELi8ELi32ELc78ELc84EKPKfS3_KPfEEvlllT_PT11_llS8_llS6_PT12_llPT13_lli: ; @_ZN12_GLOBAL__N_127rocblas_gemm_batched_kernelIfLi16ELi16ELi32ELi32ELi8ELi32ELi8ELi8ELi32ELc78ELc84EKPKfS3_KPfEEvlllT_PT11_llS8_llS6_PT12_llPT13_lli
; %bb.0:
	s_load_b32 s31, s[0:1], 0x88
	s_bfe_u32 s2, ttmp6, 0x40014
	s_lshr_b32 s3, ttmp7, 16
	s_add_co_i32 s2, s2, 1
	s_bfe_u32 s4, ttmp6, 0x40008
	s_mul_i32 s2, s3, s2
	s_getreg_b32 s28, hwreg(HW_REG_IB_STS2, 6, 4)
	s_add_co_i32 s4, s4, s2
	s_cmp_eq_u32 s28, 0
	s_cselect_b32 s2, s3, s4
	s_mov_b32 s3, 0
	s_wait_kmcnt 0x0
	s_cmp_ge_i32 s2, s31
	s_cbranch_scc1 .LBB40_10
; %bb.1:
	s_clause 0x2
	s_load_b256 s[4:11], s[0:1], 0x20
	s_load_b128 s[24:27], s[0:1], 0x40
	s_load_b32 s33, s[0:1], 0x50
	v_bfe_u32 v2, v0, 10, 10
	v_and_b32_e32 v6, 0x3ff, v0
	s_bfe_u32 s29, ttmp6, 0x4000c
	s_bfe_u32 s34, ttmp6, 0x40010
	s_add_co_i32 s29, s29, 1
	s_and_b32 s35, ttmp7, 0xffff
	s_add_co_i32 s34, s34, 1
	v_lshl_add_u32 v1, v2, 4, v6
	v_dual_mov_b32 v3, 0 :: v_dual_bitop2_b32 v0, 7, v0 bitop3:0x40
	s_clause 0x1
	s_load_b128 s[20:23], s[0:1], 0x78
	s_load_b256 s[12:19], s[0:1], 0x58
	s_and_b32 s30, ttmp6, 15
	s_mul_i32 s29, ttmp9, s29
	s_mul_i32 s34, s35, s34
	s_bfe_u32 s36, ttmp6, 0x40004
	s_add_co_i32 s30, s30, s29
	s_add_co_i32 s36, s36, s34
	s_cmp_eq_u32 s28, 0
	v_dual_mov_b32 v9, v3 :: v_dual_lshrrev_b32 v8, 3, v1
	s_cselect_b32 s28, ttmp9, s30
	v_dual_lshrrev_b32 v16, 5, v1 :: v_dual_bitop2_b32 v14, 31, v1 bitop3:0x40
	s_cselect_b32 s30, s35, s36
	s_ashr_i32 s29, s28, 31
	s_wait_kmcnt 0x0
	v_mad_nc_u64_u32 v[10:11], s24, v0, v[8:9]
	s_lshl_b64 s[34:35], s[28:29], 5
	s_lshl_b32 s36, s30, 5
	s_mov_b32 s37, s3
	v_mad_nc_u64_u32 v[12:13], s6, v16, s[34:35]
	v_add_nc_u64_e32 v[4:5], s[36:37], v[2:3]
	s_load_b96 s[28:30], s[0:1], 0x10
	v_dual_lshlrev_b32 v7, 2, v0 :: v_dual_lshlrev_b32 v9, 2, v14
	v_dual_mov_b32 v15, v3 :: v_dual_lshlrev_b32 v26, 2, v6
	v_mad_u32 v11, s25, v0, v11
	s_delay_alu instid0(VALU_DEP_4)
	v_mul_u64_e32 v[0:1], s[20:21], v[4:5]
	v_mul_u64_e32 v[4:5], s[14:15], v[4:5]
	v_lshl_or_b32 v17, v8, 5, v7
	v_mad_u32 v13, s7, v16, v13
	v_mov_b32_e32 v7, v3
	v_lshl_or_b32 v24, v16, 7, v9
	s_cmp_eq_f32 s33, 0
	v_add_nc_u32_e32 v25, 0x400, v17
	v_lshl_add_u32 v2, v2, 5, 0x400
	v_add_nc_u64_e32 v[8:9], s[36:37], v[10:11]
	s_wait_xcnt 0x0
	s_cselect_b32 s1, -1, 0
	s_lshl_b64 s[20:21], s[20:21], 4
	s_lshl_b64 s[14:15], s[14:15], 4
	v_add_nc_u64_e32 v[10:11], v[12:13], v[14:15]
	s_wait_kmcnt 0x0
	v_cmp_gt_i64_e64 s0, s[28:29], 0
	v_add_nc_u64_e32 v[12:13], s[34:35], v[6:7]
	v_lshlrev_b64_e32 v[8:9], 2, v[8:9]
	s_lshl_b64 s[24:25], s[24:25], 5
	s_lshl_b64 s[6:7], s[6:7], 5
	;; [unrolled: 1-line block ×3, first 2 shown]
	v_lshlrev_b64_e32 v[10:11], 2, v[10:11]
	v_cndmask_b32_e64 v14, 0, 1, s0
	s_delay_alu instid0(VALU_DEP_3) | instskip(SKIP_1) | instid1(VALU_DEP_3)
	v_lshl_add_u64 v[6:7], s[26:27], 2, v[8:9]
	v_lshlrev_b64_e32 v[8:9], 2, v[12:13]
	v_cmp_ne_u32_e64 s0, 1, v14
	v_lshl_add_u64 v[10:11], s[8:9], 2, v[10:11]
	s_lshl_b64 s[8:9], s[22:23], 2
	s_branch .LBB40_3
.LBB40_2:                               ;   in Loop: Header=BB40_3 Depth=1
	s_add_co_i32 s2, s2, 0x10000
	s_delay_alu instid0(SALU_CYCLE_1)
	s_cmp_lt_i32 s2, s31
	s_cbranch_scc0 .LBB40_10
.LBB40_3:                               ; =>This Loop Header: Depth=1
                                        ;     Child Loop BB40_5 Depth 2
	v_dual_mov_b32 v14, s2 :: v_dual_mov_b32 v19, 0
	v_dual_mov_b32 v18, 0 :: v_dual_mov_b32 v15, 0
	s_and_b32 vcc_lo, exec_lo, s0
	s_clause 0x1
	global_load_b64 v[12:13], v14, s[12:13] scale_offset
	global_load_b64 v[16:17], v14, s[18:19] scale_offset
	s_wait_xcnt 0x0
	v_mov_b32_e32 v14, 0
	s_cbranch_vccnz .LBB40_6
; %bb.4:                                ;   in Loop: Header=BB40_3 Depth=1
	s_lshl_b64 s[22:23], s[2:3], 3
	v_mov_b32_e32 v14, 0
	s_add_nc_u64 s[26:27], s[10:11], s[22:23]
	s_add_nc_u64 s[22:23], s[4:5], s[22:23]
	s_clause 0x1
	global_load_b64 v[18:19], v3, s[26:27]
	global_load_b64 v[22:23], v3, s[22:23]
	s_wait_xcnt 0x0
	s_mov_b64 s[22:23], 0
	v_mov_b32_e32 v15, v14
	s_wait_loadcnt 0x1
	v_add_nc_u64_e32 v[20:21], v[18:19], v[6:7]
	s_wait_loadcnt 0x0
	v_add_nc_u64_e32 v[22:23], v[22:23], v[10:11]
	v_dual_mov_b32 v18, v14 :: v_dual_mov_b32 v19, v14
.LBB40_5:                               ;   Parent Loop BB40_3 Depth=1
                                        ; =>  This Inner Loop Header: Depth=2
	flat_load_b32 v27, v[22:23]
	s_add_nc_u64 s[22:23], s[22:23], 8
	s_wait_xcnt 0x0
	v_add_nc_u64_e32 v[22:23], s[6:7], v[22:23]
	v_cmp_lt_i64_e64 s26, s[22:23], s[28:29]
	s_and_b32 vcc_lo, exec_lo, s26
	s_wait_loadcnt_dscnt 0x0
	ds_store_b32 v24, v27
	flat_load_b32 v27, v[20:21]
	s_wait_xcnt 0x0
	v_add_nc_u64_e32 v[20:21], s[24:25], v[20:21]
	s_wait_loadcnt_dscnt 0x0
	ds_store_b32 v25, v27
	s_wait_dscnt 0x0
	s_barrier_signal -1
	s_barrier_wait -1
	ds_load_2addr_b32 v[44:45], v26 offset1:16
	ds_load_2addr_b32 v[46:47], v26 offset0:32 offset1:48
	ds_load_b128 v[28:31], v2
	ds_load_b128 v[32:35], v2 offset:512
	ds_load_2addr_b32 v[48:49], v26 offset0:64 offset1:80
	ds_load_2addr_b32 v[50:51], v26 offset0:96 offset1:112
	ds_load_b128 v[36:39], v2 offset:16
	ds_load_2addr_b32 v[52:53], v26 offset0:128 offset1:144
	ds_load_b128 v[40:43], v2 offset:528
	ds_load_2addr_b32 v[54:55], v26 offset0:160 offset1:176
	ds_load_2addr_b32 v[56:57], v26 offset0:192 offset1:208
	s_wait_dscnt 0x9
	v_dual_mov_b32 v60, v47 :: v_dual_mov_b32 v61, v46
	s_wait_dscnt 0x6
	v_dual_mov_b32 v46, v49 :: v_dual_mov_b32 v47, v48
	;; [unrolled: 2-line block ×3, first 2 shown]
	v_dual_mov_b32 v58, v45 :: v_dual_mov_b32 v59, v44
	ds_load_2addr_b32 v[44:45], v26 offset0:224 offset1:240
	s_wait_dscnt 0x0
	s_barrier_signal -1
	s_barrier_wait -1
	v_pk_fma_f32 v[18:19], v[58:59], v[28:29], v[18:19] op_sel_hi:[1,0,1]
	v_pk_fma_f32 v[14:15], v[58:59], v[32:33], v[14:15] op_sel_hi:[1,0,1]
	s_delay_alu instid0(VALU_DEP_2) | instskip(NEXT) | instid1(VALU_DEP_2)
	v_pk_fma_f32 v[18:19], v[60:61], v[28:29], v[18:19] op_sel:[0,1,0]
	v_pk_fma_f32 v[14:15], v[60:61], v[32:33], v[14:15] op_sel:[0,1,0]
	v_dual_mov_b32 v28, v31 :: v_dual_mov_b32 v32, v35
	s_delay_alu instid0(VALU_DEP_3) | instskip(NEXT) | instid1(VALU_DEP_3)
	v_pk_fma_f32 v[18:19], v[46:47], v[30:31], v[18:19] op_sel_hi:[1,0,1]
	v_pk_fma_f32 v[14:15], v[46:47], v[34:35], v[14:15] op_sel_hi:[1,0,1]
	v_dual_mov_b32 v30, v53 :: v_dual_mov_b32 v31, v52
	v_mov_b32_e32 v34, v43
	s_delay_alu instid0(VALU_DEP_4) | instskip(NEXT) | instid1(VALU_DEP_4)
	v_pk_fma_f32 v[18:19], v[48:49], v[28:29], v[18:19] op_sel_hi:[1,0,1]
	v_pk_fma_f32 v[14:15], v[48:49], v[32:33], v[14:15] op_sel_hi:[1,0,1]
	v_dual_mov_b32 v28, v55 :: v_dual_mov_b32 v29, v54
	v_dual_mov_b32 v32, v45 :: v_dual_mov_b32 v33, v44
	s_delay_alu instid0(VALU_DEP_4) | instskip(NEXT) | instid1(VALU_DEP_4)
	v_pk_fma_f32 v[18:19], v[30:31], v[36:37], v[18:19] op_sel_hi:[1,0,1]
	v_pk_fma_f32 v[14:15], v[30:31], v[40:41], v[14:15] op_sel_hi:[1,0,1]
	v_dual_mov_b32 v30, v57 :: v_dual_mov_b32 v31, v56
	s_delay_alu instid0(VALU_DEP_3) | instskip(NEXT) | instid1(VALU_DEP_3)
	v_pk_fma_f32 v[18:19], v[28:29], v[36:37], v[18:19] op_sel:[0,1,0]
	v_pk_fma_f32 v[14:15], v[28:29], v[40:41], v[14:15] op_sel:[0,1,0]
	v_mov_b32_e32 v28, v39
	s_delay_alu instid0(VALU_DEP_3) | instskip(NEXT) | instid1(VALU_DEP_3)
	v_pk_fma_f32 v[18:19], v[30:31], v[38:39], v[18:19] op_sel_hi:[1,0,1]
	v_pk_fma_f32 v[14:15], v[30:31], v[42:43], v[14:15] op_sel_hi:[1,0,1]
	s_delay_alu instid0(VALU_DEP_2) | instskip(NEXT) | instid1(VALU_DEP_2)
	v_pk_fma_f32 v[18:19], v[32:33], v[28:29], v[18:19] op_sel_hi:[1,0,1]
	v_pk_fma_f32 v[14:15], v[32:33], v[34:35], v[14:15] op_sel_hi:[1,0,1]
	s_cbranch_vccnz .LBB40_5
.LBB40_6:                               ;   in Loop: Header=BB40_3 Depth=1
	s_wait_loadcnt 0x0
	v_add_nc_u64_e32 v[16:17], s[8:9], v[16:17]
	s_and_not1_b32 vcc_lo, exec_lo, s1
	s_delay_alu instid0(VALU_DEP_1) | instskip(NEXT) | instid1(VALU_DEP_1)
	v_lshl_add_u64 v[16:17], v[0:1], 2, v[16:17]
	v_add_nc_u64_e32 v[20:21], v[16:17], v[8:9]
	v_lshl_add_u64 v[16:17], s[20:21], 2, v[16:17]
	s_cbranch_vccnz .LBB40_8
; %bb.7:                                ;   in Loop: Header=BB40_3 Depth=1
	s_delay_alu instid0(VALU_DEP_1)
	v_add_nc_u64_e32 v[22:23], v[16:17], v[8:9]
	v_dual_mul_f32 v27, s30, v19 :: v_dual_mul_f32 v28, s30, v18
	v_dual_mul_f32 v29, s30, v15 :: v_dual_mul_f32 v30, s30, v14
	s_clause 0x3
	flat_store_b32 v[20:21], v27
	flat_store_b32 v[20:21], v28 offset:64
	flat_store_b32 v[22:23], v29
	flat_store_b32 v[22:23], v30 offset:64
	s_cbranch_execnz .LBB40_2
	s_branch .LBB40_9
.LBB40_8:                               ;   in Loop: Header=BB40_3 Depth=1
.LBB40_9:                               ;   in Loop: Header=BB40_3 Depth=1
	v_add_nc_u64_e32 v[12:13], s[16:17], v[12:13]
	s_delay_alu instid0(VALU_DEP_2) | instskip(NEXT) | instid1(VALU_DEP_2)
	v_add_nc_u64_e32 v[16:17], v[16:17], v[8:9]
	v_lshl_add_u64 v[12:13], v[4:5], 2, v[12:13]
	s_wait_xcnt 0x0
	s_delay_alu instid0(VALU_DEP_1) | instskip(SKIP_1) | instid1(VALU_DEP_1)
	v_add_nc_u64_e32 v[22:23], v[12:13], v[8:9]
	v_lshl_add_u64 v[12:13], s[14:15], 2, v[12:13]
	v_add_nc_u64_e32 v[12:13], v[12:13], v[8:9]
	flat_load_b32 v27, v[22:23]
	s_wait_loadcnt_dscnt 0x0
	v_mul_f32_e32 v27, s33, v27
	s_delay_alu instid0(VALU_DEP_1) | instskip(SKIP_4) | instid1(VALU_DEP_1)
	v_fmac_f32_e32 v27, s30, v19
	flat_store_b32 v[20:21], v27
	flat_load_b32 v19, v[22:23] offset:64
	s_wait_loadcnt_dscnt 0x0
	v_mul_f32_e32 v19, s33, v19
	v_fmac_f32_e32 v19, s30, v18
	flat_store_b32 v[20:21], v19 offset:64
	flat_load_b32 v18, v[12:13]
	s_wait_loadcnt_dscnt 0x0
	v_mul_f32_e32 v18, s33, v18
	s_delay_alu instid0(VALU_DEP_1)
	v_fmac_f32_e32 v18, s30, v15
	flat_store_b32 v[16:17], v18
	flat_load_b32 v12, v[12:13] offset:64
	s_wait_loadcnt_dscnt 0x0
	s_wait_xcnt 0x0
	v_mul_f32_e32 v12, s33, v12
	s_delay_alu instid0(VALU_DEP_1)
	v_fmac_f32_e32 v12, s30, v14
	flat_store_b32 v[16:17], v12 offset:64
	s_branch .LBB40_2
.LBB40_10:
	s_endpgm
	.section	.rodata,"a",@progbits
	.p2align	6, 0x0
	.amdhsa_kernel _ZN12_GLOBAL__N_127rocblas_gemm_batched_kernelIfLi16ELi16ELi32ELi32ELi8ELi32ELi8ELi8ELi32ELc78ELc84EKPKfS3_KPfEEvlllT_PT11_llS8_llS6_PT12_llPT13_lli
		.amdhsa_group_segment_fixed_size 2048
		.amdhsa_private_segment_fixed_size 0
		.amdhsa_kernarg_size 140
		.amdhsa_user_sgpr_count 2
		.amdhsa_user_sgpr_dispatch_ptr 0
		.amdhsa_user_sgpr_queue_ptr 0
		.amdhsa_user_sgpr_kernarg_segment_ptr 1
		.amdhsa_user_sgpr_dispatch_id 0
		.amdhsa_user_sgpr_kernarg_preload_length 0
		.amdhsa_user_sgpr_kernarg_preload_offset 0
		.amdhsa_user_sgpr_private_segment_size 0
		.amdhsa_wavefront_size32 1
		.amdhsa_uses_dynamic_stack 0
		.amdhsa_enable_private_segment 0
		.amdhsa_system_sgpr_workgroup_id_x 1
		.amdhsa_system_sgpr_workgroup_id_y 1
		.amdhsa_system_sgpr_workgroup_id_z 1
		.amdhsa_system_sgpr_workgroup_info 0
		.amdhsa_system_vgpr_workitem_id 1
		.amdhsa_next_free_vgpr 62
		.amdhsa_next_free_sgpr 38
		.amdhsa_named_barrier_count 0
		.amdhsa_reserve_vcc 1
		.amdhsa_float_round_mode_32 0
		.amdhsa_float_round_mode_16_64 0
		.amdhsa_float_denorm_mode_32 3
		.amdhsa_float_denorm_mode_16_64 3
		.amdhsa_fp16_overflow 0
		.amdhsa_memory_ordered 1
		.amdhsa_forward_progress 1
		.amdhsa_inst_pref_size 12
		.amdhsa_round_robin_scheduling 0
		.amdhsa_exception_fp_ieee_invalid_op 0
		.amdhsa_exception_fp_denorm_src 0
		.amdhsa_exception_fp_ieee_div_zero 0
		.amdhsa_exception_fp_ieee_overflow 0
		.amdhsa_exception_fp_ieee_underflow 0
		.amdhsa_exception_fp_ieee_inexact 0
		.amdhsa_exception_int_div_zero 0
	.end_amdhsa_kernel
	.section	.text._ZN12_GLOBAL__N_127rocblas_gemm_batched_kernelIfLi16ELi16ELi32ELi32ELi8ELi32ELi8ELi8ELi32ELc78ELc84EKPKfS3_KPfEEvlllT_PT11_llS8_llS6_PT12_llPT13_lli,"axG",@progbits,_ZN12_GLOBAL__N_127rocblas_gemm_batched_kernelIfLi16ELi16ELi32ELi32ELi8ELi32ELi8ELi8ELi32ELc78ELc84EKPKfS3_KPfEEvlllT_PT11_llS8_llS6_PT12_llPT13_lli,comdat
.Lfunc_end40:
	.size	_ZN12_GLOBAL__N_127rocblas_gemm_batched_kernelIfLi16ELi16ELi32ELi32ELi8ELi32ELi8ELi8ELi32ELc78ELc84EKPKfS3_KPfEEvlllT_PT11_llS8_llS6_PT12_llPT13_lli, .Lfunc_end40-_ZN12_GLOBAL__N_127rocblas_gemm_batched_kernelIfLi16ELi16ELi32ELi32ELi8ELi32ELi8ELi8ELi32ELc78ELc84EKPKfS3_KPfEEvlllT_PT11_llS8_llS6_PT12_llPT13_lli
                                        ; -- End function
	.set _ZN12_GLOBAL__N_127rocblas_gemm_batched_kernelIfLi16ELi16ELi32ELi32ELi8ELi32ELi8ELi8ELi32ELc78ELc84EKPKfS3_KPfEEvlllT_PT11_llS8_llS6_PT12_llPT13_lli.num_vgpr, 62
	.set _ZN12_GLOBAL__N_127rocblas_gemm_batched_kernelIfLi16ELi16ELi32ELi32ELi8ELi32ELi8ELi8ELi32ELc78ELc84EKPKfS3_KPfEEvlllT_PT11_llS8_llS6_PT12_llPT13_lli.num_agpr, 0
	.set _ZN12_GLOBAL__N_127rocblas_gemm_batched_kernelIfLi16ELi16ELi32ELi32ELi8ELi32ELi8ELi8ELi32ELc78ELc84EKPKfS3_KPfEEvlllT_PT11_llS8_llS6_PT12_llPT13_lli.numbered_sgpr, 38
	.set _ZN12_GLOBAL__N_127rocblas_gemm_batched_kernelIfLi16ELi16ELi32ELi32ELi8ELi32ELi8ELi8ELi32ELc78ELc84EKPKfS3_KPfEEvlllT_PT11_llS8_llS6_PT12_llPT13_lli.num_named_barrier, 0
	.set _ZN12_GLOBAL__N_127rocblas_gemm_batched_kernelIfLi16ELi16ELi32ELi32ELi8ELi32ELi8ELi8ELi32ELc78ELc84EKPKfS3_KPfEEvlllT_PT11_llS8_llS6_PT12_llPT13_lli.private_seg_size, 0
	.set _ZN12_GLOBAL__N_127rocblas_gemm_batched_kernelIfLi16ELi16ELi32ELi32ELi8ELi32ELi8ELi8ELi32ELc78ELc84EKPKfS3_KPfEEvlllT_PT11_llS8_llS6_PT12_llPT13_lli.uses_vcc, 1
	.set _ZN12_GLOBAL__N_127rocblas_gemm_batched_kernelIfLi16ELi16ELi32ELi32ELi8ELi32ELi8ELi8ELi32ELc78ELc84EKPKfS3_KPfEEvlllT_PT11_llS8_llS6_PT12_llPT13_lli.uses_flat_scratch, 1
	.set _ZN12_GLOBAL__N_127rocblas_gemm_batched_kernelIfLi16ELi16ELi32ELi32ELi8ELi32ELi8ELi8ELi32ELc78ELc84EKPKfS3_KPfEEvlllT_PT11_llS8_llS6_PT12_llPT13_lli.has_dyn_sized_stack, 0
	.set _ZN12_GLOBAL__N_127rocblas_gemm_batched_kernelIfLi16ELi16ELi32ELi32ELi8ELi32ELi8ELi8ELi32ELc78ELc84EKPKfS3_KPfEEvlllT_PT11_llS8_llS6_PT12_llPT13_lli.has_recursion, 0
	.set _ZN12_GLOBAL__N_127rocblas_gemm_batched_kernelIfLi16ELi16ELi32ELi32ELi8ELi32ELi8ELi8ELi32ELc78ELc84EKPKfS3_KPfEEvlllT_PT11_llS8_llS6_PT12_llPT13_lli.has_indirect_call, 0
	.section	.AMDGPU.csdata,"",@progbits
; Kernel info:
; codeLenInByte = 1444
; TotalNumSgprs: 40
; NumVgprs: 62
; ScratchSize: 0
; MemoryBound: 0
; FloatMode: 240
; IeeeMode: 1
; LDSByteSize: 2048 bytes/workgroup (compile time only)
; SGPRBlocks: 0
; VGPRBlocks: 3
; NumSGPRsForWavesPerEU: 40
; NumVGPRsForWavesPerEU: 62
; NamedBarCnt: 0
; Occupancy: 16
; WaveLimiterHint : 1
; COMPUTE_PGM_RSRC2:SCRATCH_EN: 0
; COMPUTE_PGM_RSRC2:USER_SGPR: 2
; COMPUTE_PGM_RSRC2:TRAP_HANDLER: 0
; COMPUTE_PGM_RSRC2:TGID_X_EN: 1
; COMPUTE_PGM_RSRC2:TGID_Y_EN: 1
; COMPUTE_PGM_RSRC2:TGID_Z_EN: 1
; COMPUTE_PGM_RSRC2:TIDIG_COMP_CNT: 1
	.section	.text._ZN12_GLOBAL__N_127rocblas_gemm_batched_kernelIfLi16ELi16ELi32ELi32ELi8ELi32ELi8ELi8ELi32ELc84ELc84EKPKfS3_KPfEEvlllT_PT11_llS8_llS6_PT12_llPT13_lli,"axG",@progbits,_ZN12_GLOBAL__N_127rocblas_gemm_batched_kernelIfLi16ELi16ELi32ELi32ELi8ELi32ELi8ELi8ELi32ELc84ELc84EKPKfS3_KPfEEvlllT_PT11_llS8_llS6_PT12_llPT13_lli,comdat
	.globl	_ZN12_GLOBAL__N_127rocblas_gemm_batched_kernelIfLi16ELi16ELi32ELi32ELi8ELi32ELi8ELi8ELi32ELc84ELc84EKPKfS3_KPfEEvlllT_PT11_llS8_llS6_PT12_llPT13_lli ; -- Begin function _ZN12_GLOBAL__N_127rocblas_gemm_batched_kernelIfLi16ELi16ELi32ELi32ELi8ELi32ELi8ELi8ELi32ELc84ELc84EKPKfS3_KPfEEvlllT_PT11_llS8_llS6_PT12_llPT13_lli
	.p2align	8
	.type	_ZN12_GLOBAL__N_127rocblas_gemm_batched_kernelIfLi16ELi16ELi32ELi32ELi8ELi32ELi8ELi8ELi32ELc84ELc84EKPKfS3_KPfEEvlllT_PT11_llS8_llS6_PT12_llPT13_lli,@function
_ZN12_GLOBAL__N_127rocblas_gemm_batched_kernelIfLi16ELi16ELi32ELi32ELi8ELi32ELi8ELi8ELi32ELc84ELc84EKPKfS3_KPfEEvlllT_PT11_llS8_llS6_PT12_llPT13_lli: ; @_ZN12_GLOBAL__N_127rocblas_gemm_batched_kernelIfLi16ELi16ELi32ELi32ELi8ELi32ELi8ELi8ELi32ELc84ELc84EKPKfS3_KPfEEvlllT_PT11_llS8_llS6_PT12_llPT13_lli
; %bb.0:
	s_load_b32 s31, s[0:1], 0x88
	s_bfe_u32 s2, ttmp6, 0x40014
	s_lshr_b32 s3, ttmp7, 16
	s_add_co_i32 s2, s2, 1
	s_bfe_u32 s4, ttmp6, 0x40008
	s_mul_i32 s2, s3, s2
	s_getreg_b32 s28, hwreg(HW_REG_IB_STS2, 6, 4)
	s_add_co_i32 s4, s4, s2
	s_cmp_eq_u32 s28, 0
	s_cselect_b32 s2, s3, s4
	s_mov_b32 s3, 0
	s_wait_kmcnt 0x0
	s_cmp_ge_i32 s2, s31
	s_cbranch_scc1 .LBB41_10
; %bb.1:
	v_bfe_u32 v2, v0, 10, 10
	v_and_b32_e32 v6, 0x3ff, v0
	s_bfe_u32 s29, ttmp6, 0x4000c
	s_bfe_u32 s33, ttmp6, 0x40010
	s_add_co_i32 s29, s29, 1
	s_and_b32 s34, ttmp7, 0xffff
	s_add_co_i32 s33, s33, 1
	s_clause 0x3
	s_load_b256 s[4:11], s[0:1], 0x20
	s_load_b128 s[24:27], s[0:1], 0x40
	s_load_b128 s[20:23], s[0:1], 0x78
	s_load_b256 s[12:19], s[0:1], 0x58
	s_and_b32 s30, ttmp6, 15
	s_mul_i32 s29, ttmp9, s29
	s_mul_i32 s33, s34, s33
	s_bfe_u32 s35, ttmp6, 0x40004
	v_lshl_add_u32 v7, v2, 4, v6
	s_add_co_i32 s30, s30, s29
	s_add_co_i32 s35, s35, s33
	s_cmp_eq_u32 s28, 0
	s_delay_alu instid0(VALU_DEP_1)
	v_dual_mov_b32 v3, 0 :: v_dual_bitop2_b32 v14, 31, v7 bitop3:0x40
	s_cselect_b32 s28, ttmp9, s30
	s_cselect_b32 s30, s34, s35
	s_ashr_i32 s29, s28, 31
	v_lshrrev_b32_e32 v8, 3, v7
	s_lshl_b64 s[34:35], s[28:29], 5
	s_delay_alu instid0(SALU_CYCLE_1)
	v_dual_mov_b32 v1, s35 :: v_dual_bitop2_b32 v15, 7, v0 bitop3:0x40
	v_dual_mov_b32 v9, v3 :: v_dual_bitop2_b32 v0, s34, v14 bitop3:0x54
	v_lshrrev_b32_e32 v16, 5, v7
	s_load_b32 s33, s[0:1], 0x50
	v_lshlrev_b32_e32 v14, 2, v14
	s_wait_kmcnt 0x0
	v_mul_u64_e32 v[10:11], s[6:7], v[0:1]
	s_lshl_b32 s6, s30, 5
	v_mad_nc_u64_u32 v[12:13], s24, v15, v[8:9]
	s_mov_b32 s7, s3
	s_load_b96 s[28:30], s[0:1], 0x10
	v_add_nc_u64_e32 v[4:5], s[6:7], v[2:3]
	v_dual_lshlrev_b32 v9, 2, v15 :: v_dual_mov_b32 v7, v3
	v_lshlrev_b32_e32 v26, 2, v6
	v_lshl_or_b32 v24, v16, 7, v14
	v_lshl_add_u32 v27, v2, 5, 0x400
	v_lshlrev_b32_e32 v2, 2, v16
	v_mul_u64_e32 v[0:1], s[20:21], v[4:5]
	v_mul_u64_e32 v[4:5], s[14:15], v[4:5]
	v_mad_u32 v13, s25, v15, v13
	v_lshl_or_b32 v15, v8, 5, v9
	s_cmp_eq_f32 s33, 0
	s_delay_alu instid0(VALU_DEP_1)
	v_add_nc_u32_e32 v25, 0x400, v15
	s_wait_xcnt 0x0
	s_cselect_b32 s1, -1, 0
	s_lshl_b64 s[16:17], s[16:17], 2
	s_wait_kmcnt 0x0
	v_cmp_gt_i64_e64 s0, s[28:29], 0
	s_delay_alu instid0(VALU_DEP_4)
	v_add_nc_u64_e32 v[8:9], s[6:7], v[12:13]
	v_add_nc_u64_e32 v[12:13], s[34:35], v[6:7]
	s_lshl_b64 s[6:7], s[8:9], 2
	s_lshl_b64 s[8:9], s[14:15], 4
	;; [unrolled: 1-line block ×3, first 2 shown]
	v_cndmask_b32_e64 v16, 0, 1, s0
	s_delay_alu instid0(VALU_DEP_3)
	v_lshlrev_b64_e32 v[14:15], 2, v[8:9]
	v_lshl_add_u64 v[6:7], v[10:11], 2, s[6:7]
	v_lshlrev_b64_e32 v[8:9], 2, v[12:13]
	s_lshl_b64 s[6:7], s[20:21], 4
	v_cmp_ne_u32_e64 s0, 1, v16
	s_lshl_b64 s[20:21], s[22:23], 2
	v_add_nc_u64_e32 v[6:7], v[6:7], v[2:3]
	v_lshl_add_u64 v[10:11], s[26:27], 2, v[14:15]
	s_branch .LBB41_3
.LBB41_2:                               ;   in Loop: Header=BB41_3 Depth=1
	s_add_co_i32 s2, s2, 0x10000
	s_delay_alu instid0(SALU_CYCLE_1)
	s_cmp_lt_i32 s2, s31
	s_cbranch_scc0 .LBB41_10
.LBB41_3:                               ; =>This Loop Header: Depth=1
                                        ;     Child Loop BB41_5 Depth 2
	s_wait_xcnt 0x0
	v_dual_mov_b32 v2, s2 :: v_dual_mov_b32 v19, 0
	v_dual_mov_b32 v18, 0 :: v_dual_mov_b32 v15, 0
	v_mov_b32_e32 v14, 0
	s_clause 0x1
	global_load_b64 v[12:13], v2, s[12:13] scale_offset
	global_load_b64 v[16:17], v2, s[18:19] scale_offset
	s_and_b32 vcc_lo, exec_lo, s0
	s_cbranch_vccnz .LBB41_6
; %bb.4:                                ;   in Loop: Header=BB41_3 Depth=1
	s_lshl_b64 s[22:23], s[2:3], 3
	v_mov_b32_e32 v14, 0
	s_add_nc_u64 s[24:25], s[10:11], s[22:23]
	s_add_nc_u64 s[22:23], s[4:5], s[22:23]
	s_clause 0x1
	global_load_b64 v[18:19], v3, s[24:25]
	global_load_b64 v[22:23], v3, s[22:23]
	s_wait_xcnt 0x0
	s_mov_b64 s[22:23], 0
	v_mov_b32_e32 v15, v14
	s_wait_loadcnt 0x1
	v_add_nc_u64_e32 v[20:21], v[18:19], v[10:11]
	s_wait_loadcnt 0x0
	v_add_nc_u64_e32 v[22:23], v[22:23], v[6:7]
	v_dual_mov_b32 v18, v14 :: v_dual_mov_b32 v19, v14
.LBB41_5:                               ;   Parent Loop BB41_3 Depth=1
                                        ; =>  This Inner Loop Header: Depth=2
	flat_load_b32 v2, v[22:23]
	s_add_nc_u64 s[22:23], s[22:23], 8
	s_wait_xcnt 0x0
	v_add_nc_u64_e32 v[22:23], 32, v[22:23]
	v_cmp_lt_i64_e64 s24, s[22:23], s[28:29]
	s_and_b32 vcc_lo, exec_lo, s24
	s_wait_loadcnt_dscnt 0x0
	ds_store_b32 v24, v2
	flat_load_b32 v2, v[20:21]
	s_wait_xcnt 0x0
	v_add_nc_u64_e32 v[20:21], s[14:15], v[20:21]
	s_wait_loadcnt_dscnt 0x0
	ds_store_b32 v25, v2
	s_wait_dscnt 0x0
	s_barrier_signal -1
	s_barrier_wait -1
	ds_load_2addr_b32 v[44:45], v26 offset1:16
	ds_load_2addr_b32 v[46:47], v26 offset0:32 offset1:48
	ds_load_b128 v[28:31], v27
	ds_load_b128 v[32:35], v27 offset:512
	ds_load_2addr_b32 v[48:49], v26 offset0:64 offset1:80
	ds_load_2addr_b32 v[50:51], v26 offset0:96 offset1:112
	ds_load_b128 v[36:39], v27 offset:16
	ds_load_2addr_b32 v[52:53], v26 offset0:128 offset1:144
	ds_load_b128 v[40:43], v27 offset:528
	ds_load_2addr_b32 v[54:55], v26 offset0:160 offset1:176
	ds_load_2addr_b32 v[56:57], v26 offset0:192 offset1:208
	s_wait_dscnt 0x9
	v_dual_mov_b32 v60, v47 :: v_dual_mov_b32 v61, v46
	s_wait_dscnt 0x6
	v_dual_mov_b32 v2, v31 :: v_dual_mov_b32 v46, v49
	;; [unrolled: 2-line block ×3, first 2 shown]
	v_dual_mov_b32 v49, v50 :: v_dual_mov_b32 v58, v45
	v_mov_b32_e32 v59, v44
	ds_load_2addr_b32 v[44:45], v26 offset0:224 offset1:240
	s_wait_dscnt 0x0
	s_barrier_signal -1
	s_barrier_wait -1
	v_pk_fma_f32 v[18:19], v[58:59], v[28:29], v[18:19] op_sel_hi:[1,0,1]
	v_pk_fma_f32 v[14:15], v[58:59], v[32:33], v[14:15] op_sel_hi:[1,0,1]
	s_delay_alu instid0(VALU_DEP_2) | instskip(NEXT) | instid1(VALU_DEP_2)
	v_pk_fma_f32 v[18:19], v[60:61], v[28:29], v[18:19] op_sel:[0,1,0]
	v_pk_fma_f32 v[14:15], v[60:61], v[32:33], v[14:15] op_sel:[0,1,0]
	v_mov_b32_e32 v28, v35
	s_delay_alu instid0(VALU_DEP_3) | instskip(NEXT) | instid1(VALU_DEP_3)
	v_pk_fma_f32 v[18:19], v[46:47], v[30:31], v[18:19] op_sel_hi:[1,0,1]
	v_pk_fma_f32 v[14:15], v[46:47], v[34:35], v[14:15] op_sel_hi:[1,0,1]
	v_dual_mov_b32 v30, v53 :: v_dual_mov_b32 v31, v52
	s_delay_alu instid0(VALU_DEP_3) | instskip(NEXT) | instid1(VALU_DEP_3)
	v_pk_fma_f32 v[18:19], v[48:49], v[2:3], v[18:19] op_sel_hi:[1,0,1]
	v_pk_fma_f32 v[14:15], v[48:49], v[28:29], v[14:15] op_sel_hi:[1,0,1]
	v_dual_mov_b32 v28, v55 :: v_dual_mov_b32 v29, v54
	v_dual_mov_b32 v32, v45 :: v_dual_mov_b32 v33, v44
	s_delay_alu instid0(VALU_DEP_4) | instskip(NEXT) | instid1(VALU_DEP_4)
	v_pk_fma_f32 v[18:19], v[30:31], v[36:37], v[18:19] op_sel_hi:[1,0,1]
	v_pk_fma_f32 v[14:15], v[30:31], v[40:41], v[14:15] op_sel_hi:[1,0,1]
	v_dual_mov_b32 v30, v57 :: v_dual_mov_b32 v31, v56
	v_mov_b32_e32 v2, v39
	s_delay_alu instid0(VALU_DEP_4) | instskip(NEXT) | instid1(VALU_DEP_4)
	v_pk_fma_f32 v[18:19], v[28:29], v[36:37], v[18:19] op_sel:[0,1,0]
	v_pk_fma_f32 v[14:15], v[28:29], v[40:41], v[14:15] op_sel:[0,1,0]
	v_mov_b32_e32 v28, v43
	s_delay_alu instid0(VALU_DEP_3) | instskip(NEXT) | instid1(VALU_DEP_3)
	v_pk_fma_f32 v[18:19], v[30:31], v[38:39], v[18:19] op_sel_hi:[1,0,1]
	v_pk_fma_f32 v[14:15], v[30:31], v[42:43], v[14:15] op_sel_hi:[1,0,1]
	s_delay_alu instid0(VALU_DEP_2) | instskip(NEXT) | instid1(VALU_DEP_2)
	v_pk_fma_f32 v[18:19], v[32:33], v[2:3], v[18:19] op_sel_hi:[1,0,1]
	v_pk_fma_f32 v[14:15], v[32:33], v[28:29], v[14:15] op_sel_hi:[1,0,1]
	s_cbranch_vccnz .LBB41_5
.LBB41_6:                               ;   in Loop: Header=BB41_3 Depth=1
	s_wait_loadcnt 0x0
	v_add_nc_u64_e32 v[16:17], s[20:21], v[16:17]
	s_and_not1_b32 vcc_lo, exec_lo, s1
	s_delay_alu instid0(VALU_DEP_1) | instskip(NEXT) | instid1(VALU_DEP_1)
	v_lshl_add_u64 v[16:17], v[0:1], 2, v[16:17]
	v_add_nc_u64_e32 v[20:21], v[16:17], v[8:9]
	v_lshl_add_u64 v[16:17], s[6:7], 2, v[16:17]
	s_cbranch_vccnz .LBB41_8
; %bb.7:                                ;   in Loop: Header=BB41_3 Depth=1
	s_delay_alu instid0(VALU_DEP_1)
	v_add_nc_u64_e32 v[22:23], v[16:17], v[8:9]
	s_wait_xcnt 0x0
	v_dual_mul_f32 v2, s30, v19 :: v_dual_mul_f32 v28, s30, v18
	v_dual_mul_f32 v29, s30, v15 :: v_dual_mul_f32 v30, s30, v14
	s_clause 0x3
	flat_store_b32 v[20:21], v2
	flat_store_b32 v[20:21], v28 offset:64
	flat_store_b32 v[22:23], v29
	flat_store_b32 v[22:23], v30 offset:64
	s_cbranch_execnz .LBB41_2
	s_branch .LBB41_9
.LBB41_8:                               ;   in Loop: Header=BB41_3 Depth=1
.LBB41_9:                               ;   in Loop: Header=BB41_3 Depth=1
	v_add_nc_u64_e32 v[12:13], s[16:17], v[12:13]
	s_delay_alu instid0(VALU_DEP_2) | instskip(NEXT) | instid1(VALU_DEP_2)
	v_add_nc_u64_e32 v[16:17], v[16:17], v[8:9]
	v_lshl_add_u64 v[12:13], v[4:5], 2, v[12:13]
	s_wait_xcnt 0x0
	s_delay_alu instid0(VALU_DEP_1) | instskip(SKIP_1) | instid1(VALU_DEP_1)
	v_add_nc_u64_e32 v[22:23], v[12:13], v[8:9]
	v_lshl_add_u64 v[12:13], s[8:9], 2, v[12:13]
	v_add_nc_u64_e32 v[12:13], v[12:13], v[8:9]
	flat_load_b32 v2, v[22:23]
	s_wait_loadcnt_dscnt 0x0
	v_mul_f32_e32 v2, s33, v2
	s_delay_alu instid0(VALU_DEP_1) | instskip(SKIP_4) | instid1(VALU_DEP_1)
	v_fmac_f32_e32 v2, s30, v19
	flat_store_b32 v[20:21], v2
	flat_load_b32 v2, v[22:23] offset:64
	s_wait_loadcnt_dscnt 0x0
	v_mul_f32_e32 v2, s33, v2
	v_fmac_f32_e32 v2, s30, v18
	flat_store_b32 v[20:21], v2 offset:64
	flat_load_b32 v2, v[12:13]
	s_wait_loadcnt_dscnt 0x0
	v_mul_f32_e32 v2, s33, v2
	s_delay_alu instid0(VALU_DEP_1) | instskip(SKIP_4) | instid1(VALU_DEP_1)
	v_fmac_f32_e32 v2, s30, v15
	flat_store_b32 v[16:17], v2
	flat_load_b32 v2, v[12:13] offset:64
	s_wait_loadcnt_dscnt 0x0
	v_mul_f32_e32 v2, s33, v2
	v_fmac_f32_e32 v2, s30, v14
	flat_store_b32 v[16:17], v2 offset:64
	s_branch .LBB41_2
.LBB41_10:
	s_endpgm
	.section	.rodata,"a",@progbits
	.p2align	6, 0x0
	.amdhsa_kernel _ZN12_GLOBAL__N_127rocblas_gemm_batched_kernelIfLi16ELi16ELi32ELi32ELi8ELi32ELi8ELi8ELi32ELc84ELc84EKPKfS3_KPfEEvlllT_PT11_llS8_llS6_PT12_llPT13_lli
		.amdhsa_group_segment_fixed_size 2048
		.amdhsa_private_segment_fixed_size 0
		.amdhsa_kernarg_size 140
		.amdhsa_user_sgpr_count 2
		.amdhsa_user_sgpr_dispatch_ptr 0
		.amdhsa_user_sgpr_queue_ptr 0
		.amdhsa_user_sgpr_kernarg_segment_ptr 1
		.amdhsa_user_sgpr_dispatch_id 0
		.amdhsa_user_sgpr_kernarg_preload_length 0
		.amdhsa_user_sgpr_kernarg_preload_offset 0
		.amdhsa_user_sgpr_private_segment_size 0
		.amdhsa_wavefront_size32 1
		.amdhsa_uses_dynamic_stack 0
		.amdhsa_enable_private_segment 0
		.amdhsa_system_sgpr_workgroup_id_x 1
		.amdhsa_system_sgpr_workgroup_id_y 1
		.amdhsa_system_sgpr_workgroup_id_z 1
		.amdhsa_system_sgpr_workgroup_info 0
		.amdhsa_system_vgpr_workitem_id 1
		.amdhsa_next_free_vgpr 62
		.amdhsa_next_free_sgpr 36
		.amdhsa_named_barrier_count 0
		.amdhsa_reserve_vcc 1
		.amdhsa_float_round_mode_32 0
		.amdhsa_float_round_mode_16_64 0
		.amdhsa_float_denorm_mode_32 3
		.amdhsa_float_denorm_mode_16_64 3
		.amdhsa_fp16_overflow 0
		.amdhsa_memory_ordered 1
		.amdhsa_forward_progress 1
		.amdhsa_inst_pref_size 12
		.amdhsa_round_robin_scheduling 0
		.amdhsa_exception_fp_ieee_invalid_op 0
		.amdhsa_exception_fp_denorm_src 0
		.amdhsa_exception_fp_ieee_div_zero 0
		.amdhsa_exception_fp_ieee_overflow 0
		.amdhsa_exception_fp_ieee_underflow 0
		.amdhsa_exception_fp_ieee_inexact 0
		.amdhsa_exception_int_div_zero 0
	.end_amdhsa_kernel
	.section	.text._ZN12_GLOBAL__N_127rocblas_gemm_batched_kernelIfLi16ELi16ELi32ELi32ELi8ELi32ELi8ELi8ELi32ELc84ELc84EKPKfS3_KPfEEvlllT_PT11_llS8_llS6_PT12_llPT13_lli,"axG",@progbits,_ZN12_GLOBAL__N_127rocblas_gemm_batched_kernelIfLi16ELi16ELi32ELi32ELi8ELi32ELi8ELi8ELi32ELc84ELc84EKPKfS3_KPfEEvlllT_PT11_llS8_llS6_PT12_llPT13_lli,comdat
.Lfunc_end41:
	.size	_ZN12_GLOBAL__N_127rocblas_gemm_batched_kernelIfLi16ELi16ELi32ELi32ELi8ELi32ELi8ELi8ELi32ELc84ELc84EKPKfS3_KPfEEvlllT_PT11_llS8_llS6_PT12_llPT13_lli, .Lfunc_end41-_ZN12_GLOBAL__N_127rocblas_gemm_batched_kernelIfLi16ELi16ELi32ELi32ELi8ELi32ELi8ELi8ELi32ELc84ELc84EKPKfS3_KPfEEvlllT_PT11_llS8_llS6_PT12_llPT13_lli
                                        ; -- End function
	.set _ZN12_GLOBAL__N_127rocblas_gemm_batched_kernelIfLi16ELi16ELi32ELi32ELi8ELi32ELi8ELi8ELi32ELc84ELc84EKPKfS3_KPfEEvlllT_PT11_llS8_llS6_PT12_llPT13_lli.num_vgpr, 62
	.set _ZN12_GLOBAL__N_127rocblas_gemm_batched_kernelIfLi16ELi16ELi32ELi32ELi8ELi32ELi8ELi8ELi32ELc84ELc84EKPKfS3_KPfEEvlllT_PT11_llS8_llS6_PT12_llPT13_lli.num_agpr, 0
	.set _ZN12_GLOBAL__N_127rocblas_gemm_batched_kernelIfLi16ELi16ELi32ELi32ELi8ELi32ELi8ELi8ELi32ELc84ELc84EKPKfS3_KPfEEvlllT_PT11_llS8_llS6_PT12_llPT13_lli.numbered_sgpr, 36
	.set _ZN12_GLOBAL__N_127rocblas_gemm_batched_kernelIfLi16ELi16ELi32ELi32ELi8ELi32ELi8ELi8ELi32ELc84ELc84EKPKfS3_KPfEEvlllT_PT11_llS8_llS6_PT12_llPT13_lli.num_named_barrier, 0
	.set _ZN12_GLOBAL__N_127rocblas_gemm_batched_kernelIfLi16ELi16ELi32ELi32ELi8ELi32ELi8ELi8ELi32ELc84ELc84EKPKfS3_KPfEEvlllT_PT11_llS8_llS6_PT12_llPT13_lli.private_seg_size, 0
	.set _ZN12_GLOBAL__N_127rocblas_gemm_batched_kernelIfLi16ELi16ELi32ELi32ELi8ELi32ELi8ELi8ELi32ELc84ELc84EKPKfS3_KPfEEvlllT_PT11_llS8_llS6_PT12_llPT13_lli.uses_vcc, 1
	.set _ZN12_GLOBAL__N_127rocblas_gemm_batched_kernelIfLi16ELi16ELi32ELi32ELi8ELi32ELi8ELi8ELi32ELc84ELc84EKPKfS3_KPfEEvlllT_PT11_llS8_llS6_PT12_llPT13_lli.uses_flat_scratch, 1
	.set _ZN12_GLOBAL__N_127rocblas_gemm_batched_kernelIfLi16ELi16ELi32ELi32ELi8ELi32ELi8ELi8ELi32ELc84ELc84EKPKfS3_KPfEEvlllT_PT11_llS8_llS6_PT12_llPT13_lli.has_dyn_sized_stack, 0
	.set _ZN12_GLOBAL__N_127rocblas_gemm_batched_kernelIfLi16ELi16ELi32ELi32ELi8ELi32ELi8ELi8ELi32ELc84ELc84EKPKfS3_KPfEEvlllT_PT11_llS8_llS6_PT12_llPT13_lli.has_recursion, 0
	.set _ZN12_GLOBAL__N_127rocblas_gemm_batched_kernelIfLi16ELi16ELi32ELi32ELi8ELi32ELi8ELi8ELi32ELc84ELc84EKPKfS3_KPfEEvlllT_PT11_llS8_llS6_PT12_llPT13_lli.has_indirect_call, 0
	.section	.AMDGPU.csdata,"",@progbits
; Kernel info:
; codeLenInByte = 1448
; TotalNumSgprs: 38
; NumVgprs: 62
; ScratchSize: 0
; MemoryBound: 0
; FloatMode: 240
; IeeeMode: 1
; LDSByteSize: 2048 bytes/workgroup (compile time only)
; SGPRBlocks: 0
; VGPRBlocks: 3
; NumSGPRsForWavesPerEU: 38
; NumVGPRsForWavesPerEU: 62
; NamedBarCnt: 0
; Occupancy: 16
; WaveLimiterHint : 1
; COMPUTE_PGM_RSRC2:SCRATCH_EN: 0
; COMPUTE_PGM_RSRC2:USER_SGPR: 2
; COMPUTE_PGM_RSRC2:TRAP_HANDLER: 0
; COMPUTE_PGM_RSRC2:TGID_X_EN: 1
; COMPUTE_PGM_RSRC2:TGID_Y_EN: 1
; COMPUTE_PGM_RSRC2:TGID_Z_EN: 1
; COMPUTE_PGM_RSRC2:TIDIG_COMP_CNT: 1
	.section	.text._ZN12_GLOBAL__N_127rocblas_gemm_batched_kernelIfLi16ELi16ELi32ELi32ELi8ELi32ELi8ELi8ELi32ELc67ELc67EKPKfS3_KPfEEvlllT_PT11_llS8_llS6_PT12_llPT13_lli,"axG",@progbits,_ZN12_GLOBAL__N_127rocblas_gemm_batched_kernelIfLi16ELi16ELi32ELi32ELi8ELi32ELi8ELi8ELi32ELc67ELc67EKPKfS3_KPfEEvlllT_PT11_llS8_llS6_PT12_llPT13_lli,comdat
	.globl	_ZN12_GLOBAL__N_127rocblas_gemm_batched_kernelIfLi16ELi16ELi32ELi32ELi8ELi32ELi8ELi8ELi32ELc67ELc67EKPKfS3_KPfEEvlllT_PT11_llS8_llS6_PT12_llPT13_lli ; -- Begin function _ZN12_GLOBAL__N_127rocblas_gemm_batched_kernelIfLi16ELi16ELi32ELi32ELi8ELi32ELi8ELi8ELi32ELc67ELc67EKPKfS3_KPfEEvlllT_PT11_llS8_llS6_PT12_llPT13_lli
	.p2align	8
	.type	_ZN12_GLOBAL__N_127rocblas_gemm_batched_kernelIfLi16ELi16ELi32ELi32ELi8ELi32ELi8ELi8ELi32ELc67ELc67EKPKfS3_KPfEEvlllT_PT11_llS8_llS6_PT12_llPT13_lli,@function
_ZN12_GLOBAL__N_127rocblas_gemm_batched_kernelIfLi16ELi16ELi32ELi32ELi8ELi32ELi8ELi8ELi32ELc67ELc67EKPKfS3_KPfEEvlllT_PT11_llS8_llS6_PT12_llPT13_lli: ; @_ZN12_GLOBAL__N_127rocblas_gemm_batched_kernelIfLi16ELi16ELi32ELi32ELi8ELi32ELi8ELi8ELi32ELc67ELc67EKPKfS3_KPfEEvlllT_PT11_llS8_llS6_PT12_llPT13_lli
; %bb.0:
	s_load_b32 s31, s[0:1], 0x88
	s_bfe_u32 s2, ttmp6, 0x40014
	s_lshr_b32 s3, ttmp7, 16
	s_add_co_i32 s2, s2, 1
	s_bfe_u32 s4, ttmp6, 0x40008
	s_mul_i32 s2, s3, s2
	s_getreg_b32 s28, hwreg(HW_REG_IB_STS2, 6, 4)
	s_add_co_i32 s4, s4, s2
	s_cmp_eq_u32 s28, 0
	s_cselect_b32 s2, s3, s4
	s_mov_b32 s3, 0
	s_wait_kmcnt 0x0
	s_cmp_ge_i32 s2, s31
	s_cbranch_scc1 .LBB42_10
; %bb.1:
	v_bfe_u32 v2, v0, 10, 10
	v_and_b32_e32 v6, 0x3ff, v0
	s_bfe_u32 s29, ttmp6, 0x4000c
	s_bfe_u32 s33, ttmp6, 0x40010
	s_add_co_i32 s29, s29, 1
	s_and_b32 s34, ttmp7, 0xffff
	s_add_co_i32 s33, s33, 1
	s_clause 0x3
	s_load_b256 s[4:11], s[0:1], 0x20
	s_load_b128 s[24:27], s[0:1], 0x40
	s_load_b128 s[20:23], s[0:1], 0x78
	s_load_b256 s[12:19], s[0:1], 0x58
	s_and_b32 s30, ttmp6, 15
	s_mul_i32 s29, ttmp9, s29
	s_mul_i32 s33, s34, s33
	s_bfe_u32 s35, ttmp6, 0x40004
	v_lshl_add_u32 v7, v2, 4, v6
	s_add_co_i32 s30, s30, s29
	s_add_co_i32 s35, s35, s33
	s_cmp_eq_u32 s28, 0
	s_delay_alu instid0(VALU_DEP_1)
	v_dual_mov_b32 v3, 0 :: v_dual_bitop2_b32 v14, 31, v7 bitop3:0x40
	s_cselect_b32 s28, ttmp9, s30
	s_cselect_b32 s30, s34, s35
	s_ashr_i32 s29, s28, 31
	v_lshrrev_b32_e32 v8, 3, v7
	s_lshl_b64 s[34:35], s[28:29], 5
	s_delay_alu instid0(SALU_CYCLE_1)
	v_dual_mov_b32 v1, s35 :: v_dual_bitop2_b32 v15, 7, v0 bitop3:0x40
	v_dual_mov_b32 v9, v3 :: v_dual_bitop2_b32 v0, s34, v14 bitop3:0x54
	v_lshrrev_b32_e32 v16, 5, v7
	s_load_b32 s33, s[0:1], 0x50
	v_lshlrev_b32_e32 v14, 2, v14
	s_wait_kmcnt 0x0
	v_mul_u64_e32 v[10:11], s[6:7], v[0:1]
	s_lshl_b32 s6, s30, 5
	v_mad_nc_u64_u32 v[12:13], s24, v15, v[8:9]
	s_mov_b32 s7, s3
	s_load_b96 s[28:30], s[0:1], 0x10
	v_add_nc_u64_e32 v[4:5], s[6:7], v[2:3]
	v_dual_lshlrev_b32 v9, 2, v15 :: v_dual_mov_b32 v7, v3
	v_lshlrev_b32_e32 v26, 2, v6
	v_lshl_or_b32 v24, v16, 7, v14
	v_lshl_add_u32 v27, v2, 5, 0x400
	v_lshlrev_b32_e32 v2, 2, v16
	v_mul_u64_e32 v[0:1], s[20:21], v[4:5]
	v_mul_u64_e32 v[4:5], s[14:15], v[4:5]
	v_mad_u32 v13, s25, v15, v13
	v_lshl_or_b32 v15, v8, 5, v9
	s_cmp_eq_f32 s33, 0
	s_delay_alu instid0(VALU_DEP_1)
	v_add_nc_u32_e32 v25, 0x400, v15
	s_wait_xcnt 0x0
	s_cselect_b32 s1, -1, 0
	s_lshl_b64 s[16:17], s[16:17], 2
	s_wait_kmcnt 0x0
	v_cmp_gt_i64_e64 s0, s[28:29], 0
	s_delay_alu instid0(VALU_DEP_4)
	v_add_nc_u64_e32 v[8:9], s[6:7], v[12:13]
	v_add_nc_u64_e32 v[12:13], s[34:35], v[6:7]
	s_lshl_b64 s[6:7], s[8:9], 2
	s_lshl_b64 s[8:9], s[14:15], 4
	s_lshl_b64 s[14:15], s[24:25], 5
	v_cndmask_b32_e64 v16, 0, 1, s0
	s_delay_alu instid0(VALU_DEP_3)
	v_lshlrev_b64_e32 v[14:15], 2, v[8:9]
	v_lshl_add_u64 v[6:7], v[10:11], 2, s[6:7]
	v_lshlrev_b64_e32 v[8:9], 2, v[12:13]
	s_lshl_b64 s[6:7], s[20:21], 4
	v_cmp_ne_u32_e64 s0, 1, v16
	s_lshl_b64 s[20:21], s[22:23], 2
	v_add_nc_u64_e32 v[6:7], v[6:7], v[2:3]
	v_lshl_add_u64 v[10:11], s[26:27], 2, v[14:15]
	s_branch .LBB42_3
.LBB42_2:                               ;   in Loop: Header=BB42_3 Depth=1
	s_add_co_i32 s2, s2, 0x10000
	s_delay_alu instid0(SALU_CYCLE_1)
	s_cmp_lt_i32 s2, s31
	s_cbranch_scc0 .LBB42_10
.LBB42_3:                               ; =>This Loop Header: Depth=1
                                        ;     Child Loop BB42_5 Depth 2
	s_wait_xcnt 0x0
	v_dual_mov_b32 v2, s2 :: v_dual_mov_b32 v19, 0
	v_dual_mov_b32 v18, 0 :: v_dual_mov_b32 v15, 0
	v_mov_b32_e32 v14, 0
	s_clause 0x1
	global_load_b64 v[12:13], v2, s[12:13] scale_offset
	global_load_b64 v[16:17], v2, s[18:19] scale_offset
	s_and_b32 vcc_lo, exec_lo, s0
	s_cbranch_vccnz .LBB42_6
; %bb.4:                                ;   in Loop: Header=BB42_3 Depth=1
	s_lshl_b64 s[22:23], s[2:3], 3
	v_mov_b32_e32 v14, 0
	s_add_nc_u64 s[24:25], s[10:11], s[22:23]
	s_add_nc_u64 s[22:23], s[4:5], s[22:23]
	s_clause 0x1
	global_load_b64 v[18:19], v3, s[24:25]
	global_load_b64 v[22:23], v3, s[22:23]
	s_wait_xcnt 0x0
	s_mov_b64 s[22:23], 0
	v_mov_b32_e32 v15, v14
	s_wait_loadcnt 0x1
	v_add_nc_u64_e32 v[20:21], v[18:19], v[10:11]
	s_wait_loadcnt 0x0
	v_add_nc_u64_e32 v[22:23], v[22:23], v[6:7]
	v_dual_mov_b32 v18, v14 :: v_dual_mov_b32 v19, v14
.LBB42_5:                               ;   Parent Loop BB42_3 Depth=1
                                        ; =>  This Inner Loop Header: Depth=2
	flat_load_b32 v2, v[22:23]
	s_add_nc_u64 s[22:23], s[22:23], 8
	s_wait_xcnt 0x0
	v_add_nc_u64_e32 v[22:23], 32, v[22:23]
	v_cmp_lt_i64_e64 s24, s[22:23], s[28:29]
	s_and_b32 vcc_lo, exec_lo, s24
	s_wait_loadcnt_dscnt 0x0
	ds_store_b32 v24, v2
	flat_load_b32 v2, v[20:21]
	s_wait_xcnt 0x0
	v_add_nc_u64_e32 v[20:21], s[14:15], v[20:21]
	s_wait_loadcnt_dscnt 0x0
	ds_store_b32 v25, v2
	s_wait_dscnt 0x0
	s_barrier_signal -1
	s_barrier_wait -1
	ds_load_2addr_b32 v[44:45], v26 offset1:16
	ds_load_2addr_b32 v[46:47], v26 offset0:32 offset1:48
	ds_load_b128 v[28:31], v27
	ds_load_b128 v[32:35], v27 offset:512
	ds_load_2addr_b32 v[48:49], v26 offset0:64 offset1:80
	ds_load_2addr_b32 v[50:51], v26 offset0:96 offset1:112
	ds_load_b128 v[36:39], v27 offset:16
	ds_load_2addr_b32 v[52:53], v26 offset0:128 offset1:144
	ds_load_b128 v[40:43], v27 offset:528
	ds_load_2addr_b32 v[54:55], v26 offset0:160 offset1:176
	ds_load_2addr_b32 v[56:57], v26 offset0:192 offset1:208
	s_wait_dscnt 0x9
	v_dual_mov_b32 v60, v47 :: v_dual_mov_b32 v61, v46
	s_wait_dscnt 0x6
	v_dual_mov_b32 v2, v31 :: v_dual_mov_b32 v46, v49
	s_wait_dscnt 0x5
	v_dual_mov_b32 v47, v48 :: v_dual_mov_b32 v48, v51
	v_dual_mov_b32 v49, v50 :: v_dual_mov_b32 v58, v45
	v_mov_b32_e32 v59, v44
	ds_load_2addr_b32 v[44:45], v26 offset0:224 offset1:240
	s_wait_dscnt 0x0
	s_barrier_signal -1
	s_barrier_wait -1
	v_pk_fma_f32 v[18:19], v[58:59], v[28:29], v[18:19] op_sel_hi:[1,0,1]
	v_pk_fma_f32 v[14:15], v[58:59], v[32:33], v[14:15] op_sel_hi:[1,0,1]
	s_delay_alu instid0(VALU_DEP_2) | instskip(NEXT) | instid1(VALU_DEP_2)
	v_pk_fma_f32 v[18:19], v[60:61], v[28:29], v[18:19] op_sel:[0,1,0]
	v_pk_fma_f32 v[14:15], v[60:61], v[32:33], v[14:15] op_sel:[0,1,0]
	v_mov_b32_e32 v28, v35
	s_delay_alu instid0(VALU_DEP_3) | instskip(NEXT) | instid1(VALU_DEP_3)
	v_pk_fma_f32 v[18:19], v[46:47], v[30:31], v[18:19] op_sel_hi:[1,0,1]
	v_pk_fma_f32 v[14:15], v[46:47], v[34:35], v[14:15] op_sel_hi:[1,0,1]
	v_dual_mov_b32 v30, v53 :: v_dual_mov_b32 v31, v52
	s_delay_alu instid0(VALU_DEP_3) | instskip(NEXT) | instid1(VALU_DEP_3)
	v_pk_fma_f32 v[18:19], v[48:49], v[2:3], v[18:19] op_sel_hi:[1,0,1]
	v_pk_fma_f32 v[14:15], v[48:49], v[28:29], v[14:15] op_sel_hi:[1,0,1]
	v_dual_mov_b32 v28, v55 :: v_dual_mov_b32 v29, v54
	v_dual_mov_b32 v32, v45 :: v_dual_mov_b32 v33, v44
	s_delay_alu instid0(VALU_DEP_4) | instskip(NEXT) | instid1(VALU_DEP_4)
	v_pk_fma_f32 v[18:19], v[30:31], v[36:37], v[18:19] op_sel_hi:[1,0,1]
	v_pk_fma_f32 v[14:15], v[30:31], v[40:41], v[14:15] op_sel_hi:[1,0,1]
	v_dual_mov_b32 v30, v57 :: v_dual_mov_b32 v31, v56
	v_mov_b32_e32 v2, v39
	s_delay_alu instid0(VALU_DEP_4) | instskip(NEXT) | instid1(VALU_DEP_4)
	v_pk_fma_f32 v[18:19], v[28:29], v[36:37], v[18:19] op_sel:[0,1,0]
	v_pk_fma_f32 v[14:15], v[28:29], v[40:41], v[14:15] op_sel:[0,1,0]
	v_mov_b32_e32 v28, v43
	s_delay_alu instid0(VALU_DEP_3) | instskip(NEXT) | instid1(VALU_DEP_3)
	v_pk_fma_f32 v[18:19], v[30:31], v[38:39], v[18:19] op_sel_hi:[1,0,1]
	v_pk_fma_f32 v[14:15], v[30:31], v[42:43], v[14:15] op_sel_hi:[1,0,1]
	s_delay_alu instid0(VALU_DEP_2) | instskip(NEXT) | instid1(VALU_DEP_2)
	v_pk_fma_f32 v[18:19], v[32:33], v[2:3], v[18:19] op_sel_hi:[1,0,1]
	v_pk_fma_f32 v[14:15], v[32:33], v[28:29], v[14:15] op_sel_hi:[1,0,1]
	s_cbranch_vccnz .LBB42_5
.LBB42_6:                               ;   in Loop: Header=BB42_3 Depth=1
	s_wait_loadcnt 0x0
	v_add_nc_u64_e32 v[16:17], s[20:21], v[16:17]
	s_and_not1_b32 vcc_lo, exec_lo, s1
	s_delay_alu instid0(VALU_DEP_1) | instskip(NEXT) | instid1(VALU_DEP_1)
	v_lshl_add_u64 v[16:17], v[0:1], 2, v[16:17]
	v_add_nc_u64_e32 v[20:21], v[16:17], v[8:9]
	v_lshl_add_u64 v[16:17], s[6:7], 2, v[16:17]
	s_cbranch_vccnz .LBB42_8
; %bb.7:                                ;   in Loop: Header=BB42_3 Depth=1
	s_delay_alu instid0(VALU_DEP_1)
	v_add_nc_u64_e32 v[22:23], v[16:17], v[8:9]
	s_wait_xcnt 0x0
	v_dual_mul_f32 v2, s30, v19 :: v_dual_mul_f32 v28, s30, v18
	v_dual_mul_f32 v29, s30, v15 :: v_dual_mul_f32 v30, s30, v14
	s_clause 0x3
	flat_store_b32 v[20:21], v2
	flat_store_b32 v[20:21], v28 offset:64
	flat_store_b32 v[22:23], v29
	flat_store_b32 v[22:23], v30 offset:64
	s_cbranch_execnz .LBB42_2
	s_branch .LBB42_9
.LBB42_8:                               ;   in Loop: Header=BB42_3 Depth=1
.LBB42_9:                               ;   in Loop: Header=BB42_3 Depth=1
	v_add_nc_u64_e32 v[12:13], s[16:17], v[12:13]
	s_delay_alu instid0(VALU_DEP_2) | instskip(NEXT) | instid1(VALU_DEP_2)
	v_add_nc_u64_e32 v[16:17], v[16:17], v[8:9]
	v_lshl_add_u64 v[12:13], v[4:5], 2, v[12:13]
	s_wait_xcnt 0x0
	s_delay_alu instid0(VALU_DEP_1) | instskip(SKIP_1) | instid1(VALU_DEP_1)
	v_add_nc_u64_e32 v[22:23], v[12:13], v[8:9]
	v_lshl_add_u64 v[12:13], s[8:9], 2, v[12:13]
	v_add_nc_u64_e32 v[12:13], v[12:13], v[8:9]
	flat_load_b32 v2, v[22:23]
	s_wait_loadcnt_dscnt 0x0
	v_mul_f32_e32 v2, s33, v2
	s_delay_alu instid0(VALU_DEP_1) | instskip(SKIP_4) | instid1(VALU_DEP_1)
	v_fmac_f32_e32 v2, s30, v19
	flat_store_b32 v[20:21], v2
	flat_load_b32 v2, v[22:23] offset:64
	s_wait_loadcnt_dscnt 0x0
	v_mul_f32_e32 v2, s33, v2
	v_fmac_f32_e32 v2, s30, v18
	flat_store_b32 v[20:21], v2 offset:64
	flat_load_b32 v2, v[12:13]
	s_wait_loadcnt_dscnt 0x0
	v_mul_f32_e32 v2, s33, v2
	s_delay_alu instid0(VALU_DEP_1) | instskip(SKIP_4) | instid1(VALU_DEP_1)
	v_fmac_f32_e32 v2, s30, v15
	flat_store_b32 v[16:17], v2
	flat_load_b32 v2, v[12:13] offset:64
	s_wait_loadcnt_dscnt 0x0
	v_mul_f32_e32 v2, s33, v2
	v_fmac_f32_e32 v2, s30, v14
	flat_store_b32 v[16:17], v2 offset:64
	s_branch .LBB42_2
.LBB42_10:
	s_endpgm
	.section	.rodata,"a",@progbits
	.p2align	6, 0x0
	.amdhsa_kernel _ZN12_GLOBAL__N_127rocblas_gemm_batched_kernelIfLi16ELi16ELi32ELi32ELi8ELi32ELi8ELi8ELi32ELc67ELc67EKPKfS3_KPfEEvlllT_PT11_llS8_llS6_PT12_llPT13_lli
		.amdhsa_group_segment_fixed_size 2048
		.amdhsa_private_segment_fixed_size 0
		.amdhsa_kernarg_size 140
		.amdhsa_user_sgpr_count 2
		.amdhsa_user_sgpr_dispatch_ptr 0
		.amdhsa_user_sgpr_queue_ptr 0
		.amdhsa_user_sgpr_kernarg_segment_ptr 1
		.amdhsa_user_sgpr_dispatch_id 0
		.amdhsa_user_sgpr_kernarg_preload_length 0
		.amdhsa_user_sgpr_kernarg_preload_offset 0
		.amdhsa_user_sgpr_private_segment_size 0
		.amdhsa_wavefront_size32 1
		.amdhsa_uses_dynamic_stack 0
		.amdhsa_enable_private_segment 0
		.amdhsa_system_sgpr_workgroup_id_x 1
		.amdhsa_system_sgpr_workgroup_id_y 1
		.amdhsa_system_sgpr_workgroup_id_z 1
		.amdhsa_system_sgpr_workgroup_info 0
		.amdhsa_system_vgpr_workitem_id 1
		.amdhsa_next_free_vgpr 62
		.amdhsa_next_free_sgpr 36
		.amdhsa_named_barrier_count 0
		.amdhsa_reserve_vcc 1
		.amdhsa_float_round_mode_32 0
		.amdhsa_float_round_mode_16_64 0
		.amdhsa_float_denorm_mode_32 3
		.amdhsa_float_denorm_mode_16_64 3
		.amdhsa_fp16_overflow 0
		.amdhsa_memory_ordered 1
		.amdhsa_forward_progress 1
		.amdhsa_inst_pref_size 12
		.amdhsa_round_robin_scheduling 0
		.amdhsa_exception_fp_ieee_invalid_op 0
		.amdhsa_exception_fp_denorm_src 0
		.amdhsa_exception_fp_ieee_div_zero 0
		.amdhsa_exception_fp_ieee_overflow 0
		.amdhsa_exception_fp_ieee_underflow 0
		.amdhsa_exception_fp_ieee_inexact 0
		.amdhsa_exception_int_div_zero 0
	.end_amdhsa_kernel
	.section	.text._ZN12_GLOBAL__N_127rocblas_gemm_batched_kernelIfLi16ELi16ELi32ELi32ELi8ELi32ELi8ELi8ELi32ELc67ELc67EKPKfS3_KPfEEvlllT_PT11_llS8_llS6_PT12_llPT13_lli,"axG",@progbits,_ZN12_GLOBAL__N_127rocblas_gemm_batched_kernelIfLi16ELi16ELi32ELi32ELi8ELi32ELi8ELi8ELi32ELc67ELc67EKPKfS3_KPfEEvlllT_PT11_llS8_llS6_PT12_llPT13_lli,comdat
.Lfunc_end42:
	.size	_ZN12_GLOBAL__N_127rocblas_gemm_batched_kernelIfLi16ELi16ELi32ELi32ELi8ELi32ELi8ELi8ELi32ELc67ELc67EKPKfS3_KPfEEvlllT_PT11_llS8_llS6_PT12_llPT13_lli, .Lfunc_end42-_ZN12_GLOBAL__N_127rocblas_gemm_batched_kernelIfLi16ELi16ELi32ELi32ELi8ELi32ELi8ELi8ELi32ELc67ELc67EKPKfS3_KPfEEvlllT_PT11_llS8_llS6_PT12_llPT13_lli
                                        ; -- End function
	.set _ZN12_GLOBAL__N_127rocblas_gemm_batched_kernelIfLi16ELi16ELi32ELi32ELi8ELi32ELi8ELi8ELi32ELc67ELc67EKPKfS3_KPfEEvlllT_PT11_llS8_llS6_PT12_llPT13_lli.num_vgpr, 62
	.set _ZN12_GLOBAL__N_127rocblas_gemm_batched_kernelIfLi16ELi16ELi32ELi32ELi8ELi32ELi8ELi8ELi32ELc67ELc67EKPKfS3_KPfEEvlllT_PT11_llS8_llS6_PT12_llPT13_lli.num_agpr, 0
	.set _ZN12_GLOBAL__N_127rocblas_gemm_batched_kernelIfLi16ELi16ELi32ELi32ELi8ELi32ELi8ELi8ELi32ELc67ELc67EKPKfS3_KPfEEvlllT_PT11_llS8_llS6_PT12_llPT13_lli.numbered_sgpr, 36
	.set _ZN12_GLOBAL__N_127rocblas_gemm_batched_kernelIfLi16ELi16ELi32ELi32ELi8ELi32ELi8ELi8ELi32ELc67ELc67EKPKfS3_KPfEEvlllT_PT11_llS8_llS6_PT12_llPT13_lli.num_named_barrier, 0
	.set _ZN12_GLOBAL__N_127rocblas_gemm_batched_kernelIfLi16ELi16ELi32ELi32ELi8ELi32ELi8ELi8ELi32ELc67ELc67EKPKfS3_KPfEEvlllT_PT11_llS8_llS6_PT12_llPT13_lli.private_seg_size, 0
	.set _ZN12_GLOBAL__N_127rocblas_gemm_batched_kernelIfLi16ELi16ELi32ELi32ELi8ELi32ELi8ELi8ELi32ELc67ELc67EKPKfS3_KPfEEvlllT_PT11_llS8_llS6_PT12_llPT13_lli.uses_vcc, 1
	.set _ZN12_GLOBAL__N_127rocblas_gemm_batched_kernelIfLi16ELi16ELi32ELi32ELi8ELi32ELi8ELi8ELi32ELc67ELc67EKPKfS3_KPfEEvlllT_PT11_llS8_llS6_PT12_llPT13_lli.uses_flat_scratch, 1
	.set _ZN12_GLOBAL__N_127rocblas_gemm_batched_kernelIfLi16ELi16ELi32ELi32ELi8ELi32ELi8ELi8ELi32ELc67ELc67EKPKfS3_KPfEEvlllT_PT11_llS8_llS6_PT12_llPT13_lli.has_dyn_sized_stack, 0
	.set _ZN12_GLOBAL__N_127rocblas_gemm_batched_kernelIfLi16ELi16ELi32ELi32ELi8ELi32ELi8ELi8ELi32ELc67ELc67EKPKfS3_KPfEEvlllT_PT11_llS8_llS6_PT12_llPT13_lli.has_recursion, 0
	.set _ZN12_GLOBAL__N_127rocblas_gemm_batched_kernelIfLi16ELi16ELi32ELi32ELi8ELi32ELi8ELi8ELi32ELc67ELc67EKPKfS3_KPfEEvlllT_PT11_llS8_llS6_PT12_llPT13_lli.has_indirect_call, 0
	.section	.AMDGPU.csdata,"",@progbits
; Kernel info:
; codeLenInByte = 1448
; TotalNumSgprs: 38
; NumVgprs: 62
; ScratchSize: 0
; MemoryBound: 0
; FloatMode: 240
; IeeeMode: 1
; LDSByteSize: 2048 bytes/workgroup (compile time only)
; SGPRBlocks: 0
; VGPRBlocks: 3
; NumSGPRsForWavesPerEU: 38
; NumVGPRsForWavesPerEU: 62
; NamedBarCnt: 0
; Occupancy: 16
; WaveLimiterHint : 1
; COMPUTE_PGM_RSRC2:SCRATCH_EN: 0
; COMPUTE_PGM_RSRC2:USER_SGPR: 2
; COMPUTE_PGM_RSRC2:TRAP_HANDLER: 0
; COMPUTE_PGM_RSRC2:TGID_X_EN: 1
; COMPUTE_PGM_RSRC2:TGID_Y_EN: 1
; COMPUTE_PGM_RSRC2:TGID_Z_EN: 1
; COMPUTE_PGM_RSRC2:TIDIG_COMP_CNT: 1
	.section	.text._ZN12_GLOBAL__N_127rocblas_gemm_batched_kernelIfLi16ELi16ELi32ELi32ELi8ELi32ELi8ELi8ELi32ELc67ELc78EKPKfS3_KPfEEvlllT_PT11_llS8_llS6_PT12_llPT13_lli,"axG",@progbits,_ZN12_GLOBAL__N_127rocblas_gemm_batched_kernelIfLi16ELi16ELi32ELi32ELi8ELi32ELi8ELi8ELi32ELc67ELc78EKPKfS3_KPfEEvlllT_PT11_llS8_llS6_PT12_llPT13_lli,comdat
	.globl	_ZN12_GLOBAL__N_127rocblas_gemm_batched_kernelIfLi16ELi16ELi32ELi32ELi8ELi32ELi8ELi8ELi32ELc67ELc78EKPKfS3_KPfEEvlllT_PT11_llS8_llS6_PT12_llPT13_lli ; -- Begin function _ZN12_GLOBAL__N_127rocblas_gemm_batched_kernelIfLi16ELi16ELi32ELi32ELi8ELi32ELi8ELi8ELi32ELc67ELc78EKPKfS3_KPfEEvlllT_PT11_llS8_llS6_PT12_llPT13_lli
	.p2align	8
	.type	_ZN12_GLOBAL__N_127rocblas_gemm_batched_kernelIfLi16ELi16ELi32ELi32ELi8ELi32ELi8ELi8ELi32ELc67ELc78EKPKfS3_KPfEEvlllT_PT11_llS8_llS6_PT12_llPT13_lli,@function
_ZN12_GLOBAL__N_127rocblas_gemm_batched_kernelIfLi16ELi16ELi32ELi32ELi8ELi32ELi8ELi8ELi32ELc67ELc78EKPKfS3_KPfEEvlllT_PT11_llS8_llS6_PT12_llPT13_lli: ; @_ZN12_GLOBAL__N_127rocblas_gemm_batched_kernelIfLi16ELi16ELi32ELi32ELi8ELi32ELi8ELi8ELi32ELc67ELc78EKPKfS3_KPfEEvlllT_PT11_llS8_llS6_PT12_llPT13_lli
; %bb.0:
	s_load_b32 s31, s[0:1], 0x88
	s_bfe_u32 s2, ttmp6, 0x40014
	s_lshr_b32 s3, ttmp7, 16
	s_add_co_i32 s2, s2, 1
	s_bfe_u32 s4, ttmp6, 0x40008
	s_mul_i32 s2, s3, s2
	s_getreg_b32 s12, hwreg(HW_REG_IB_STS2, 6, 4)
	s_add_co_i32 s4, s4, s2
	s_cmp_eq_u32 s12, 0
	s_cselect_b32 s2, s3, s4
	s_mov_b32 s3, 0
	s_wait_kmcnt 0x0
	s_cmp_ge_i32 s2, s31
	s_cbranch_scc1 .LBB43_10
; %bb.1:
	v_bfe_u32 v2, v0, 10, 10
	v_and_b32_e32 v6, 0x3ff, v0
	s_bfe_u32 s14, ttmp6, 0x4000c
	s_bfe_u32 s15, ttmp6, 0x40010
	s_clause 0x1
	s_load_b256 s[4:11], s[0:1], 0x20
	s_load_b128 s[24:27], s[0:1], 0x40
	s_add_co_i32 s14, s14, 1
	s_and_b32 s16, ttmp7, 0xffff
	s_add_co_i32 s15, s15, 1
	v_lshl_add_u32 v15, v2, 4, v6
	v_mov_b32_e32 v3, 0
	s_and_b32 s13, ttmp6, 15
	s_mul_i32 s14, ttmp9, s14
	s_mul_i32 s15, s16, s15
	s_bfe_u32 s17, ttmp6, 0x40004
	s_add_co_i32 s13, s13, s14
	s_add_co_i32 s17, s17, s15
	s_cmp_eq_u32 s12, 0
	v_dual_lshrrev_b32 v8, 3, v15 :: v_dual_bitop2_b32 v16, 31, v15 bitop3:0x40
	v_mov_b32_e32 v9, v3
	s_cselect_b32 s12, ttmp9, s13
	s_cselect_b32 s14, s16, s17
	s_ashr_i32 s13, s12, 31
	s_lshl_b32 s28, s14, 5
	s_mov_b32 s29, s3
	s_load_b128 s[20:23], s[0:1], 0x78
	s_lshl_b64 s[34:35], s[12:13], 5
	s_load_b256 s[12:19], s[0:1], 0x58
	v_add_nc_u64_e32 v[4:5], s[28:29], v[8:9]
	v_dual_mov_b32 v11, s35 :: v_dual_bitop2_b32 v10, s34, v16 bitop3:0x54
	s_load_b32 s33, s[0:1], 0x50
	v_lshlrev_b32_e32 v7, 2, v0
	v_lshl_add_u32 v24, v2, 5, 0x400
	v_lshlrev_b32_e32 v9, 2, v16
	s_wait_kmcnt 0x0
	v_mul_u64_e32 v[12:13], s[24:25], v[4:5]
	v_mul_u64_e32 v[10:11], s[6:7], v[10:11]
	v_add_nc_u64_e32 v[4:5], s[28:29], v[2:3]
	s_load_b96 s[28:30], s[0:1], 0x10
	v_lshrrev_b32_e32 v2, 5, v15
	v_dual_mov_b32 v7, v3 :: v_dual_bitop2_b32 v14, 28, v7 bitop3:0x40
	v_dual_mov_b32 v15, v3 :: v_dual_lshlrev_b32 v27, 2, v6
	s_delay_alu instid0(VALU_DEP_3) | instskip(SKIP_1) | instid1(VALU_DEP_4)
	v_lshl_or_b32 v25, v2, 7, v9
	v_mul_u64_e32 v[0:1], s[20:21], v[4:5]
	v_lshl_or_b32 v8, v8, 5, v14
	v_mul_u64_e32 v[4:5], s[14:15], v[4:5]
	v_add_nc_u64_e32 v[16:17], s[34:35], v[6:7]
	v_lshlrev_b32_e32 v2, 2, v2
	s_cmp_eq_f32 s33, 0
	v_add_nc_u32_e32 v26, 0x400, v8
	s_wait_xcnt 0x0
	s_cselect_b32 s1, -1, 0
	s_lshl_b64 s[6:7], s[26:27], 2
	s_lshl_b64 s[8:9], s[8:9], 2
	s_wait_kmcnt 0x0
	v_cmp_gt_i64_e64 s0, s[28:29], 0
	s_lshl_b64 s[16:17], s[16:17], 2
	v_lshl_add_u64 v[8:9], v[12:13], 2, s[6:7]
	v_lshl_add_u64 v[10:11], v[10:11], 2, s[8:9]
	v_cndmask_b32_e64 v12, 0, 1, s0
	s_lshl_b64 s[6:7], s[20:21], 4
	s_lshl_b64 s[8:9], s[14:15], 4
	v_add_nc_u64_e32 v[6:7], v[8:9], v[14:15]
	v_add_nc_u64_e32 v[8:9], v[10:11], v[2:3]
	v_lshlrev_b64_e32 v[10:11], 2, v[16:17]
	v_cmp_ne_u32_e64 s0, 1, v12
	s_lshl_b64 s[14:15], s[22:23], 2
	s_branch .LBB43_3
.LBB43_2:                               ;   in Loop: Header=BB43_3 Depth=1
	s_add_co_i32 s2, s2, 0x10000
	s_delay_alu instid0(SALU_CYCLE_1)
	s_cmp_lt_i32 s2, s31
	s_cbranch_scc0 .LBB43_10
.LBB43_3:                               ; =>This Loop Header: Depth=1
                                        ;     Child Loop BB43_5 Depth 2
	s_wait_xcnt 0x0
	v_dual_mov_b32 v2, s2 :: v_dual_mov_b32 v19, 0
	v_dual_mov_b32 v18, 0 :: v_dual_mov_b32 v15, 0
	v_mov_b32_e32 v14, 0
	s_clause 0x1
	global_load_b64 v[12:13], v2, s[12:13] scale_offset
	global_load_b64 v[16:17], v2, s[18:19] scale_offset
	s_and_b32 vcc_lo, exec_lo, s0
	s_cbranch_vccnz .LBB43_6
; %bb.4:                                ;   in Loop: Header=BB43_3 Depth=1
	s_lshl_b64 s[20:21], s[2:3], 3
	v_mov_b32_e32 v14, 0
	s_add_nc_u64 s[22:23], s[10:11], s[20:21]
	s_add_nc_u64 s[20:21], s[4:5], s[20:21]
	s_clause 0x1
	global_load_b64 v[18:19], v3, s[22:23]
	global_load_b64 v[22:23], v3, s[20:21]
	s_wait_xcnt 0x0
	s_mov_b64 s[20:21], 0
	v_mov_b32_e32 v15, v14
	s_wait_loadcnt 0x1
	v_add_nc_u64_e32 v[20:21], v[18:19], v[6:7]
	s_wait_loadcnt 0x0
	v_add_nc_u64_e32 v[22:23], v[22:23], v[8:9]
	v_dual_mov_b32 v18, v14 :: v_dual_mov_b32 v19, v14
.LBB43_5:                               ;   Parent Loop BB43_3 Depth=1
                                        ; =>  This Inner Loop Header: Depth=2
	flat_load_b32 v2, v[22:23]
	s_add_nc_u64 s[20:21], s[20:21], 8
	s_wait_xcnt 0x0
	v_add_nc_u64_e32 v[22:23], 32, v[22:23]
	v_cmp_lt_i64_e64 s22, s[20:21], s[28:29]
	s_and_b32 vcc_lo, exec_lo, s22
	s_wait_loadcnt_dscnt 0x0
	ds_store_b32 v25, v2
	flat_load_b32 v2, v[20:21]
	s_wait_xcnt 0x0
	v_add_nc_u64_e32 v[20:21], 32, v[20:21]
	s_wait_loadcnt_dscnt 0x0
	ds_store_b32 v26, v2
	s_wait_dscnt 0x0
	s_barrier_signal -1
	s_barrier_wait -1
	ds_load_2addr_b32 v[44:45], v27 offset1:16
	ds_load_2addr_b32 v[46:47], v27 offset0:32 offset1:48
	ds_load_b128 v[28:31], v24
	ds_load_b128 v[32:35], v24 offset:512
	ds_load_2addr_b32 v[48:49], v27 offset0:64 offset1:80
	ds_load_2addr_b32 v[50:51], v27 offset0:96 offset1:112
	ds_load_b128 v[36:39], v24 offset:16
	ds_load_2addr_b32 v[52:53], v27 offset0:128 offset1:144
	ds_load_b128 v[40:43], v24 offset:528
	ds_load_2addr_b32 v[54:55], v27 offset0:160 offset1:176
	ds_load_2addr_b32 v[56:57], v27 offset0:192 offset1:208
	s_wait_dscnt 0x9
	v_dual_mov_b32 v60, v47 :: v_dual_mov_b32 v61, v46
	s_wait_dscnt 0x6
	v_dual_mov_b32 v2, v31 :: v_dual_mov_b32 v46, v49
	;; [unrolled: 2-line block ×3, first 2 shown]
	v_dual_mov_b32 v49, v50 :: v_dual_mov_b32 v58, v45
	v_mov_b32_e32 v59, v44
	ds_load_2addr_b32 v[44:45], v27 offset0:224 offset1:240
	s_wait_dscnt 0x0
	s_barrier_signal -1
	s_barrier_wait -1
	v_pk_fma_f32 v[18:19], v[58:59], v[28:29], v[18:19] op_sel_hi:[1,0,1]
	v_pk_fma_f32 v[14:15], v[58:59], v[32:33], v[14:15] op_sel_hi:[1,0,1]
	s_delay_alu instid0(VALU_DEP_2) | instskip(NEXT) | instid1(VALU_DEP_2)
	v_pk_fma_f32 v[18:19], v[60:61], v[28:29], v[18:19] op_sel:[0,1,0]
	v_pk_fma_f32 v[14:15], v[60:61], v[32:33], v[14:15] op_sel:[0,1,0]
	v_mov_b32_e32 v28, v35
	s_delay_alu instid0(VALU_DEP_3) | instskip(NEXT) | instid1(VALU_DEP_3)
	v_pk_fma_f32 v[18:19], v[46:47], v[30:31], v[18:19] op_sel_hi:[1,0,1]
	v_pk_fma_f32 v[14:15], v[46:47], v[34:35], v[14:15] op_sel_hi:[1,0,1]
	v_dual_mov_b32 v30, v53 :: v_dual_mov_b32 v31, v52
	s_delay_alu instid0(VALU_DEP_3) | instskip(NEXT) | instid1(VALU_DEP_3)
	v_pk_fma_f32 v[18:19], v[48:49], v[2:3], v[18:19] op_sel_hi:[1,0,1]
	v_pk_fma_f32 v[14:15], v[48:49], v[28:29], v[14:15] op_sel_hi:[1,0,1]
	v_dual_mov_b32 v28, v55 :: v_dual_mov_b32 v29, v54
	v_dual_mov_b32 v32, v45 :: v_dual_mov_b32 v33, v44
	s_delay_alu instid0(VALU_DEP_4) | instskip(NEXT) | instid1(VALU_DEP_4)
	v_pk_fma_f32 v[18:19], v[30:31], v[36:37], v[18:19] op_sel_hi:[1,0,1]
	v_pk_fma_f32 v[14:15], v[30:31], v[40:41], v[14:15] op_sel_hi:[1,0,1]
	v_dual_mov_b32 v30, v57 :: v_dual_mov_b32 v31, v56
	v_mov_b32_e32 v2, v39
	s_delay_alu instid0(VALU_DEP_4) | instskip(NEXT) | instid1(VALU_DEP_4)
	v_pk_fma_f32 v[18:19], v[28:29], v[36:37], v[18:19] op_sel:[0,1,0]
	v_pk_fma_f32 v[14:15], v[28:29], v[40:41], v[14:15] op_sel:[0,1,0]
	v_mov_b32_e32 v28, v43
	s_delay_alu instid0(VALU_DEP_3) | instskip(NEXT) | instid1(VALU_DEP_3)
	v_pk_fma_f32 v[18:19], v[30:31], v[38:39], v[18:19] op_sel_hi:[1,0,1]
	v_pk_fma_f32 v[14:15], v[30:31], v[42:43], v[14:15] op_sel_hi:[1,0,1]
	s_delay_alu instid0(VALU_DEP_2) | instskip(NEXT) | instid1(VALU_DEP_2)
	v_pk_fma_f32 v[18:19], v[32:33], v[2:3], v[18:19] op_sel_hi:[1,0,1]
	v_pk_fma_f32 v[14:15], v[32:33], v[28:29], v[14:15] op_sel_hi:[1,0,1]
	s_cbranch_vccnz .LBB43_5
.LBB43_6:                               ;   in Loop: Header=BB43_3 Depth=1
	s_wait_loadcnt 0x0
	v_add_nc_u64_e32 v[16:17], s[14:15], v[16:17]
	s_and_not1_b32 vcc_lo, exec_lo, s1
	s_delay_alu instid0(VALU_DEP_1) | instskip(NEXT) | instid1(VALU_DEP_1)
	v_lshl_add_u64 v[16:17], v[0:1], 2, v[16:17]
	v_add_nc_u64_e32 v[20:21], v[16:17], v[10:11]
	v_lshl_add_u64 v[16:17], s[6:7], 2, v[16:17]
	s_cbranch_vccnz .LBB43_8
; %bb.7:                                ;   in Loop: Header=BB43_3 Depth=1
	s_delay_alu instid0(VALU_DEP_1)
	v_add_nc_u64_e32 v[22:23], v[16:17], v[10:11]
	s_wait_xcnt 0x0
	v_dual_mul_f32 v2, s30, v19 :: v_dual_mul_f32 v28, s30, v18
	v_dual_mul_f32 v29, s30, v15 :: v_dual_mul_f32 v30, s30, v14
	s_clause 0x3
	flat_store_b32 v[20:21], v2
	flat_store_b32 v[20:21], v28 offset:64
	flat_store_b32 v[22:23], v29
	flat_store_b32 v[22:23], v30 offset:64
	s_cbranch_execnz .LBB43_2
	s_branch .LBB43_9
.LBB43_8:                               ;   in Loop: Header=BB43_3 Depth=1
.LBB43_9:                               ;   in Loop: Header=BB43_3 Depth=1
	v_add_nc_u64_e32 v[12:13], s[16:17], v[12:13]
	s_delay_alu instid0(VALU_DEP_2) | instskip(NEXT) | instid1(VALU_DEP_2)
	v_add_nc_u64_e32 v[16:17], v[16:17], v[10:11]
	v_lshl_add_u64 v[12:13], v[4:5], 2, v[12:13]
	s_wait_xcnt 0x0
	s_delay_alu instid0(VALU_DEP_1) | instskip(SKIP_1) | instid1(VALU_DEP_1)
	v_add_nc_u64_e32 v[22:23], v[12:13], v[10:11]
	v_lshl_add_u64 v[12:13], s[8:9], 2, v[12:13]
	v_add_nc_u64_e32 v[12:13], v[12:13], v[10:11]
	flat_load_b32 v2, v[22:23]
	s_wait_loadcnt_dscnt 0x0
	v_mul_f32_e32 v2, s33, v2
	s_delay_alu instid0(VALU_DEP_1) | instskip(SKIP_4) | instid1(VALU_DEP_1)
	v_fmac_f32_e32 v2, s30, v19
	flat_store_b32 v[20:21], v2
	flat_load_b32 v2, v[22:23] offset:64
	s_wait_loadcnt_dscnt 0x0
	v_mul_f32_e32 v2, s33, v2
	v_fmac_f32_e32 v2, s30, v18
	flat_store_b32 v[20:21], v2 offset:64
	flat_load_b32 v2, v[12:13]
	s_wait_loadcnt_dscnt 0x0
	v_mul_f32_e32 v2, s33, v2
	s_delay_alu instid0(VALU_DEP_1) | instskip(SKIP_4) | instid1(VALU_DEP_1)
	v_fmac_f32_e32 v2, s30, v15
	flat_store_b32 v[16:17], v2
	flat_load_b32 v2, v[12:13] offset:64
	s_wait_loadcnt_dscnt 0x0
	v_mul_f32_e32 v2, s33, v2
	v_fmac_f32_e32 v2, s30, v14
	flat_store_b32 v[16:17], v2 offset:64
	s_branch .LBB43_2
.LBB43_10:
	s_endpgm
	.section	.rodata,"a",@progbits
	.p2align	6, 0x0
	.amdhsa_kernel _ZN12_GLOBAL__N_127rocblas_gemm_batched_kernelIfLi16ELi16ELi32ELi32ELi8ELi32ELi8ELi8ELi32ELc67ELc78EKPKfS3_KPfEEvlllT_PT11_llS8_llS6_PT12_llPT13_lli
		.amdhsa_group_segment_fixed_size 2048
		.amdhsa_private_segment_fixed_size 0
		.amdhsa_kernarg_size 140
		.amdhsa_user_sgpr_count 2
		.amdhsa_user_sgpr_dispatch_ptr 0
		.amdhsa_user_sgpr_queue_ptr 0
		.amdhsa_user_sgpr_kernarg_segment_ptr 1
		.amdhsa_user_sgpr_dispatch_id 0
		.amdhsa_user_sgpr_kernarg_preload_length 0
		.amdhsa_user_sgpr_kernarg_preload_offset 0
		.amdhsa_user_sgpr_private_segment_size 0
		.amdhsa_wavefront_size32 1
		.amdhsa_uses_dynamic_stack 0
		.amdhsa_enable_private_segment 0
		.amdhsa_system_sgpr_workgroup_id_x 1
		.amdhsa_system_sgpr_workgroup_id_y 1
		.amdhsa_system_sgpr_workgroup_id_z 1
		.amdhsa_system_sgpr_workgroup_info 0
		.amdhsa_system_vgpr_workitem_id 1
		.amdhsa_next_free_vgpr 62
		.amdhsa_next_free_sgpr 36
		.amdhsa_named_barrier_count 0
		.amdhsa_reserve_vcc 1
		.amdhsa_float_round_mode_32 0
		.amdhsa_float_round_mode_16_64 0
		.amdhsa_float_denorm_mode_32 3
		.amdhsa_float_denorm_mode_16_64 3
		.amdhsa_fp16_overflow 0
		.amdhsa_memory_ordered 1
		.amdhsa_forward_progress 1
		.amdhsa_inst_pref_size 12
		.amdhsa_round_robin_scheduling 0
		.amdhsa_exception_fp_ieee_invalid_op 0
		.amdhsa_exception_fp_denorm_src 0
		.amdhsa_exception_fp_ieee_div_zero 0
		.amdhsa_exception_fp_ieee_overflow 0
		.amdhsa_exception_fp_ieee_underflow 0
		.amdhsa_exception_fp_ieee_inexact 0
		.amdhsa_exception_int_div_zero 0
	.end_amdhsa_kernel
	.section	.text._ZN12_GLOBAL__N_127rocblas_gemm_batched_kernelIfLi16ELi16ELi32ELi32ELi8ELi32ELi8ELi8ELi32ELc67ELc78EKPKfS3_KPfEEvlllT_PT11_llS8_llS6_PT12_llPT13_lli,"axG",@progbits,_ZN12_GLOBAL__N_127rocblas_gemm_batched_kernelIfLi16ELi16ELi32ELi32ELi8ELi32ELi8ELi8ELi32ELc67ELc78EKPKfS3_KPfEEvlllT_PT11_llS8_llS6_PT12_llPT13_lli,comdat
.Lfunc_end43:
	.size	_ZN12_GLOBAL__N_127rocblas_gemm_batched_kernelIfLi16ELi16ELi32ELi32ELi8ELi32ELi8ELi8ELi32ELc67ELc78EKPKfS3_KPfEEvlllT_PT11_llS8_llS6_PT12_llPT13_lli, .Lfunc_end43-_ZN12_GLOBAL__N_127rocblas_gemm_batched_kernelIfLi16ELi16ELi32ELi32ELi8ELi32ELi8ELi8ELi32ELc67ELc78EKPKfS3_KPfEEvlllT_PT11_llS8_llS6_PT12_llPT13_lli
                                        ; -- End function
	.set _ZN12_GLOBAL__N_127rocblas_gemm_batched_kernelIfLi16ELi16ELi32ELi32ELi8ELi32ELi8ELi8ELi32ELc67ELc78EKPKfS3_KPfEEvlllT_PT11_llS8_llS6_PT12_llPT13_lli.num_vgpr, 62
	.set _ZN12_GLOBAL__N_127rocblas_gemm_batched_kernelIfLi16ELi16ELi32ELi32ELi8ELi32ELi8ELi8ELi32ELc67ELc78EKPKfS3_KPfEEvlllT_PT11_llS8_llS6_PT12_llPT13_lli.num_agpr, 0
	.set _ZN12_GLOBAL__N_127rocblas_gemm_batched_kernelIfLi16ELi16ELi32ELi32ELi8ELi32ELi8ELi8ELi32ELc67ELc78EKPKfS3_KPfEEvlllT_PT11_llS8_llS6_PT12_llPT13_lli.numbered_sgpr, 36
	.set _ZN12_GLOBAL__N_127rocblas_gemm_batched_kernelIfLi16ELi16ELi32ELi32ELi8ELi32ELi8ELi8ELi32ELc67ELc78EKPKfS3_KPfEEvlllT_PT11_llS8_llS6_PT12_llPT13_lli.num_named_barrier, 0
	.set _ZN12_GLOBAL__N_127rocblas_gemm_batched_kernelIfLi16ELi16ELi32ELi32ELi8ELi32ELi8ELi8ELi32ELc67ELc78EKPKfS3_KPfEEvlllT_PT11_llS8_llS6_PT12_llPT13_lli.private_seg_size, 0
	.set _ZN12_GLOBAL__N_127rocblas_gemm_batched_kernelIfLi16ELi16ELi32ELi32ELi8ELi32ELi8ELi8ELi32ELc67ELc78EKPKfS3_KPfEEvlllT_PT11_llS8_llS6_PT12_llPT13_lli.uses_vcc, 1
	.set _ZN12_GLOBAL__N_127rocblas_gemm_batched_kernelIfLi16ELi16ELi32ELi32ELi8ELi32ELi8ELi8ELi32ELc67ELc78EKPKfS3_KPfEEvlllT_PT11_llS8_llS6_PT12_llPT13_lli.uses_flat_scratch, 1
	.set _ZN12_GLOBAL__N_127rocblas_gemm_batched_kernelIfLi16ELi16ELi32ELi32ELi8ELi32ELi8ELi8ELi32ELc67ELc78EKPKfS3_KPfEEvlllT_PT11_llS8_llS6_PT12_llPT13_lli.has_dyn_sized_stack, 0
	.set _ZN12_GLOBAL__N_127rocblas_gemm_batched_kernelIfLi16ELi16ELi32ELi32ELi8ELi32ELi8ELi8ELi32ELc67ELc78EKPKfS3_KPfEEvlllT_PT11_llS8_llS6_PT12_llPT13_lli.has_recursion, 0
	.set _ZN12_GLOBAL__N_127rocblas_gemm_batched_kernelIfLi16ELi16ELi32ELi32ELi8ELi32ELi8ELi8ELi32ELc67ELc78EKPKfS3_KPfEEvlllT_PT11_llS8_llS6_PT12_llPT13_lli.has_indirect_call, 0
	.section	.AMDGPU.csdata,"",@progbits
; Kernel info:
; codeLenInByte = 1424
; TotalNumSgprs: 38
; NumVgprs: 62
; ScratchSize: 0
; MemoryBound: 0
; FloatMode: 240
; IeeeMode: 1
; LDSByteSize: 2048 bytes/workgroup (compile time only)
; SGPRBlocks: 0
; VGPRBlocks: 3
; NumSGPRsForWavesPerEU: 38
; NumVGPRsForWavesPerEU: 62
; NamedBarCnt: 0
; Occupancy: 16
; WaveLimiterHint : 1
; COMPUTE_PGM_RSRC2:SCRATCH_EN: 0
; COMPUTE_PGM_RSRC2:USER_SGPR: 2
; COMPUTE_PGM_RSRC2:TRAP_HANDLER: 0
; COMPUTE_PGM_RSRC2:TGID_X_EN: 1
; COMPUTE_PGM_RSRC2:TGID_Y_EN: 1
; COMPUTE_PGM_RSRC2:TGID_Z_EN: 1
; COMPUTE_PGM_RSRC2:TIDIG_COMP_CNT: 1
	.section	.text._ZN12_GLOBAL__N_127rocblas_gemm_batched_kernelIfLi16ELi16ELi32ELi32ELi8ELi32ELi8ELi8ELi32ELc67ELc84EKPKfS3_KPfEEvlllT_PT11_llS8_llS6_PT12_llPT13_lli,"axG",@progbits,_ZN12_GLOBAL__N_127rocblas_gemm_batched_kernelIfLi16ELi16ELi32ELi32ELi8ELi32ELi8ELi8ELi32ELc67ELc84EKPKfS3_KPfEEvlllT_PT11_llS8_llS6_PT12_llPT13_lli,comdat
	.globl	_ZN12_GLOBAL__N_127rocblas_gemm_batched_kernelIfLi16ELi16ELi32ELi32ELi8ELi32ELi8ELi8ELi32ELc67ELc84EKPKfS3_KPfEEvlllT_PT11_llS8_llS6_PT12_llPT13_lli ; -- Begin function _ZN12_GLOBAL__N_127rocblas_gemm_batched_kernelIfLi16ELi16ELi32ELi32ELi8ELi32ELi8ELi8ELi32ELc67ELc84EKPKfS3_KPfEEvlllT_PT11_llS8_llS6_PT12_llPT13_lli
	.p2align	8
	.type	_ZN12_GLOBAL__N_127rocblas_gemm_batched_kernelIfLi16ELi16ELi32ELi32ELi8ELi32ELi8ELi8ELi32ELc67ELc84EKPKfS3_KPfEEvlllT_PT11_llS8_llS6_PT12_llPT13_lli,@function
_ZN12_GLOBAL__N_127rocblas_gemm_batched_kernelIfLi16ELi16ELi32ELi32ELi8ELi32ELi8ELi8ELi32ELc67ELc84EKPKfS3_KPfEEvlllT_PT11_llS8_llS6_PT12_llPT13_lli: ; @_ZN12_GLOBAL__N_127rocblas_gemm_batched_kernelIfLi16ELi16ELi32ELi32ELi8ELi32ELi8ELi8ELi32ELc67ELc84EKPKfS3_KPfEEvlllT_PT11_llS8_llS6_PT12_llPT13_lli
; %bb.0:
	s_load_b32 s31, s[0:1], 0x88
	s_bfe_u32 s2, ttmp6, 0x40014
	s_lshr_b32 s3, ttmp7, 16
	s_add_co_i32 s2, s2, 1
	s_bfe_u32 s4, ttmp6, 0x40008
	s_mul_i32 s2, s3, s2
	s_getreg_b32 s28, hwreg(HW_REG_IB_STS2, 6, 4)
	s_add_co_i32 s4, s4, s2
	s_cmp_eq_u32 s28, 0
	s_cselect_b32 s2, s3, s4
	s_mov_b32 s3, 0
	s_wait_kmcnt 0x0
	s_cmp_ge_i32 s2, s31
	s_cbranch_scc1 .LBB44_10
; %bb.1:
	v_bfe_u32 v2, v0, 10, 10
	v_and_b32_e32 v6, 0x3ff, v0
	s_bfe_u32 s29, ttmp6, 0x4000c
	s_bfe_u32 s33, ttmp6, 0x40010
	s_add_co_i32 s29, s29, 1
	s_and_b32 s34, ttmp7, 0xffff
	s_add_co_i32 s33, s33, 1
	s_clause 0x3
	s_load_b256 s[4:11], s[0:1], 0x20
	s_load_b128 s[24:27], s[0:1], 0x40
	s_load_b128 s[20:23], s[0:1], 0x78
	s_load_b256 s[12:19], s[0:1], 0x58
	s_and_b32 s30, ttmp6, 15
	s_mul_i32 s29, ttmp9, s29
	s_mul_i32 s33, s34, s33
	s_bfe_u32 s35, ttmp6, 0x40004
	v_lshl_add_u32 v7, v2, 4, v6
	s_add_co_i32 s30, s30, s29
	s_add_co_i32 s35, s35, s33
	s_cmp_eq_u32 s28, 0
	s_delay_alu instid0(VALU_DEP_1)
	v_dual_mov_b32 v3, 0 :: v_dual_bitop2_b32 v14, 31, v7 bitop3:0x40
	s_cselect_b32 s28, ttmp9, s30
	s_cselect_b32 s30, s34, s35
	s_ashr_i32 s29, s28, 31
	v_lshrrev_b32_e32 v8, 3, v7
	s_lshl_b64 s[34:35], s[28:29], 5
	s_delay_alu instid0(SALU_CYCLE_1)
	v_dual_mov_b32 v1, s35 :: v_dual_bitop2_b32 v15, 7, v0 bitop3:0x40
	v_dual_mov_b32 v9, v3 :: v_dual_bitop2_b32 v0, s34, v14 bitop3:0x54
	v_lshrrev_b32_e32 v16, 5, v7
	s_load_b32 s33, s[0:1], 0x50
	v_lshlrev_b32_e32 v14, 2, v14
	s_wait_kmcnt 0x0
	v_mul_u64_e32 v[10:11], s[6:7], v[0:1]
	s_lshl_b32 s6, s30, 5
	v_mad_nc_u64_u32 v[12:13], s24, v15, v[8:9]
	s_mov_b32 s7, s3
	s_load_b96 s[28:30], s[0:1], 0x10
	v_add_nc_u64_e32 v[4:5], s[6:7], v[2:3]
	v_dual_lshlrev_b32 v9, 2, v15 :: v_dual_mov_b32 v7, v3
	v_lshlrev_b32_e32 v26, 2, v6
	v_lshl_or_b32 v24, v16, 7, v14
	v_lshl_add_u32 v27, v2, 5, 0x400
	v_lshlrev_b32_e32 v2, 2, v16
	v_mul_u64_e32 v[0:1], s[20:21], v[4:5]
	v_mul_u64_e32 v[4:5], s[14:15], v[4:5]
	v_mad_u32 v13, s25, v15, v13
	v_lshl_or_b32 v15, v8, 5, v9
	s_cmp_eq_f32 s33, 0
	s_delay_alu instid0(VALU_DEP_1)
	v_add_nc_u32_e32 v25, 0x400, v15
	s_wait_xcnt 0x0
	s_cselect_b32 s1, -1, 0
	s_lshl_b64 s[16:17], s[16:17], 2
	s_wait_kmcnt 0x0
	v_cmp_gt_i64_e64 s0, s[28:29], 0
	s_delay_alu instid0(VALU_DEP_4)
	v_add_nc_u64_e32 v[8:9], s[6:7], v[12:13]
	v_add_nc_u64_e32 v[12:13], s[34:35], v[6:7]
	s_lshl_b64 s[6:7], s[8:9], 2
	s_lshl_b64 s[8:9], s[14:15], 4
	;; [unrolled: 1-line block ×3, first 2 shown]
	v_cndmask_b32_e64 v16, 0, 1, s0
	s_delay_alu instid0(VALU_DEP_3)
	v_lshlrev_b64_e32 v[14:15], 2, v[8:9]
	v_lshl_add_u64 v[6:7], v[10:11], 2, s[6:7]
	v_lshlrev_b64_e32 v[8:9], 2, v[12:13]
	s_lshl_b64 s[6:7], s[20:21], 4
	v_cmp_ne_u32_e64 s0, 1, v16
	s_lshl_b64 s[20:21], s[22:23], 2
	v_add_nc_u64_e32 v[6:7], v[6:7], v[2:3]
	v_lshl_add_u64 v[10:11], s[26:27], 2, v[14:15]
	s_branch .LBB44_3
.LBB44_2:                               ;   in Loop: Header=BB44_3 Depth=1
	s_add_co_i32 s2, s2, 0x10000
	s_delay_alu instid0(SALU_CYCLE_1)
	s_cmp_lt_i32 s2, s31
	s_cbranch_scc0 .LBB44_10
.LBB44_3:                               ; =>This Loop Header: Depth=1
                                        ;     Child Loop BB44_5 Depth 2
	s_wait_xcnt 0x0
	v_dual_mov_b32 v2, s2 :: v_dual_mov_b32 v19, 0
	v_dual_mov_b32 v18, 0 :: v_dual_mov_b32 v15, 0
	v_mov_b32_e32 v14, 0
	s_clause 0x1
	global_load_b64 v[12:13], v2, s[12:13] scale_offset
	global_load_b64 v[16:17], v2, s[18:19] scale_offset
	s_and_b32 vcc_lo, exec_lo, s0
	s_cbranch_vccnz .LBB44_6
; %bb.4:                                ;   in Loop: Header=BB44_3 Depth=1
	s_lshl_b64 s[22:23], s[2:3], 3
	v_mov_b32_e32 v14, 0
	s_add_nc_u64 s[24:25], s[10:11], s[22:23]
	s_add_nc_u64 s[22:23], s[4:5], s[22:23]
	s_clause 0x1
	global_load_b64 v[18:19], v3, s[24:25]
	global_load_b64 v[22:23], v3, s[22:23]
	s_wait_xcnt 0x0
	s_mov_b64 s[22:23], 0
	v_mov_b32_e32 v15, v14
	s_wait_loadcnt 0x1
	v_add_nc_u64_e32 v[20:21], v[18:19], v[10:11]
	s_wait_loadcnt 0x0
	v_add_nc_u64_e32 v[22:23], v[22:23], v[6:7]
	v_dual_mov_b32 v18, v14 :: v_dual_mov_b32 v19, v14
.LBB44_5:                               ;   Parent Loop BB44_3 Depth=1
                                        ; =>  This Inner Loop Header: Depth=2
	flat_load_b32 v2, v[22:23]
	s_add_nc_u64 s[22:23], s[22:23], 8
	s_wait_xcnt 0x0
	v_add_nc_u64_e32 v[22:23], 32, v[22:23]
	v_cmp_lt_i64_e64 s24, s[22:23], s[28:29]
	s_and_b32 vcc_lo, exec_lo, s24
	s_wait_loadcnt_dscnt 0x0
	ds_store_b32 v24, v2
	flat_load_b32 v2, v[20:21]
	s_wait_xcnt 0x0
	v_add_nc_u64_e32 v[20:21], s[14:15], v[20:21]
	s_wait_loadcnt_dscnt 0x0
	ds_store_b32 v25, v2
	s_wait_dscnt 0x0
	s_barrier_signal -1
	s_barrier_wait -1
	ds_load_2addr_b32 v[44:45], v26 offset1:16
	ds_load_2addr_b32 v[46:47], v26 offset0:32 offset1:48
	ds_load_b128 v[28:31], v27
	ds_load_b128 v[32:35], v27 offset:512
	ds_load_2addr_b32 v[48:49], v26 offset0:64 offset1:80
	ds_load_2addr_b32 v[50:51], v26 offset0:96 offset1:112
	ds_load_b128 v[36:39], v27 offset:16
	ds_load_2addr_b32 v[52:53], v26 offset0:128 offset1:144
	ds_load_b128 v[40:43], v27 offset:528
	ds_load_2addr_b32 v[54:55], v26 offset0:160 offset1:176
	ds_load_2addr_b32 v[56:57], v26 offset0:192 offset1:208
	s_wait_dscnt 0x9
	v_dual_mov_b32 v60, v47 :: v_dual_mov_b32 v61, v46
	s_wait_dscnt 0x6
	v_dual_mov_b32 v2, v31 :: v_dual_mov_b32 v46, v49
	;; [unrolled: 2-line block ×3, first 2 shown]
	v_dual_mov_b32 v49, v50 :: v_dual_mov_b32 v58, v45
	v_mov_b32_e32 v59, v44
	ds_load_2addr_b32 v[44:45], v26 offset0:224 offset1:240
	s_wait_dscnt 0x0
	s_barrier_signal -1
	s_barrier_wait -1
	v_pk_fma_f32 v[18:19], v[58:59], v[28:29], v[18:19] op_sel_hi:[1,0,1]
	v_pk_fma_f32 v[14:15], v[58:59], v[32:33], v[14:15] op_sel_hi:[1,0,1]
	s_delay_alu instid0(VALU_DEP_2) | instskip(NEXT) | instid1(VALU_DEP_2)
	v_pk_fma_f32 v[18:19], v[60:61], v[28:29], v[18:19] op_sel:[0,1,0]
	v_pk_fma_f32 v[14:15], v[60:61], v[32:33], v[14:15] op_sel:[0,1,0]
	v_mov_b32_e32 v28, v35
	s_delay_alu instid0(VALU_DEP_3) | instskip(NEXT) | instid1(VALU_DEP_3)
	v_pk_fma_f32 v[18:19], v[46:47], v[30:31], v[18:19] op_sel_hi:[1,0,1]
	v_pk_fma_f32 v[14:15], v[46:47], v[34:35], v[14:15] op_sel_hi:[1,0,1]
	v_dual_mov_b32 v30, v53 :: v_dual_mov_b32 v31, v52
	s_delay_alu instid0(VALU_DEP_3) | instskip(NEXT) | instid1(VALU_DEP_3)
	v_pk_fma_f32 v[18:19], v[48:49], v[2:3], v[18:19] op_sel_hi:[1,0,1]
	v_pk_fma_f32 v[14:15], v[48:49], v[28:29], v[14:15] op_sel_hi:[1,0,1]
	v_dual_mov_b32 v28, v55 :: v_dual_mov_b32 v29, v54
	v_dual_mov_b32 v32, v45 :: v_dual_mov_b32 v33, v44
	s_delay_alu instid0(VALU_DEP_4) | instskip(NEXT) | instid1(VALU_DEP_4)
	v_pk_fma_f32 v[18:19], v[30:31], v[36:37], v[18:19] op_sel_hi:[1,0,1]
	v_pk_fma_f32 v[14:15], v[30:31], v[40:41], v[14:15] op_sel_hi:[1,0,1]
	v_dual_mov_b32 v30, v57 :: v_dual_mov_b32 v31, v56
	v_mov_b32_e32 v2, v39
	s_delay_alu instid0(VALU_DEP_4) | instskip(NEXT) | instid1(VALU_DEP_4)
	v_pk_fma_f32 v[18:19], v[28:29], v[36:37], v[18:19] op_sel:[0,1,0]
	v_pk_fma_f32 v[14:15], v[28:29], v[40:41], v[14:15] op_sel:[0,1,0]
	v_mov_b32_e32 v28, v43
	s_delay_alu instid0(VALU_DEP_3) | instskip(NEXT) | instid1(VALU_DEP_3)
	v_pk_fma_f32 v[18:19], v[30:31], v[38:39], v[18:19] op_sel_hi:[1,0,1]
	v_pk_fma_f32 v[14:15], v[30:31], v[42:43], v[14:15] op_sel_hi:[1,0,1]
	s_delay_alu instid0(VALU_DEP_2) | instskip(NEXT) | instid1(VALU_DEP_2)
	v_pk_fma_f32 v[18:19], v[32:33], v[2:3], v[18:19] op_sel_hi:[1,0,1]
	v_pk_fma_f32 v[14:15], v[32:33], v[28:29], v[14:15] op_sel_hi:[1,0,1]
	s_cbranch_vccnz .LBB44_5
.LBB44_6:                               ;   in Loop: Header=BB44_3 Depth=1
	s_wait_loadcnt 0x0
	v_add_nc_u64_e32 v[16:17], s[20:21], v[16:17]
	s_and_not1_b32 vcc_lo, exec_lo, s1
	s_delay_alu instid0(VALU_DEP_1) | instskip(NEXT) | instid1(VALU_DEP_1)
	v_lshl_add_u64 v[16:17], v[0:1], 2, v[16:17]
	v_add_nc_u64_e32 v[20:21], v[16:17], v[8:9]
	v_lshl_add_u64 v[16:17], s[6:7], 2, v[16:17]
	s_cbranch_vccnz .LBB44_8
; %bb.7:                                ;   in Loop: Header=BB44_3 Depth=1
	s_delay_alu instid0(VALU_DEP_1)
	v_add_nc_u64_e32 v[22:23], v[16:17], v[8:9]
	s_wait_xcnt 0x0
	v_dual_mul_f32 v2, s30, v19 :: v_dual_mul_f32 v28, s30, v18
	v_dual_mul_f32 v29, s30, v15 :: v_dual_mul_f32 v30, s30, v14
	s_clause 0x3
	flat_store_b32 v[20:21], v2
	flat_store_b32 v[20:21], v28 offset:64
	flat_store_b32 v[22:23], v29
	flat_store_b32 v[22:23], v30 offset:64
	s_cbranch_execnz .LBB44_2
	s_branch .LBB44_9
.LBB44_8:                               ;   in Loop: Header=BB44_3 Depth=1
.LBB44_9:                               ;   in Loop: Header=BB44_3 Depth=1
	v_add_nc_u64_e32 v[12:13], s[16:17], v[12:13]
	s_delay_alu instid0(VALU_DEP_2) | instskip(NEXT) | instid1(VALU_DEP_2)
	v_add_nc_u64_e32 v[16:17], v[16:17], v[8:9]
	v_lshl_add_u64 v[12:13], v[4:5], 2, v[12:13]
	s_wait_xcnt 0x0
	s_delay_alu instid0(VALU_DEP_1) | instskip(SKIP_1) | instid1(VALU_DEP_1)
	v_add_nc_u64_e32 v[22:23], v[12:13], v[8:9]
	v_lshl_add_u64 v[12:13], s[8:9], 2, v[12:13]
	v_add_nc_u64_e32 v[12:13], v[12:13], v[8:9]
	flat_load_b32 v2, v[22:23]
	s_wait_loadcnt_dscnt 0x0
	v_mul_f32_e32 v2, s33, v2
	s_delay_alu instid0(VALU_DEP_1) | instskip(SKIP_4) | instid1(VALU_DEP_1)
	v_fmac_f32_e32 v2, s30, v19
	flat_store_b32 v[20:21], v2
	flat_load_b32 v2, v[22:23] offset:64
	s_wait_loadcnt_dscnt 0x0
	v_mul_f32_e32 v2, s33, v2
	v_fmac_f32_e32 v2, s30, v18
	flat_store_b32 v[20:21], v2 offset:64
	flat_load_b32 v2, v[12:13]
	s_wait_loadcnt_dscnt 0x0
	v_mul_f32_e32 v2, s33, v2
	s_delay_alu instid0(VALU_DEP_1) | instskip(SKIP_4) | instid1(VALU_DEP_1)
	v_fmac_f32_e32 v2, s30, v15
	flat_store_b32 v[16:17], v2
	flat_load_b32 v2, v[12:13] offset:64
	s_wait_loadcnt_dscnt 0x0
	v_mul_f32_e32 v2, s33, v2
	v_fmac_f32_e32 v2, s30, v14
	flat_store_b32 v[16:17], v2 offset:64
	s_branch .LBB44_2
.LBB44_10:
	s_endpgm
	.section	.rodata,"a",@progbits
	.p2align	6, 0x0
	.amdhsa_kernel _ZN12_GLOBAL__N_127rocblas_gemm_batched_kernelIfLi16ELi16ELi32ELi32ELi8ELi32ELi8ELi8ELi32ELc67ELc84EKPKfS3_KPfEEvlllT_PT11_llS8_llS6_PT12_llPT13_lli
		.amdhsa_group_segment_fixed_size 2048
		.amdhsa_private_segment_fixed_size 0
		.amdhsa_kernarg_size 140
		.amdhsa_user_sgpr_count 2
		.amdhsa_user_sgpr_dispatch_ptr 0
		.amdhsa_user_sgpr_queue_ptr 0
		.amdhsa_user_sgpr_kernarg_segment_ptr 1
		.amdhsa_user_sgpr_dispatch_id 0
		.amdhsa_user_sgpr_kernarg_preload_length 0
		.amdhsa_user_sgpr_kernarg_preload_offset 0
		.amdhsa_user_sgpr_private_segment_size 0
		.amdhsa_wavefront_size32 1
		.amdhsa_uses_dynamic_stack 0
		.amdhsa_enable_private_segment 0
		.amdhsa_system_sgpr_workgroup_id_x 1
		.amdhsa_system_sgpr_workgroup_id_y 1
		.amdhsa_system_sgpr_workgroup_id_z 1
		.amdhsa_system_sgpr_workgroup_info 0
		.amdhsa_system_vgpr_workitem_id 1
		.amdhsa_next_free_vgpr 62
		.amdhsa_next_free_sgpr 36
		.amdhsa_named_barrier_count 0
		.amdhsa_reserve_vcc 1
		.amdhsa_float_round_mode_32 0
		.amdhsa_float_round_mode_16_64 0
		.amdhsa_float_denorm_mode_32 3
		.amdhsa_float_denorm_mode_16_64 3
		.amdhsa_fp16_overflow 0
		.amdhsa_memory_ordered 1
		.amdhsa_forward_progress 1
		.amdhsa_inst_pref_size 12
		.amdhsa_round_robin_scheduling 0
		.amdhsa_exception_fp_ieee_invalid_op 0
		.amdhsa_exception_fp_denorm_src 0
		.amdhsa_exception_fp_ieee_div_zero 0
		.amdhsa_exception_fp_ieee_overflow 0
		.amdhsa_exception_fp_ieee_underflow 0
		.amdhsa_exception_fp_ieee_inexact 0
		.amdhsa_exception_int_div_zero 0
	.end_amdhsa_kernel
	.section	.text._ZN12_GLOBAL__N_127rocblas_gemm_batched_kernelIfLi16ELi16ELi32ELi32ELi8ELi32ELi8ELi8ELi32ELc67ELc84EKPKfS3_KPfEEvlllT_PT11_llS8_llS6_PT12_llPT13_lli,"axG",@progbits,_ZN12_GLOBAL__N_127rocblas_gemm_batched_kernelIfLi16ELi16ELi32ELi32ELi8ELi32ELi8ELi8ELi32ELc67ELc84EKPKfS3_KPfEEvlllT_PT11_llS8_llS6_PT12_llPT13_lli,comdat
.Lfunc_end44:
	.size	_ZN12_GLOBAL__N_127rocblas_gemm_batched_kernelIfLi16ELi16ELi32ELi32ELi8ELi32ELi8ELi8ELi32ELc67ELc84EKPKfS3_KPfEEvlllT_PT11_llS8_llS6_PT12_llPT13_lli, .Lfunc_end44-_ZN12_GLOBAL__N_127rocblas_gemm_batched_kernelIfLi16ELi16ELi32ELi32ELi8ELi32ELi8ELi8ELi32ELc67ELc84EKPKfS3_KPfEEvlllT_PT11_llS8_llS6_PT12_llPT13_lli
                                        ; -- End function
	.set _ZN12_GLOBAL__N_127rocblas_gemm_batched_kernelIfLi16ELi16ELi32ELi32ELi8ELi32ELi8ELi8ELi32ELc67ELc84EKPKfS3_KPfEEvlllT_PT11_llS8_llS6_PT12_llPT13_lli.num_vgpr, 62
	.set _ZN12_GLOBAL__N_127rocblas_gemm_batched_kernelIfLi16ELi16ELi32ELi32ELi8ELi32ELi8ELi8ELi32ELc67ELc84EKPKfS3_KPfEEvlllT_PT11_llS8_llS6_PT12_llPT13_lli.num_agpr, 0
	.set _ZN12_GLOBAL__N_127rocblas_gemm_batched_kernelIfLi16ELi16ELi32ELi32ELi8ELi32ELi8ELi8ELi32ELc67ELc84EKPKfS3_KPfEEvlllT_PT11_llS8_llS6_PT12_llPT13_lli.numbered_sgpr, 36
	.set _ZN12_GLOBAL__N_127rocblas_gemm_batched_kernelIfLi16ELi16ELi32ELi32ELi8ELi32ELi8ELi8ELi32ELc67ELc84EKPKfS3_KPfEEvlllT_PT11_llS8_llS6_PT12_llPT13_lli.num_named_barrier, 0
	.set _ZN12_GLOBAL__N_127rocblas_gemm_batched_kernelIfLi16ELi16ELi32ELi32ELi8ELi32ELi8ELi8ELi32ELc67ELc84EKPKfS3_KPfEEvlllT_PT11_llS8_llS6_PT12_llPT13_lli.private_seg_size, 0
	.set _ZN12_GLOBAL__N_127rocblas_gemm_batched_kernelIfLi16ELi16ELi32ELi32ELi8ELi32ELi8ELi8ELi32ELc67ELc84EKPKfS3_KPfEEvlllT_PT11_llS8_llS6_PT12_llPT13_lli.uses_vcc, 1
	.set _ZN12_GLOBAL__N_127rocblas_gemm_batched_kernelIfLi16ELi16ELi32ELi32ELi8ELi32ELi8ELi8ELi32ELc67ELc84EKPKfS3_KPfEEvlllT_PT11_llS8_llS6_PT12_llPT13_lli.uses_flat_scratch, 1
	.set _ZN12_GLOBAL__N_127rocblas_gemm_batched_kernelIfLi16ELi16ELi32ELi32ELi8ELi32ELi8ELi8ELi32ELc67ELc84EKPKfS3_KPfEEvlllT_PT11_llS8_llS6_PT12_llPT13_lli.has_dyn_sized_stack, 0
	.set _ZN12_GLOBAL__N_127rocblas_gemm_batched_kernelIfLi16ELi16ELi32ELi32ELi8ELi32ELi8ELi8ELi32ELc67ELc84EKPKfS3_KPfEEvlllT_PT11_llS8_llS6_PT12_llPT13_lli.has_recursion, 0
	.set _ZN12_GLOBAL__N_127rocblas_gemm_batched_kernelIfLi16ELi16ELi32ELi32ELi8ELi32ELi8ELi8ELi32ELc67ELc84EKPKfS3_KPfEEvlllT_PT11_llS8_llS6_PT12_llPT13_lli.has_indirect_call, 0
	.section	.AMDGPU.csdata,"",@progbits
; Kernel info:
; codeLenInByte = 1448
; TotalNumSgprs: 38
; NumVgprs: 62
; ScratchSize: 0
; MemoryBound: 0
; FloatMode: 240
; IeeeMode: 1
; LDSByteSize: 2048 bytes/workgroup (compile time only)
; SGPRBlocks: 0
; VGPRBlocks: 3
; NumSGPRsForWavesPerEU: 38
; NumVGPRsForWavesPerEU: 62
; NamedBarCnt: 0
; Occupancy: 16
; WaveLimiterHint : 1
; COMPUTE_PGM_RSRC2:SCRATCH_EN: 0
; COMPUTE_PGM_RSRC2:USER_SGPR: 2
; COMPUTE_PGM_RSRC2:TRAP_HANDLER: 0
; COMPUTE_PGM_RSRC2:TGID_X_EN: 1
; COMPUTE_PGM_RSRC2:TGID_Y_EN: 1
; COMPUTE_PGM_RSRC2:TGID_Z_EN: 1
; COMPUTE_PGM_RSRC2:TIDIG_COMP_CNT: 1
	.section	.text._ZN12_GLOBAL__N_127rocblas_gemm_batched_kernelIfLi16ELi16ELi32ELi32ELi8ELi32ELi8ELi8ELi32ELc78ELc67EKPKfS3_KPfEEvlllT_PT11_llS8_llS6_PT12_llPT13_lli,"axG",@progbits,_ZN12_GLOBAL__N_127rocblas_gemm_batched_kernelIfLi16ELi16ELi32ELi32ELi8ELi32ELi8ELi8ELi32ELc78ELc67EKPKfS3_KPfEEvlllT_PT11_llS8_llS6_PT12_llPT13_lli,comdat
	.globl	_ZN12_GLOBAL__N_127rocblas_gemm_batched_kernelIfLi16ELi16ELi32ELi32ELi8ELi32ELi8ELi8ELi32ELc78ELc67EKPKfS3_KPfEEvlllT_PT11_llS8_llS6_PT12_llPT13_lli ; -- Begin function _ZN12_GLOBAL__N_127rocblas_gemm_batched_kernelIfLi16ELi16ELi32ELi32ELi8ELi32ELi8ELi8ELi32ELc78ELc67EKPKfS3_KPfEEvlllT_PT11_llS8_llS6_PT12_llPT13_lli
	.p2align	8
	.type	_ZN12_GLOBAL__N_127rocblas_gemm_batched_kernelIfLi16ELi16ELi32ELi32ELi8ELi32ELi8ELi8ELi32ELc78ELc67EKPKfS3_KPfEEvlllT_PT11_llS8_llS6_PT12_llPT13_lli,@function
_ZN12_GLOBAL__N_127rocblas_gemm_batched_kernelIfLi16ELi16ELi32ELi32ELi8ELi32ELi8ELi8ELi32ELc78ELc67EKPKfS3_KPfEEvlllT_PT11_llS8_llS6_PT12_llPT13_lli: ; @_ZN12_GLOBAL__N_127rocblas_gemm_batched_kernelIfLi16ELi16ELi32ELi32ELi8ELi32ELi8ELi8ELi32ELc78ELc67EKPKfS3_KPfEEvlllT_PT11_llS8_llS6_PT12_llPT13_lli
; %bb.0:
	s_load_b32 s31, s[0:1], 0x88
	s_bfe_u32 s2, ttmp6, 0x40014
	s_lshr_b32 s3, ttmp7, 16
	s_add_co_i32 s2, s2, 1
	s_bfe_u32 s4, ttmp6, 0x40008
	s_mul_i32 s2, s3, s2
	s_getreg_b32 s28, hwreg(HW_REG_IB_STS2, 6, 4)
	s_add_co_i32 s4, s4, s2
	s_cmp_eq_u32 s28, 0
	s_cselect_b32 s2, s3, s4
	s_mov_b32 s3, 0
	s_wait_kmcnt 0x0
	s_cmp_ge_i32 s2, s31
	s_cbranch_scc1 .LBB45_10
; %bb.1:
	s_clause 0x2
	s_load_b256 s[4:11], s[0:1], 0x20
	s_load_b128 s[24:27], s[0:1], 0x40
	s_load_b32 s33, s[0:1], 0x50
	v_bfe_u32 v2, v0, 10, 10
	v_and_b32_e32 v6, 0x3ff, v0
	s_bfe_u32 s29, ttmp6, 0x4000c
	s_bfe_u32 s34, ttmp6, 0x40010
	s_add_co_i32 s29, s29, 1
	s_and_b32 s35, ttmp7, 0xffff
	s_add_co_i32 s34, s34, 1
	v_lshl_add_u32 v1, v2, 4, v6
	v_dual_mov_b32 v3, 0 :: v_dual_bitop2_b32 v0, 7, v0 bitop3:0x40
	s_clause 0x1
	s_load_b128 s[20:23], s[0:1], 0x78
	s_load_b256 s[12:19], s[0:1], 0x58
	s_and_b32 s30, ttmp6, 15
	s_mul_i32 s29, ttmp9, s29
	s_mul_i32 s34, s35, s34
	s_bfe_u32 s36, ttmp6, 0x40004
	s_add_co_i32 s30, s30, s29
	s_add_co_i32 s36, s36, s34
	s_cmp_eq_u32 s28, 0
	v_dual_mov_b32 v9, v3 :: v_dual_lshrrev_b32 v8, 3, v1
	s_cselect_b32 s28, ttmp9, s30
	v_dual_lshrrev_b32 v16, 5, v1 :: v_dual_bitop2_b32 v14, 31, v1 bitop3:0x40
	s_cselect_b32 s30, s35, s36
	s_ashr_i32 s29, s28, 31
	s_wait_kmcnt 0x0
	v_mad_nc_u64_u32 v[10:11], s24, v0, v[8:9]
	s_lshl_b64 s[34:35], s[28:29], 5
	s_lshl_b32 s36, s30, 5
	s_mov_b32 s37, s3
	v_mad_nc_u64_u32 v[12:13], s6, v16, s[34:35]
	v_add_nc_u64_e32 v[4:5], s[36:37], v[2:3]
	s_load_b96 s[28:30], s[0:1], 0x10
	v_dual_lshlrev_b32 v7, 2, v0 :: v_dual_lshlrev_b32 v9, 2, v14
	v_dual_mov_b32 v15, v3 :: v_dual_lshlrev_b32 v26, 2, v6
	v_mad_u32 v11, s25, v0, v11
	s_delay_alu instid0(VALU_DEP_4)
	v_mul_u64_e32 v[0:1], s[20:21], v[4:5]
	v_mul_u64_e32 v[4:5], s[14:15], v[4:5]
	v_lshl_or_b32 v17, v8, 5, v7
	v_mad_u32 v13, s7, v16, v13
	v_mov_b32_e32 v7, v3
	v_lshl_or_b32 v24, v16, 7, v9
	s_cmp_eq_f32 s33, 0
	v_add_nc_u32_e32 v25, 0x400, v17
	v_lshl_add_u32 v2, v2, 5, 0x400
	v_add_nc_u64_e32 v[8:9], s[36:37], v[10:11]
	s_wait_xcnt 0x0
	s_cselect_b32 s1, -1, 0
	s_lshl_b64 s[20:21], s[20:21], 4
	s_lshl_b64 s[14:15], s[14:15], 4
	v_add_nc_u64_e32 v[10:11], v[12:13], v[14:15]
	s_wait_kmcnt 0x0
	v_cmp_gt_i64_e64 s0, s[28:29], 0
	v_add_nc_u64_e32 v[12:13], s[34:35], v[6:7]
	v_lshlrev_b64_e32 v[8:9], 2, v[8:9]
	s_lshl_b64 s[24:25], s[24:25], 5
	s_lshl_b64 s[6:7], s[6:7], 5
	;; [unrolled: 1-line block ×3, first 2 shown]
	v_lshlrev_b64_e32 v[10:11], 2, v[10:11]
	v_cndmask_b32_e64 v14, 0, 1, s0
	s_delay_alu instid0(VALU_DEP_3) | instskip(SKIP_1) | instid1(VALU_DEP_3)
	v_lshl_add_u64 v[6:7], s[26:27], 2, v[8:9]
	v_lshlrev_b64_e32 v[8:9], 2, v[12:13]
	v_cmp_ne_u32_e64 s0, 1, v14
	v_lshl_add_u64 v[10:11], s[8:9], 2, v[10:11]
	s_lshl_b64 s[8:9], s[22:23], 2
	s_branch .LBB45_3
.LBB45_2:                               ;   in Loop: Header=BB45_3 Depth=1
	s_add_co_i32 s2, s2, 0x10000
	s_delay_alu instid0(SALU_CYCLE_1)
	s_cmp_lt_i32 s2, s31
	s_cbranch_scc0 .LBB45_10
.LBB45_3:                               ; =>This Loop Header: Depth=1
                                        ;     Child Loop BB45_5 Depth 2
	v_dual_mov_b32 v14, s2 :: v_dual_mov_b32 v19, 0
	v_dual_mov_b32 v18, 0 :: v_dual_mov_b32 v15, 0
	s_and_b32 vcc_lo, exec_lo, s0
	s_clause 0x1
	global_load_b64 v[12:13], v14, s[12:13] scale_offset
	global_load_b64 v[16:17], v14, s[18:19] scale_offset
	s_wait_xcnt 0x0
	v_mov_b32_e32 v14, 0
	s_cbranch_vccnz .LBB45_6
; %bb.4:                                ;   in Loop: Header=BB45_3 Depth=1
	s_lshl_b64 s[22:23], s[2:3], 3
	v_mov_b32_e32 v14, 0
	s_add_nc_u64 s[26:27], s[10:11], s[22:23]
	s_add_nc_u64 s[22:23], s[4:5], s[22:23]
	s_clause 0x1
	global_load_b64 v[18:19], v3, s[26:27]
	global_load_b64 v[22:23], v3, s[22:23]
	s_wait_xcnt 0x0
	s_mov_b64 s[22:23], 0
	v_mov_b32_e32 v15, v14
	s_wait_loadcnt 0x1
	v_add_nc_u64_e32 v[20:21], v[18:19], v[6:7]
	s_wait_loadcnt 0x0
	v_add_nc_u64_e32 v[22:23], v[22:23], v[10:11]
	v_dual_mov_b32 v18, v14 :: v_dual_mov_b32 v19, v14
.LBB45_5:                               ;   Parent Loop BB45_3 Depth=1
                                        ; =>  This Inner Loop Header: Depth=2
	flat_load_b32 v27, v[22:23]
	s_add_nc_u64 s[22:23], s[22:23], 8
	s_wait_xcnt 0x0
	v_add_nc_u64_e32 v[22:23], s[6:7], v[22:23]
	v_cmp_lt_i64_e64 s26, s[22:23], s[28:29]
	s_and_b32 vcc_lo, exec_lo, s26
	s_wait_loadcnt_dscnt 0x0
	ds_store_b32 v24, v27
	flat_load_b32 v27, v[20:21]
	s_wait_xcnt 0x0
	v_add_nc_u64_e32 v[20:21], s[24:25], v[20:21]
	s_wait_loadcnt_dscnt 0x0
	ds_store_b32 v25, v27
	s_wait_dscnt 0x0
	s_barrier_signal -1
	s_barrier_wait -1
	ds_load_2addr_b32 v[44:45], v26 offset1:16
	ds_load_2addr_b32 v[46:47], v26 offset0:32 offset1:48
	ds_load_b128 v[28:31], v2
	ds_load_b128 v[32:35], v2 offset:512
	ds_load_2addr_b32 v[48:49], v26 offset0:64 offset1:80
	ds_load_2addr_b32 v[50:51], v26 offset0:96 offset1:112
	ds_load_b128 v[36:39], v2 offset:16
	ds_load_2addr_b32 v[52:53], v26 offset0:128 offset1:144
	ds_load_b128 v[40:43], v2 offset:528
	ds_load_2addr_b32 v[54:55], v26 offset0:160 offset1:176
	ds_load_2addr_b32 v[56:57], v26 offset0:192 offset1:208
	s_wait_dscnt 0x9
	v_dual_mov_b32 v60, v47 :: v_dual_mov_b32 v61, v46
	s_wait_dscnt 0x6
	v_dual_mov_b32 v46, v49 :: v_dual_mov_b32 v47, v48
	;; [unrolled: 2-line block ×3, first 2 shown]
	v_dual_mov_b32 v58, v45 :: v_dual_mov_b32 v59, v44
	ds_load_2addr_b32 v[44:45], v26 offset0:224 offset1:240
	s_wait_dscnt 0x0
	s_barrier_signal -1
	s_barrier_wait -1
	v_pk_fma_f32 v[18:19], v[58:59], v[28:29], v[18:19] op_sel_hi:[1,0,1]
	v_pk_fma_f32 v[14:15], v[58:59], v[32:33], v[14:15] op_sel_hi:[1,0,1]
	s_delay_alu instid0(VALU_DEP_2) | instskip(NEXT) | instid1(VALU_DEP_2)
	v_pk_fma_f32 v[18:19], v[60:61], v[28:29], v[18:19] op_sel:[0,1,0]
	v_pk_fma_f32 v[14:15], v[60:61], v[32:33], v[14:15] op_sel:[0,1,0]
	v_dual_mov_b32 v28, v31 :: v_dual_mov_b32 v32, v35
	s_delay_alu instid0(VALU_DEP_3) | instskip(NEXT) | instid1(VALU_DEP_3)
	v_pk_fma_f32 v[18:19], v[46:47], v[30:31], v[18:19] op_sel_hi:[1,0,1]
	v_pk_fma_f32 v[14:15], v[46:47], v[34:35], v[14:15] op_sel_hi:[1,0,1]
	v_dual_mov_b32 v30, v53 :: v_dual_mov_b32 v31, v52
	v_mov_b32_e32 v34, v43
	s_delay_alu instid0(VALU_DEP_4) | instskip(NEXT) | instid1(VALU_DEP_4)
	v_pk_fma_f32 v[18:19], v[48:49], v[28:29], v[18:19] op_sel_hi:[1,0,1]
	v_pk_fma_f32 v[14:15], v[48:49], v[32:33], v[14:15] op_sel_hi:[1,0,1]
	v_dual_mov_b32 v28, v55 :: v_dual_mov_b32 v29, v54
	v_dual_mov_b32 v32, v45 :: v_dual_mov_b32 v33, v44
	s_delay_alu instid0(VALU_DEP_4) | instskip(NEXT) | instid1(VALU_DEP_4)
	v_pk_fma_f32 v[18:19], v[30:31], v[36:37], v[18:19] op_sel_hi:[1,0,1]
	v_pk_fma_f32 v[14:15], v[30:31], v[40:41], v[14:15] op_sel_hi:[1,0,1]
	v_dual_mov_b32 v30, v57 :: v_dual_mov_b32 v31, v56
	s_delay_alu instid0(VALU_DEP_3) | instskip(NEXT) | instid1(VALU_DEP_3)
	v_pk_fma_f32 v[18:19], v[28:29], v[36:37], v[18:19] op_sel:[0,1,0]
	v_pk_fma_f32 v[14:15], v[28:29], v[40:41], v[14:15] op_sel:[0,1,0]
	v_mov_b32_e32 v28, v39
	s_delay_alu instid0(VALU_DEP_3) | instskip(NEXT) | instid1(VALU_DEP_3)
	v_pk_fma_f32 v[18:19], v[30:31], v[38:39], v[18:19] op_sel_hi:[1,0,1]
	v_pk_fma_f32 v[14:15], v[30:31], v[42:43], v[14:15] op_sel_hi:[1,0,1]
	s_delay_alu instid0(VALU_DEP_2) | instskip(NEXT) | instid1(VALU_DEP_2)
	v_pk_fma_f32 v[18:19], v[32:33], v[28:29], v[18:19] op_sel_hi:[1,0,1]
	v_pk_fma_f32 v[14:15], v[32:33], v[34:35], v[14:15] op_sel_hi:[1,0,1]
	s_cbranch_vccnz .LBB45_5
.LBB45_6:                               ;   in Loop: Header=BB45_3 Depth=1
	s_wait_loadcnt 0x0
	v_add_nc_u64_e32 v[16:17], s[8:9], v[16:17]
	s_and_not1_b32 vcc_lo, exec_lo, s1
	s_delay_alu instid0(VALU_DEP_1) | instskip(NEXT) | instid1(VALU_DEP_1)
	v_lshl_add_u64 v[16:17], v[0:1], 2, v[16:17]
	v_add_nc_u64_e32 v[20:21], v[16:17], v[8:9]
	v_lshl_add_u64 v[16:17], s[20:21], 2, v[16:17]
	s_cbranch_vccnz .LBB45_8
; %bb.7:                                ;   in Loop: Header=BB45_3 Depth=1
	s_delay_alu instid0(VALU_DEP_1)
	v_add_nc_u64_e32 v[22:23], v[16:17], v[8:9]
	v_dual_mul_f32 v27, s30, v19 :: v_dual_mul_f32 v28, s30, v18
	v_dual_mul_f32 v29, s30, v15 :: v_dual_mul_f32 v30, s30, v14
	s_clause 0x3
	flat_store_b32 v[20:21], v27
	flat_store_b32 v[20:21], v28 offset:64
	flat_store_b32 v[22:23], v29
	flat_store_b32 v[22:23], v30 offset:64
	s_cbranch_execnz .LBB45_2
	s_branch .LBB45_9
.LBB45_8:                               ;   in Loop: Header=BB45_3 Depth=1
.LBB45_9:                               ;   in Loop: Header=BB45_3 Depth=1
	v_add_nc_u64_e32 v[12:13], s[16:17], v[12:13]
	s_delay_alu instid0(VALU_DEP_2) | instskip(NEXT) | instid1(VALU_DEP_2)
	v_add_nc_u64_e32 v[16:17], v[16:17], v[8:9]
	v_lshl_add_u64 v[12:13], v[4:5], 2, v[12:13]
	s_wait_xcnt 0x0
	s_delay_alu instid0(VALU_DEP_1) | instskip(SKIP_1) | instid1(VALU_DEP_1)
	v_add_nc_u64_e32 v[22:23], v[12:13], v[8:9]
	v_lshl_add_u64 v[12:13], s[14:15], 2, v[12:13]
	v_add_nc_u64_e32 v[12:13], v[12:13], v[8:9]
	flat_load_b32 v27, v[22:23]
	s_wait_loadcnt_dscnt 0x0
	v_mul_f32_e32 v27, s33, v27
	s_delay_alu instid0(VALU_DEP_1) | instskip(SKIP_4) | instid1(VALU_DEP_1)
	v_fmac_f32_e32 v27, s30, v19
	flat_store_b32 v[20:21], v27
	flat_load_b32 v19, v[22:23] offset:64
	s_wait_loadcnt_dscnt 0x0
	v_mul_f32_e32 v19, s33, v19
	v_fmac_f32_e32 v19, s30, v18
	flat_store_b32 v[20:21], v19 offset:64
	flat_load_b32 v18, v[12:13]
	s_wait_loadcnt_dscnt 0x0
	v_mul_f32_e32 v18, s33, v18
	s_delay_alu instid0(VALU_DEP_1)
	v_fmac_f32_e32 v18, s30, v15
	flat_store_b32 v[16:17], v18
	flat_load_b32 v12, v[12:13] offset:64
	s_wait_loadcnt_dscnt 0x0
	s_wait_xcnt 0x0
	v_mul_f32_e32 v12, s33, v12
	s_delay_alu instid0(VALU_DEP_1)
	v_fmac_f32_e32 v12, s30, v14
	flat_store_b32 v[16:17], v12 offset:64
	s_branch .LBB45_2
.LBB45_10:
	s_endpgm
	.section	.rodata,"a",@progbits
	.p2align	6, 0x0
	.amdhsa_kernel _ZN12_GLOBAL__N_127rocblas_gemm_batched_kernelIfLi16ELi16ELi32ELi32ELi8ELi32ELi8ELi8ELi32ELc78ELc67EKPKfS3_KPfEEvlllT_PT11_llS8_llS6_PT12_llPT13_lli
		.amdhsa_group_segment_fixed_size 2048
		.amdhsa_private_segment_fixed_size 0
		.amdhsa_kernarg_size 140
		.amdhsa_user_sgpr_count 2
		.amdhsa_user_sgpr_dispatch_ptr 0
		.amdhsa_user_sgpr_queue_ptr 0
		.amdhsa_user_sgpr_kernarg_segment_ptr 1
		.amdhsa_user_sgpr_dispatch_id 0
		.amdhsa_user_sgpr_kernarg_preload_length 0
		.amdhsa_user_sgpr_kernarg_preload_offset 0
		.amdhsa_user_sgpr_private_segment_size 0
		.amdhsa_wavefront_size32 1
		.amdhsa_uses_dynamic_stack 0
		.amdhsa_enable_private_segment 0
		.amdhsa_system_sgpr_workgroup_id_x 1
		.amdhsa_system_sgpr_workgroup_id_y 1
		.amdhsa_system_sgpr_workgroup_id_z 1
		.amdhsa_system_sgpr_workgroup_info 0
		.amdhsa_system_vgpr_workitem_id 1
		.amdhsa_next_free_vgpr 62
		.amdhsa_next_free_sgpr 38
		.amdhsa_named_barrier_count 0
		.amdhsa_reserve_vcc 1
		.amdhsa_float_round_mode_32 0
		.amdhsa_float_round_mode_16_64 0
		.amdhsa_float_denorm_mode_32 3
		.amdhsa_float_denorm_mode_16_64 3
		.amdhsa_fp16_overflow 0
		.amdhsa_memory_ordered 1
		.amdhsa_forward_progress 1
		.amdhsa_inst_pref_size 12
		.amdhsa_round_robin_scheduling 0
		.amdhsa_exception_fp_ieee_invalid_op 0
		.amdhsa_exception_fp_denorm_src 0
		.amdhsa_exception_fp_ieee_div_zero 0
		.amdhsa_exception_fp_ieee_overflow 0
		.amdhsa_exception_fp_ieee_underflow 0
		.amdhsa_exception_fp_ieee_inexact 0
		.amdhsa_exception_int_div_zero 0
	.end_amdhsa_kernel
	.section	.text._ZN12_GLOBAL__N_127rocblas_gemm_batched_kernelIfLi16ELi16ELi32ELi32ELi8ELi32ELi8ELi8ELi32ELc78ELc67EKPKfS3_KPfEEvlllT_PT11_llS8_llS6_PT12_llPT13_lli,"axG",@progbits,_ZN12_GLOBAL__N_127rocblas_gemm_batched_kernelIfLi16ELi16ELi32ELi32ELi8ELi32ELi8ELi8ELi32ELc78ELc67EKPKfS3_KPfEEvlllT_PT11_llS8_llS6_PT12_llPT13_lli,comdat
.Lfunc_end45:
	.size	_ZN12_GLOBAL__N_127rocblas_gemm_batched_kernelIfLi16ELi16ELi32ELi32ELi8ELi32ELi8ELi8ELi32ELc78ELc67EKPKfS3_KPfEEvlllT_PT11_llS8_llS6_PT12_llPT13_lli, .Lfunc_end45-_ZN12_GLOBAL__N_127rocblas_gemm_batched_kernelIfLi16ELi16ELi32ELi32ELi8ELi32ELi8ELi8ELi32ELc78ELc67EKPKfS3_KPfEEvlllT_PT11_llS8_llS6_PT12_llPT13_lli
                                        ; -- End function
	.set _ZN12_GLOBAL__N_127rocblas_gemm_batched_kernelIfLi16ELi16ELi32ELi32ELi8ELi32ELi8ELi8ELi32ELc78ELc67EKPKfS3_KPfEEvlllT_PT11_llS8_llS6_PT12_llPT13_lli.num_vgpr, 62
	.set _ZN12_GLOBAL__N_127rocblas_gemm_batched_kernelIfLi16ELi16ELi32ELi32ELi8ELi32ELi8ELi8ELi32ELc78ELc67EKPKfS3_KPfEEvlllT_PT11_llS8_llS6_PT12_llPT13_lli.num_agpr, 0
	.set _ZN12_GLOBAL__N_127rocblas_gemm_batched_kernelIfLi16ELi16ELi32ELi32ELi8ELi32ELi8ELi8ELi32ELc78ELc67EKPKfS3_KPfEEvlllT_PT11_llS8_llS6_PT12_llPT13_lli.numbered_sgpr, 38
	.set _ZN12_GLOBAL__N_127rocblas_gemm_batched_kernelIfLi16ELi16ELi32ELi32ELi8ELi32ELi8ELi8ELi32ELc78ELc67EKPKfS3_KPfEEvlllT_PT11_llS8_llS6_PT12_llPT13_lli.num_named_barrier, 0
	.set _ZN12_GLOBAL__N_127rocblas_gemm_batched_kernelIfLi16ELi16ELi32ELi32ELi8ELi32ELi8ELi8ELi32ELc78ELc67EKPKfS3_KPfEEvlllT_PT11_llS8_llS6_PT12_llPT13_lli.private_seg_size, 0
	.set _ZN12_GLOBAL__N_127rocblas_gemm_batched_kernelIfLi16ELi16ELi32ELi32ELi8ELi32ELi8ELi8ELi32ELc78ELc67EKPKfS3_KPfEEvlllT_PT11_llS8_llS6_PT12_llPT13_lli.uses_vcc, 1
	.set _ZN12_GLOBAL__N_127rocblas_gemm_batched_kernelIfLi16ELi16ELi32ELi32ELi8ELi32ELi8ELi8ELi32ELc78ELc67EKPKfS3_KPfEEvlllT_PT11_llS8_llS6_PT12_llPT13_lli.uses_flat_scratch, 1
	.set _ZN12_GLOBAL__N_127rocblas_gemm_batched_kernelIfLi16ELi16ELi32ELi32ELi8ELi32ELi8ELi8ELi32ELc78ELc67EKPKfS3_KPfEEvlllT_PT11_llS8_llS6_PT12_llPT13_lli.has_dyn_sized_stack, 0
	.set _ZN12_GLOBAL__N_127rocblas_gemm_batched_kernelIfLi16ELi16ELi32ELi32ELi8ELi32ELi8ELi8ELi32ELc78ELc67EKPKfS3_KPfEEvlllT_PT11_llS8_llS6_PT12_llPT13_lli.has_recursion, 0
	.set _ZN12_GLOBAL__N_127rocblas_gemm_batched_kernelIfLi16ELi16ELi32ELi32ELi8ELi32ELi8ELi8ELi32ELc78ELc67EKPKfS3_KPfEEvlllT_PT11_llS8_llS6_PT12_llPT13_lli.has_indirect_call, 0
	.section	.AMDGPU.csdata,"",@progbits
; Kernel info:
; codeLenInByte = 1444
; TotalNumSgprs: 40
; NumVgprs: 62
; ScratchSize: 0
; MemoryBound: 0
; FloatMode: 240
; IeeeMode: 1
; LDSByteSize: 2048 bytes/workgroup (compile time only)
; SGPRBlocks: 0
; VGPRBlocks: 3
; NumSGPRsForWavesPerEU: 40
; NumVGPRsForWavesPerEU: 62
; NamedBarCnt: 0
; Occupancy: 16
; WaveLimiterHint : 1
; COMPUTE_PGM_RSRC2:SCRATCH_EN: 0
; COMPUTE_PGM_RSRC2:USER_SGPR: 2
; COMPUTE_PGM_RSRC2:TRAP_HANDLER: 0
; COMPUTE_PGM_RSRC2:TGID_X_EN: 1
; COMPUTE_PGM_RSRC2:TGID_Y_EN: 1
; COMPUTE_PGM_RSRC2:TGID_Z_EN: 1
; COMPUTE_PGM_RSRC2:TIDIG_COMP_CNT: 1
	.section	.text._ZN12_GLOBAL__N_127rocblas_gemm_batched_kernelIfLi16ELi16ELi32ELi32ELi8ELi32ELi8ELi8ELi32ELc84ELc67EKPKfS3_KPfEEvlllT_PT11_llS8_llS6_PT12_llPT13_lli,"axG",@progbits,_ZN12_GLOBAL__N_127rocblas_gemm_batched_kernelIfLi16ELi16ELi32ELi32ELi8ELi32ELi8ELi8ELi32ELc84ELc67EKPKfS3_KPfEEvlllT_PT11_llS8_llS6_PT12_llPT13_lli,comdat
	.globl	_ZN12_GLOBAL__N_127rocblas_gemm_batched_kernelIfLi16ELi16ELi32ELi32ELi8ELi32ELi8ELi8ELi32ELc84ELc67EKPKfS3_KPfEEvlllT_PT11_llS8_llS6_PT12_llPT13_lli ; -- Begin function _ZN12_GLOBAL__N_127rocblas_gemm_batched_kernelIfLi16ELi16ELi32ELi32ELi8ELi32ELi8ELi8ELi32ELc84ELc67EKPKfS3_KPfEEvlllT_PT11_llS8_llS6_PT12_llPT13_lli
	.p2align	8
	.type	_ZN12_GLOBAL__N_127rocblas_gemm_batched_kernelIfLi16ELi16ELi32ELi32ELi8ELi32ELi8ELi8ELi32ELc84ELc67EKPKfS3_KPfEEvlllT_PT11_llS8_llS6_PT12_llPT13_lli,@function
_ZN12_GLOBAL__N_127rocblas_gemm_batched_kernelIfLi16ELi16ELi32ELi32ELi8ELi32ELi8ELi8ELi32ELc84ELc67EKPKfS3_KPfEEvlllT_PT11_llS8_llS6_PT12_llPT13_lli: ; @_ZN12_GLOBAL__N_127rocblas_gemm_batched_kernelIfLi16ELi16ELi32ELi32ELi8ELi32ELi8ELi8ELi32ELc84ELc67EKPKfS3_KPfEEvlllT_PT11_llS8_llS6_PT12_llPT13_lli
; %bb.0:
	s_load_b32 s31, s[0:1], 0x88
	s_bfe_u32 s2, ttmp6, 0x40014
	s_lshr_b32 s3, ttmp7, 16
	s_add_co_i32 s2, s2, 1
	s_bfe_u32 s4, ttmp6, 0x40008
	s_mul_i32 s2, s3, s2
	s_getreg_b32 s28, hwreg(HW_REG_IB_STS2, 6, 4)
	s_add_co_i32 s4, s4, s2
	s_cmp_eq_u32 s28, 0
	s_cselect_b32 s2, s3, s4
	s_mov_b32 s3, 0
	s_wait_kmcnt 0x0
	s_cmp_ge_i32 s2, s31
	s_cbranch_scc1 .LBB46_10
; %bb.1:
	v_bfe_u32 v2, v0, 10, 10
	v_and_b32_e32 v6, 0x3ff, v0
	s_bfe_u32 s29, ttmp6, 0x4000c
	s_bfe_u32 s33, ttmp6, 0x40010
	s_add_co_i32 s29, s29, 1
	s_and_b32 s34, ttmp7, 0xffff
	s_add_co_i32 s33, s33, 1
	s_clause 0x3
	s_load_b256 s[4:11], s[0:1], 0x20
	s_load_b128 s[24:27], s[0:1], 0x40
	s_load_b128 s[20:23], s[0:1], 0x78
	s_load_b256 s[12:19], s[0:1], 0x58
	s_and_b32 s30, ttmp6, 15
	s_mul_i32 s29, ttmp9, s29
	s_mul_i32 s33, s34, s33
	s_bfe_u32 s35, ttmp6, 0x40004
	v_lshl_add_u32 v7, v2, 4, v6
	s_add_co_i32 s30, s30, s29
	s_add_co_i32 s35, s35, s33
	s_cmp_eq_u32 s28, 0
	s_delay_alu instid0(VALU_DEP_1)
	v_dual_mov_b32 v3, 0 :: v_dual_bitop2_b32 v14, 31, v7 bitop3:0x40
	s_cselect_b32 s28, ttmp9, s30
	s_cselect_b32 s30, s34, s35
	s_ashr_i32 s29, s28, 31
	v_lshrrev_b32_e32 v8, 3, v7
	s_lshl_b64 s[34:35], s[28:29], 5
	s_delay_alu instid0(SALU_CYCLE_1)
	v_dual_mov_b32 v1, s35 :: v_dual_bitop2_b32 v15, 7, v0 bitop3:0x40
	v_dual_mov_b32 v9, v3 :: v_dual_bitop2_b32 v0, s34, v14 bitop3:0x54
	v_lshrrev_b32_e32 v16, 5, v7
	s_load_b32 s33, s[0:1], 0x50
	v_lshlrev_b32_e32 v14, 2, v14
	s_wait_kmcnt 0x0
	v_mul_u64_e32 v[10:11], s[6:7], v[0:1]
	s_lshl_b32 s6, s30, 5
	v_mad_nc_u64_u32 v[12:13], s24, v15, v[8:9]
	s_mov_b32 s7, s3
	s_load_b96 s[28:30], s[0:1], 0x10
	v_add_nc_u64_e32 v[4:5], s[6:7], v[2:3]
	v_dual_lshlrev_b32 v9, 2, v15 :: v_dual_mov_b32 v7, v3
	v_lshlrev_b32_e32 v26, 2, v6
	v_lshl_or_b32 v24, v16, 7, v14
	v_lshl_add_u32 v27, v2, 5, 0x400
	v_lshlrev_b32_e32 v2, 2, v16
	v_mul_u64_e32 v[0:1], s[20:21], v[4:5]
	v_mul_u64_e32 v[4:5], s[14:15], v[4:5]
	v_mad_u32 v13, s25, v15, v13
	v_lshl_or_b32 v15, v8, 5, v9
	s_cmp_eq_f32 s33, 0
	s_delay_alu instid0(VALU_DEP_1)
	v_add_nc_u32_e32 v25, 0x400, v15
	s_wait_xcnt 0x0
	s_cselect_b32 s1, -1, 0
	s_lshl_b64 s[16:17], s[16:17], 2
	s_wait_kmcnt 0x0
	v_cmp_gt_i64_e64 s0, s[28:29], 0
	s_delay_alu instid0(VALU_DEP_4)
	v_add_nc_u64_e32 v[8:9], s[6:7], v[12:13]
	v_add_nc_u64_e32 v[12:13], s[34:35], v[6:7]
	s_lshl_b64 s[6:7], s[8:9], 2
	s_lshl_b64 s[8:9], s[14:15], 4
	;; [unrolled: 1-line block ×3, first 2 shown]
	v_cndmask_b32_e64 v16, 0, 1, s0
	s_delay_alu instid0(VALU_DEP_3)
	v_lshlrev_b64_e32 v[14:15], 2, v[8:9]
	v_lshl_add_u64 v[6:7], v[10:11], 2, s[6:7]
	v_lshlrev_b64_e32 v[8:9], 2, v[12:13]
	s_lshl_b64 s[6:7], s[20:21], 4
	v_cmp_ne_u32_e64 s0, 1, v16
	s_lshl_b64 s[20:21], s[22:23], 2
	v_add_nc_u64_e32 v[6:7], v[6:7], v[2:3]
	v_lshl_add_u64 v[10:11], s[26:27], 2, v[14:15]
	s_branch .LBB46_3
.LBB46_2:                               ;   in Loop: Header=BB46_3 Depth=1
	s_add_co_i32 s2, s2, 0x10000
	s_delay_alu instid0(SALU_CYCLE_1)
	s_cmp_lt_i32 s2, s31
	s_cbranch_scc0 .LBB46_10
.LBB46_3:                               ; =>This Loop Header: Depth=1
                                        ;     Child Loop BB46_5 Depth 2
	s_wait_xcnt 0x0
	v_dual_mov_b32 v2, s2 :: v_dual_mov_b32 v19, 0
	v_dual_mov_b32 v18, 0 :: v_dual_mov_b32 v15, 0
	v_mov_b32_e32 v14, 0
	s_clause 0x1
	global_load_b64 v[12:13], v2, s[12:13] scale_offset
	global_load_b64 v[16:17], v2, s[18:19] scale_offset
	s_and_b32 vcc_lo, exec_lo, s0
	s_cbranch_vccnz .LBB46_6
; %bb.4:                                ;   in Loop: Header=BB46_3 Depth=1
	s_lshl_b64 s[22:23], s[2:3], 3
	v_mov_b32_e32 v14, 0
	s_add_nc_u64 s[24:25], s[10:11], s[22:23]
	s_add_nc_u64 s[22:23], s[4:5], s[22:23]
	s_clause 0x1
	global_load_b64 v[18:19], v3, s[24:25]
	global_load_b64 v[22:23], v3, s[22:23]
	s_wait_xcnt 0x0
	s_mov_b64 s[22:23], 0
	v_mov_b32_e32 v15, v14
	s_wait_loadcnt 0x1
	v_add_nc_u64_e32 v[20:21], v[18:19], v[10:11]
	s_wait_loadcnt 0x0
	v_add_nc_u64_e32 v[22:23], v[22:23], v[6:7]
	v_dual_mov_b32 v18, v14 :: v_dual_mov_b32 v19, v14
.LBB46_5:                               ;   Parent Loop BB46_3 Depth=1
                                        ; =>  This Inner Loop Header: Depth=2
	flat_load_b32 v2, v[22:23]
	s_add_nc_u64 s[22:23], s[22:23], 8
	s_wait_xcnt 0x0
	v_add_nc_u64_e32 v[22:23], 32, v[22:23]
	v_cmp_lt_i64_e64 s24, s[22:23], s[28:29]
	s_and_b32 vcc_lo, exec_lo, s24
	s_wait_loadcnt_dscnt 0x0
	ds_store_b32 v24, v2
	flat_load_b32 v2, v[20:21]
	s_wait_xcnt 0x0
	v_add_nc_u64_e32 v[20:21], s[14:15], v[20:21]
	s_wait_loadcnt_dscnt 0x0
	ds_store_b32 v25, v2
	s_wait_dscnt 0x0
	s_barrier_signal -1
	s_barrier_wait -1
	ds_load_2addr_b32 v[44:45], v26 offset1:16
	ds_load_2addr_b32 v[46:47], v26 offset0:32 offset1:48
	ds_load_b128 v[28:31], v27
	ds_load_b128 v[32:35], v27 offset:512
	ds_load_2addr_b32 v[48:49], v26 offset0:64 offset1:80
	ds_load_2addr_b32 v[50:51], v26 offset0:96 offset1:112
	ds_load_b128 v[36:39], v27 offset:16
	ds_load_2addr_b32 v[52:53], v26 offset0:128 offset1:144
	ds_load_b128 v[40:43], v27 offset:528
	ds_load_2addr_b32 v[54:55], v26 offset0:160 offset1:176
	ds_load_2addr_b32 v[56:57], v26 offset0:192 offset1:208
	s_wait_dscnt 0x9
	v_dual_mov_b32 v60, v47 :: v_dual_mov_b32 v61, v46
	s_wait_dscnt 0x6
	v_dual_mov_b32 v2, v31 :: v_dual_mov_b32 v46, v49
	;; [unrolled: 2-line block ×3, first 2 shown]
	v_dual_mov_b32 v49, v50 :: v_dual_mov_b32 v58, v45
	v_mov_b32_e32 v59, v44
	ds_load_2addr_b32 v[44:45], v26 offset0:224 offset1:240
	s_wait_dscnt 0x0
	s_barrier_signal -1
	s_barrier_wait -1
	v_pk_fma_f32 v[18:19], v[58:59], v[28:29], v[18:19] op_sel_hi:[1,0,1]
	v_pk_fma_f32 v[14:15], v[58:59], v[32:33], v[14:15] op_sel_hi:[1,0,1]
	s_delay_alu instid0(VALU_DEP_2) | instskip(NEXT) | instid1(VALU_DEP_2)
	v_pk_fma_f32 v[18:19], v[60:61], v[28:29], v[18:19] op_sel:[0,1,0]
	v_pk_fma_f32 v[14:15], v[60:61], v[32:33], v[14:15] op_sel:[0,1,0]
	v_mov_b32_e32 v28, v35
	s_delay_alu instid0(VALU_DEP_3) | instskip(NEXT) | instid1(VALU_DEP_3)
	v_pk_fma_f32 v[18:19], v[46:47], v[30:31], v[18:19] op_sel_hi:[1,0,1]
	v_pk_fma_f32 v[14:15], v[46:47], v[34:35], v[14:15] op_sel_hi:[1,0,1]
	v_dual_mov_b32 v30, v53 :: v_dual_mov_b32 v31, v52
	s_delay_alu instid0(VALU_DEP_3) | instskip(NEXT) | instid1(VALU_DEP_3)
	v_pk_fma_f32 v[18:19], v[48:49], v[2:3], v[18:19] op_sel_hi:[1,0,1]
	v_pk_fma_f32 v[14:15], v[48:49], v[28:29], v[14:15] op_sel_hi:[1,0,1]
	v_dual_mov_b32 v28, v55 :: v_dual_mov_b32 v29, v54
	v_dual_mov_b32 v32, v45 :: v_dual_mov_b32 v33, v44
	s_delay_alu instid0(VALU_DEP_4) | instskip(NEXT) | instid1(VALU_DEP_4)
	v_pk_fma_f32 v[18:19], v[30:31], v[36:37], v[18:19] op_sel_hi:[1,0,1]
	v_pk_fma_f32 v[14:15], v[30:31], v[40:41], v[14:15] op_sel_hi:[1,0,1]
	v_dual_mov_b32 v30, v57 :: v_dual_mov_b32 v31, v56
	v_mov_b32_e32 v2, v39
	s_delay_alu instid0(VALU_DEP_4) | instskip(NEXT) | instid1(VALU_DEP_4)
	v_pk_fma_f32 v[18:19], v[28:29], v[36:37], v[18:19] op_sel:[0,1,0]
	v_pk_fma_f32 v[14:15], v[28:29], v[40:41], v[14:15] op_sel:[0,1,0]
	v_mov_b32_e32 v28, v43
	s_delay_alu instid0(VALU_DEP_3) | instskip(NEXT) | instid1(VALU_DEP_3)
	v_pk_fma_f32 v[18:19], v[30:31], v[38:39], v[18:19] op_sel_hi:[1,0,1]
	v_pk_fma_f32 v[14:15], v[30:31], v[42:43], v[14:15] op_sel_hi:[1,0,1]
	s_delay_alu instid0(VALU_DEP_2) | instskip(NEXT) | instid1(VALU_DEP_2)
	v_pk_fma_f32 v[18:19], v[32:33], v[2:3], v[18:19] op_sel_hi:[1,0,1]
	v_pk_fma_f32 v[14:15], v[32:33], v[28:29], v[14:15] op_sel_hi:[1,0,1]
	s_cbranch_vccnz .LBB46_5
.LBB46_6:                               ;   in Loop: Header=BB46_3 Depth=1
	s_wait_loadcnt 0x0
	v_add_nc_u64_e32 v[16:17], s[20:21], v[16:17]
	s_and_not1_b32 vcc_lo, exec_lo, s1
	s_delay_alu instid0(VALU_DEP_1) | instskip(NEXT) | instid1(VALU_DEP_1)
	v_lshl_add_u64 v[16:17], v[0:1], 2, v[16:17]
	v_add_nc_u64_e32 v[20:21], v[16:17], v[8:9]
	v_lshl_add_u64 v[16:17], s[6:7], 2, v[16:17]
	s_cbranch_vccnz .LBB46_8
; %bb.7:                                ;   in Loop: Header=BB46_3 Depth=1
	s_delay_alu instid0(VALU_DEP_1)
	v_add_nc_u64_e32 v[22:23], v[16:17], v[8:9]
	s_wait_xcnt 0x0
	v_dual_mul_f32 v2, s30, v19 :: v_dual_mul_f32 v28, s30, v18
	v_dual_mul_f32 v29, s30, v15 :: v_dual_mul_f32 v30, s30, v14
	s_clause 0x3
	flat_store_b32 v[20:21], v2
	flat_store_b32 v[20:21], v28 offset:64
	flat_store_b32 v[22:23], v29
	flat_store_b32 v[22:23], v30 offset:64
	s_cbranch_execnz .LBB46_2
	s_branch .LBB46_9
.LBB46_8:                               ;   in Loop: Header=BB46_3 Depth=1
.LBB46_9:                               ;   in Loop: Header=BB46_3 Depth=1
	v_add_nc_u64_e32 v[12:13], s[16:17], v[12:13]
	s_delay_alu instid0(VALU_DEP_2) | instskip(NEXT) | instid1(VALU_DEP_2)
	v_add_nc_u64_e32 v[16:17], v[16:17], v[8:9]
	v_lshl_add_u64 v[12:13], v[4:5], 2, v[12:13]
	s_wait_xcnt 0x0
	s_delay_alu instid0(VALU_DEP_1) | instskip(SKIP_1) | instid1(VALU_DEP_1)
	v_add_nc_u64_e32 v[22:23], v[12:13], v[8:9]
	v_lshl_add_u64 v[12:13], s[8:9], 2, v[12:13]
	v_add_nc_u64_e32 v[12:13], v[12:13], v[8:9]
	flat_load_b32 v2, v[22:23]
	s_wait_loadcnt_dscnt 0x0
	v_mul_f32_e32 v2, s33, v2
	s_delay_alu instid0(VALU_DEP_1) | instskip(SKIP_4) | instid1(VALU_DEP_1)
	v_fmac_f32_e32 v2, s30, v19
	flat_store_b32 v[20:21], v2
	flat_load_b32 v2, v[22:23] offset:64
	s_wait_loadcnt_dscnt 0x0
	v_mul_f32_e32 v2, s33, v2
	v_fmac_f32_e32 v2, s30, v18
	flat_store_b32 v[20:21], v2 offset:64
	flat_load_b32 v2, v[12:13]
	s_wait_loadcnt_dscnt 0x0
	v_mul_f32_e32 v2, s33, v2
	s_delay_alu instid0(VALU_DEP_1) | instskip(SKIP_4) | instid1(VALU_DEP_1)
	v_fmac_f32_e32 v2, s30, v15
	flat_store_b32 v[16:17], v2
	flat_load_b32 v2, v[12:13] offset:64
	s_wait_loadcnt_dscnt 0x0
	v_mul_f32_e32 v2, s33, v2
	v_fmac_f32_e32 v2, s30, v14
	flat_store_b32 v[16:17], v2 offset:64
	s_branch .LBB46_2
.LBB46_10:
	s_endpgm
	.section	.rodata,"a",@progbits
	.p2align	6, 0x0
	.amdhsa_kernel _ZN12_GLOBAL__N_127rocblas_gemm_batched_kernelIfLi16ELi16ELi32ELi32ELi8ELi32ELi8ELi8ELi32ELc84ELc67EKPKfS3_KPfEEvlllT_PT11_llS8_llS6_PT12_llPT13_lli
		.amdhsa_group_segment_fixed_size 2048
		.amdhsa_private_segment_fixed_size 0
		.amdhsa_kernarg_size 140
		.amdhsa_user_sgpr_count 2
		.amdhsa_user_sgpr_dispatch_ptr 0
		.amdhsa_user_sgpr_queue_ptr 0
		.amdhsa_user_sgpr_kernarg_segment_ptr 1
		.amdhsa_user_sgpr_dispatch_id 0
		.amdhsa_user_sgpr_kernarg_preload_length 0
		.amdhsa_user_sgpr_kernarg_preload_offset 0
		.amdhsa_user_sgpr_private_segment_size 0
		.amdhsa_wavefront_size32 1
		.amdhsa_uses_dynamic_stack 0
		.amdhsa_enable_private_segment 0
		.amdhsa_system_sgpr_workgroup_id_x 1
		.amdhsa_system_sgpr_workgroup_id_y 1
		.amdhsa_system_sgpr_workgroup_id_z 1
		.amdhsa_system_sgpr_workgroup_info 0
		.amdhsa_system_vgpr_workitem_id 1
		.amdhsa_next_free_vgpr 62
		.amdhsa_next_free_sgpr 36
		.amdhsa_named_barrier_count 0
		.amdhsa_reserve_vcc 1
		.amdhsa_float_round_mode_32 0
		.amdhsa_float_round_mode_16_64 0
		.amdhsa_float_denorm_mode_32 3
		.amdhsa_float_denorm_mode_16_64 3
		.amdhsa_fp16_overflow 0
		.amdhsa_memory_ordered 1
		.amdhsa_forward_progress 1
		.amdhsa_inst_pref_size 12
		.amdhsa_round_robin_scheduling 0
		.amdhsa_exception_fp_ieee_invalid_op 0
		.amdhsa_exception_fp_denorm_src 0
		.amdhsa_exception_fp_ieee_div_zero 0
		.amdhsa_exception_fp_ieee_overflow 0
		.amdhsa_exception_fp_ieee_underflow 0
		.amdhsa_exception_fp_ieee_inexact 0
		.amdhsa_exception_int_div_zero 0
	.end_amdhsa_kernel
	.section	.text._ZN12_GLOBAL__N_127rocblas_gemm_batched_kernelIfLi16ELi16ELi32ELi32ELi8ELi32ELi8ELi8ELi32ELc84ELc67EKPKfS3_KPfEEvlllT_PT11_llS8_llS6_PT12_llPT13_lli,"axG",@progbits,_ZN12_GLOBAL__N_127rocblas_gemm_batched_kernelIfLi16ELi16ELi32ELi32ELi8ELi32ELi8ELi8ELi32ELc84ELc67EKPKfS3_KPfEEvlllT_PT11_llS8_llS6_PT12_llPT13_lli,comdat
.Lfunc_end46:
	.size	_ZN12_GLOBAL__N_127rocblas_gemm_batched_kernelIfLi16ELi16ELi32ELi32ELi8ELi32ELi8ELi8ELi32ELc84ELc67EKPKfS3_KPfEEvlllT_PT11_llS8_llS6_PT12_llPT13_lli, .Lfunc_end46-_ZN12_GLOBAL__N_127rocblas_gemm_batched_kernelIfLi16ELi16ELi32ELi32ELi8ELi32ELi8ELi8ELi32ELc84ELc67EKPKfS3_KPfEEvlllT_PT11_llS8_llS6_PT12_llPT13_lli
                                        ; -- End function
	.set _ZN12_GLOBAL__N_127rocblas_gemm_batched_kernelIfLi16ELi16ELi32ELi32ELi8ELi32ELi8ELi8ELi32ELc84ELc67EKPKfS3_KPfEEvlllT_PT11_llS8_llS6_PT12_llPT13_lli.num_vgpr, 62
	.set _ZN12_GLOBAL__N_127rocblas_gemm_batched_kernelIfLi16ELi16ELi32ELi32ELi8ELi32ELi8ELi8ELi32ELc84ELc67EKPKfS3_KPfEEvlllT_PT11_llS8_llS6_PT12_llPT13_lli.num_agpr, 0
	.set _ZN12_GLOBAL__N_127rocblas_gemm_batched_kernelIfLi16ELi16ELi32ELi32ELi8ELi32ELi8ELi8ELi32ELc84ELc67EKPKfS3_KPfEEvlllT_PT11_llS8_llS6_PT12_llPT13_lli.numbered_sgpr, 36
	.set _ZN12_GLOBAL__N_127rocblas_gemm_batched_kernelIfLi16ELi16ELi32ELi32ELi8ELi32ELi8ELi8ELi32ELc84ELc67EKPKfS3_KPfEEvlllT_PT11_llS8_llS6_PT12_llPT13_lli.num_named_barrier, 0
	.set _ZN12_GLOBAL__N_127rocblas_gemm_batched_kernelIfLi16ELi16ELi32ELi32ELi8ELi32ELi8ELi8ELi32ELc84ELc67EKPKfS3_KPfEEvlllT_PT11_llS8_llS6_PT12_llPT13_lli.private_seg_size, 0
	.set _ZN12_GLOBAL__N_127rocblas_gemm_batched_kernelIfLi16ELi16ELi32ELi32ELi8ELi32ELi8ELi8ELi32ELc84ELc67EKPKfS3_KPfEEvlllT_PT11_llS8_llS6_PT12_llPT13_lli.uses_vcc, 1
	.set _ZN12_GLOBAL__N_127rocblas_gemm_batched_kernelIfLi16ELi16ELi32ELi32ELi8ELi32ELi8ELi8ELi32ELc84ELc67EKPKfS3_KPfEEvlllT_PT11_llS8_llS6_PT12_llPT13_lli.uses_flat_scratch, 1
	.set _ZN12_GLOBAL__N_127rocblas_gemm_batched_kernelIfLi16ELi16ELi32ELi32ELi8ELi32ELi8ELi8ELi32ELc84ELc67EKPKfS3_KPfEEvlllT_PT11_llS8_llS6_PT12_llPT13_lli.has_dyn_sized_stack, 0
	.set _ZN12_GLOBAL__N_127rocblas_gemm_batched_kernelIfLi16ELi16ELi32ELi32ELi8ELi32ELi8ELi8ELi32ELc84ELc67EKPKfS3_KPfEEvlllT_PT11_llS8_llS6_PT12_llPT13_lli.has_recursion, 0
	.set _ZN12_GLOBAL__N_127rocblas_gemm_batched_kernelIfLi16ELi16ELi32ELi32ELi8ELi32ELi8ELi8ELi32ELc84ELc67EKPKfS3_KPfEEvlllT_PT11_llS8_llS6_PT12_llPT13_lli.has_indirect_call, 0
	.section	.AMDGPU.csdata,"",@progbits
; Kernel info:
; codeLenInByte = 1448
; TotalNumSgprs: 38
; NumVgprs: 62
; ScratchSize: 0
; MemoryBound: 0
; FloatMode: 240
; IeeeMode: 1
; LDSByteSize: 2048 bytes/workgroup (compile time only)
; SGPRBlocks: 0
; VGPRBlocks: 3
; NumSGPRsForWavesPerEU: 38
; NumVGPRsForWavesPerEU: 62
; NamedBarCnt: 0
; Occupancy: 16
; WaveLimiterHint : 1
; COMPUTE_PGM_RSRC2:SCRATCH_EN: 0
; COMPUTE_PGM_RSRC2:USER_SGPR: 2
; COMPUTE_PGM_RSRC2:TRAP_HANDLER: 0
; COMPUTE_PGM_RSRC2:TGID_X_EN: 1
; COMPUTE_PGM_RSRC2:TGID_Y_EN: 1
; COMPUTE_PGM_RSRC2:TGID_Z_EN: 1
; COMPUTE_PGM_RSRC2:TIDIG_COMP_CNT: 1
	.section	.text._ZN12_GLOBAL__N_135rocblas_gemm_batched_general_kernelIfLi16ELi16ELi32ELi32ELi8ELi32ELi8ELi8ELi32ELc78ELc78EKPKfS3_KPfEEvlllT_PT11_llS8_llS6_PT12_llPT13_lli,"axG",@progbits,_ZN12_GLOBAL__N_135rocblas_gemm_batched_general_kernelIfLi16ELi16ELi32ELi32ELi8ELi32ELi8ELi8ELi32ELc78ELc78EKPKfS3_KPfEEvlllT_PT11_llS8_llS6_PT12_llPT13_lli,comdat
	.globl	_ZN12_GLOBAL__N_135rocblas_gemm_batched_general_kernelIfLi16ELi16ELi32ELi32ELi8ELi32ELi8ELi8ELi32ELc78ELc78EKPKfS3_KPfEEvlllT_PT11_llS8_llS6_PT12_llPT13_lli ; -- Begin function _ZN12_GLOBAL__N_135rocblas_gemm_batched_general_kernelIfLi16ELi16ELi32ELi32ELi8ELi32ELi8ELi8ELi32ELc78ELc78EKPKfS3_KPfEEvlllT_PT11_llS8_llS6_PT12_llPT13_lli
	.p2align	8
	.type	_ZN12_GLOBAL__N_135rocblas_gemm_batched_general_kernelIfLi16ELi16ELi32ELi32ELi8ELi32ELi8ELi8ELi32ELc78ELc78EKPKfS3_KPfEEvlllT_PT11_llS8_llS6_PT12_llPT13_lli,@function
_ZN12_GLOBAL__N_135rocblas_gemm_batched_general_kernelIfLi16ELi16ELi32ELi32ELi8ELi32ELi8ELi8ELi32ELc78ELc78EKPKfS3_KPfEEvlllT_PT11_llS8_llS6_PT12_llPT13_lli: ; @_ZN12_GLOBAL__N_135rocblas_gemm_batched_general_kernelIfLi16ELi16ELi32ELi32ELi8ELi32ELi8ELi8ELi32ELc78ELc78EKPKfS3_KPfEEvlllT_PT11_llS8_llS6_PT12_llPT13_lli
; %bb.0:
	s_load_b32 s33, s[0:1], 0x88
	s_bfe_u32 s2, ttmp6, 0x40014
	s_lshr_b32 s3, ttmp7, 16
	s_add_co_i32 s2, s2, 1
	s_bfe_u32 s5, ttmp6, 0x40008
	s_mul_i32 s4, s3, s2
	s_getreg_b32 s2, hwreg(HW_REG_IB_STS2, 6, 4)
	s_add_co_i32 s5, s5, s4
	s_cmp_eq_u32 s2, 0
	s_mov_b32 s35, 0
	s_cselect_b32 s34, s3, s5
	s_wait_kmcnt 0x0
	s_cmp_ge_i32 s34, s33
	s_cbranch_scc1 .LBB47_34
; %bb.1:
	v_bfe_u32 v10, v0, 10, 10
	v_and_b32_e32 v12, 0x3ff, v0
	s_clause 0x1
	s_load_b128 s[24:27], s[0:1], 0x40
	s_load_b32 s41, s[0:1], 0x50
	s_bfe_u32 s16, ttmp6, 0x4000c
	s_bfe_u32 s17, ttmp6, 0x40010
	s_clause 0x2
	s_load_b128 s[4:7], s[0:1], 0x0
	s_load_b96 s[36:38], s[0:1], 0x10
	s_load_b256 s[8:15], s[0:1], 0x20
	s_add_co_i32 s16, s16, 1
	s_and_b32 s18, ttmp7, 0xffff
	s_add_co_i32 s17, s17, 1
	v_lshl_add_u32 v1, v10, 4, v12
	v_mov_b32_e32 v3, 0
	s_and_b32 s3, ttmp6, 15
	s_mul_i32 s16, ttmp9, s16
	s_mul_i32 s17, s18, s17
	s_bfe_u32 s19, ttmp6, 0x40004
	s_add_co_i32 s3, s3, s16
	s_add_co_i32 s19, s19, s17
	s_cmp_eq_u32 s2, 0
	v_dual_mov_b32 v5, v3 :: v_dual_lshrrev_b32 v4, 3, v1
	v_mov_b32_e32 v11, v3
	s_cselect_b32 s2, s18, s19
	s_cselect_b32 s42, ttmp9, s3
	s_lshl_b32 s2, s2, 5
	s_mov_b32 s3, s35
	s_clause 0x1
	s_load_b128 s[28:31], s[0:1], 0x78
	s_load_b256 s[16:23], s[0:1], 0x58
	v_add_nc_u64_e32 v[14:15], s[2:3], v[4:5]
	v_dual_lshrrev_b32 v2, 5, v1 :: v_dual_bitop2_b32 v5, 31, v1 bitop3:0x40
	s_ashr_i32 s43, s42, 31
	v_dual_mov_b32 v13, v3 :: v_dual_bitop2_b32 v0, 7, v0 bitop3:0x40
	v_add_nc_u64_e32 v[22:23], s[2:3], v[10:11]
	s_wait_kmcnt 0x0
	s_delay_alu instid0(VALU_DEP_4)
	v_mul_u64_e32 v[16:17], s[24:25], v[14:15]
	v_mul_u64_e32 v[18:19], s[10:11], v[2:3]
	s_lshl_b64 s[24:25], s[42:43], 5
	v_dual_lshlrev_b32 v20, 2, v0 :: v_dual_lshlrev_b32 v24, 2, v5
	v_dual_mov_b32 v7, s25 :: v_dual_bitop2_b32 v6, s24, v5 bitop3:0x54
	v_cmp_gt_i64_e64 s1, s[6:7], v[14:15]
	s_delay_alu instid0(VALU_DEP_3)
	v_lshl_or_b32 v11, v4, 5, v20
	v_add_nc_u64_e32 v[4:5], s[24:25], v[12:13]
	v_add_nc_u64_e32 v[26:27], 16, v[22:23]
	v_cmp_gt_i64_e64 s0, s[4:5], v[6:7]
	v_mul_u64_e32 v[6:7], s[28:29], v[22:23]
	v_mul_u64_e32 v[8:9], s[18:19], v[22:23]
	s_cmp_eq_f32 s41, 0
	v_cmp_gt_i64_e64 s2, s[6:7], v[22:23]
	v_add_nc_u64_e32 v[14:15], 16, v[4:5]
	v_cmp_gt_i64_e64 s3, s[4:5], v[4:5]
	s_cselect_b32 s39, -1, 0
	s_lshl_b64 s[24:25], s[42:43], 7
	s_lshl_b64 s[12:13], s[12:13], 2
	v_add_nc_u32_e32 v29, 0x400, v11
	v_lshl_add_u32 v31, v10, 5, 0x400
	v_cmp_gt_i64_e64 s4, s[4:5], v[14:15]
	v_cmp_gt_i64_e64 s5, s[6:7], v[26:27]
	s_lshl_b64 s[6:7], s[26:27], 2
	v_dual_mov_b32 v1, v3 :: v_dual_lshlrev_b32 v30, 2, v12
	v_dual_mov_b32 v21, v3 :: v_dual_mov_b32 v25, v3
	v_cmp_gt_i64_e64 s26, s[36:37], 0
	v_lshl_or_b32 v28, v2, 7, v24
	v_lshl_add_u64 v[10:11], v[16:17], 2, s[6:7]
	s_add_nc_u64 s[6:7], s[12:13], s[24:25]
	s_mov_b32 s40, s38
	v_lshl_add_u64 v[12:13], v[18:19], 2, s[6:7]
	s_lshl_b64 s[6:7], s[28:29], 4
	v_add_nc_u64_e32 v[10:11], v[10:11], v[20:21]
	s_lshl_b64 s[12:13], s[18:19], 4
	s_lshl_b64 s[10:11], s[10:11], 5
	v_add_nc_u64_e32 v[12:13], v[12:13], v[24:25]
	s_lshl_b64 s[18:19], s[30:31], 2
	s_lshl_b64 s[20:21], s[20:21], 2
	s_branch .LBB47_4
.LBB47_2:                               ;   in Loop: Header=BB47_4 Depth=1
	s_wait_xcnt 0x0
	s_or_b32 exec_lo, exec_lo, s24
.LBB47_3:                               ;   in Loop: Header=BB47_4 Depth=1
	s_add_co_i32 s34, s34, 0x10000
	s_delay_alu instid0(SALU_CYCLE_1)
	s_cmp_lt_i32 s34, s33
	s_cbranch_scc0 .LBB47_34
.LBB47_4:                               ; =>This Loop Header: Depth=1
                                        ;     Child Loop BB47_7 Depth 2
	v_dual_mov_b32 v14, s34 :: v_dual_mov_b32 v19, 0
	v_dual_mov_b32 v18, 0 :: v_dual_mov_b32 v15, 0
	s_and_not1_b32 vcc_lo, exec_lo, s26
	s_clause 0x1
	global_load_b64 v[16:17], v14, s[16:17] scale_offset
	global_load_b64 v[20:21], v14, s[22:23] scale_offset
	s_wait_xcnt 0x0
	v_mov_b32_e32 v14, 0
	s_cbranch_vccnz .LBB47_11
; %bb.5:                                ;   in Loop: Header=BB47_4 Depth=1
	s_lshl_b64 s[24:25], s[34:35], 3
	v_mov_b32_e32 v18, 0
	s_add_nc_u64 s[28:29], s[14:15], s[24:25]
	s_add_nc_u64 s[24:25], s[8:9], s[24:25]
	s_clause 0x1
	global_load_b64 v[14:15], v3, s[28:29]
	global_load_b64 v[24:25], v3, s[24:25]
	s_wait_xcnt 0x0
	s_mov_b64 s[24:25], 0
	v_mov_b32_e32 v19, v18
	s_wait_loadcnt 0x1
	v_add_nc_u64_e32 v[22:23], v[14:15], v[10:11]
	s_wait_loadcnt 0x0
	v_add_nc_u64_e32 v[24:25], v[24:25], v[12:13]
	v_dual_mov_b32 v14, v18 :: v_dual_mov_b32 v15, v18
	s_branch .LBB47_7
.LBB47_6:                               ;   in Loop: Header=BB47_7 Depth=2
	s_wait_xcnt 0x0
	s_or_b32 exec_lo, exec_lo, s27
	s_wait_loadcnt_dscnt 0x0
	ds_store_b32 v29, v27
	s_wait_dscnt 0x0
	s_barrier_signal -1
	s_barrier_wait -1
	ds_load_b128 v[32:35], v31
	ds_load_2addr_b32 v[26:27], v30 offset1:16
	ds_load_b128 v[36:39], v31 offset:512
	ds_load_2addr_b32 v[48:49], v30 offset0:32 offset1:48
	ds_load_2addr_b32 v[50:51], v30 offset0:64 offset1:80
	ds_load_2addr_b32 v[52:53], v30 offset0:96 offset1:112
	ds_load_b128 v[40:43], v31 offset:16
	ds_load_2addr_b32 v[54:55], v30 offset0:128 offset1:144
	ds_load_b128 v[44:47], v31 offset:528
	s_add_nc_u64 s[24:25], s[24:25], 8
	v_add_nc_u64_e32 v[22:23], 32, v[22:23]
	v_cmp_lt_i64_e64 s27, s[24:25], s[36:37]
	v_add_nc_u64_e32 v[24:25], s[10:11], v[24:25]
	s_and_b32 vcc_lo, exec_lo, s27
	s_wait_dscnt 0x7
	v_pk_fma_f32 v[18:19], v[26:27], v[32:33], v[18:19] op_sel_hi:[1,0,1]
	s_wait_dscnt 0x6
	v_pk_fma_f32 v[14:15], v[26:27], v[36:37], v[14:15] op_sel_hi:[1,0,1]
	ds_load_2addr_b32 v[26:27], v30 offset0:160 offset1:176
	s_wait_dscnt 0x6
	v_pk_fma_f32 v[18:19], v[48:49], v[32:33], v[18:19] op_sel:[0,1,0]
	v_pk_fma_f32 v[14:15], v[48:49], v[36:37], v[14:15] op_sel:[0,1,0]
	ds_load_2addr_b32 v[32:33], v30 offset0:192 offset1:208
	v_dual_mov_b32 v36, v35 :: v_dual_mov_b32 v48, v39
	s_wait_dscnt 0x6
	v_pk_fma_f32 v[18:19], v[50:51], v[34:35], v[18:19] op_sel_hi:[1,0,1]
	v_pk_fma_f32 v[14:15], v[50:51], v[38:39], v[14:15] op_sel_hi:[1,0,1]
	ds_load_2addr_b32 v[34:35], v30 offset0:224 offset1:240
	s_wait_dscnt 0x0
	s_barrier_signal -1
	v_pk_fma_f32 v[18:19], v[52:53], v[36:37], v[18:19] op_sel_hi:[1,0,1]
	v_pk_fma_f32 v[14:15], v[52:53], v[48:49], v[14:15] op_sel_hi:[1,0,1]
	s_barrier_wait -1
	v_mov_b32_e32 v36, v47
	s_delay_alu instid0(VALU_DEP_3) | instskip(NEXT) | instid1(VALU_DEP_3)
	v_pk_fma_f32 v[18:19], v[54:55], v[40:41], v[18:19] op_sel_hi:[1,0,1]
	v_pk_fma_f32 v[14:15], v[54:55], v[44:45], v[14:15] op_sel_hi:[1,0,1]
	s_delay_alu instid0(VALU_DEP_2) | instskip(NEXT) | instid1(VALU_DEP_2)
	v_pk_fma_f32 v[18:19], v[26:27], v[40:41], v[18:19] op_sel:[0,1,0]
	v_pk_fma_f32 v[14:15], v[26:27], v[44:45], v[14:15] op_sel:[0,1,0]
	v_mov_b32_e32 v26, v43
	s_delay_alu instid0(VALU_DEP_3) | instskip(NEXT) | instid1(VALU_DEP_3)
	v_pk_fma_f32 v[18:19], v[32:33], v[42:43], v[18:19] op_sel_hi:[1,0,1]
	v_pk_fma_f32 v[14:15], v[32:33], v[46:47], v[14:15] op_sel_hi:[1,0,1]
	s_delay_alu instid0(VALU_DEP_2) | instskip(NEXT) | instid1(VALU_DEP_2)
	v_pk_fma_f32 v[18:19], v[34:35], v[26:27], v[18:19] op_sel_hi:[1,0,1]
	v_pk_fma_f32 v[14:15], v[34:35], v[36:37], v[14:15] op_sel_hi:[1,0,1]
	s_cbranch_vccz .LBB47_11
.LBB47_7:                               ;   Parent Loop BB47_4 Depth=1
                                        ; =>  This Inner Loop Header: Depth=2
	v_add_nc_u64_e32 v[26:27], s[24:25], v[2:3]
	s_delay_alu instid0(VALU_DEP_1) | instskip(SKIP_2) | instid1(SALU_CYCLE_1)
	v_cmp_gt_i64_e32 vcc_lo, s[36:37], v[26:27]
	v_mov_b32_e32 v26, 0
	s_and_b32 s28, s0, vcc_lo
	s_and_saveexec_b32 s27, s28
	s_cbranch_execz .LBB47_9
; %bb.8:                                ;   in Loop: Header=BB47_7 Depth=2
	flat_load_b32 v26, v[24:25]
.LBB47_9:                               ;   in Loop: Header=BB47_7 Depth=2
	s_wait_xcnt 0x0
	s_or_b32 exec_lo, exec_lo, s27
	v_add_nc_u64_e32 v[32:33], s[24:25], v[0:1]
	v_mov_b32_e32 v27, 0
	s_wait_loadcnt_dscnt 0x0
	ds_store_b32 v28, v26
	v_cmp_gt_i64_e32 vcc_lo, s[36:37], v[32:33]
	s_and_b32 s28, vcc_lo, s1
	s_delay_alu instid0(SALU_CYCLE_1)
	s_and_saveexec_b32 s27, s28
	s_cbranch_execz .LBB47_6
; %bb.10:                               ;   in Loop: Header=BB47_7 Depth=2
	flat_load_b32 v27, v[22:23]
	s_branch .LBB47_6
.LBB47_11:                              ;   in Loop: Header=BB47_4 Depth=1
	s_wait_loadcnt 0x0
	v_add_nc_u64_e32 v[20:21], s[18:19], v[20:21]
	s_and_not1_b32 vcc_lo, exec_lo, s39
	s_cbranch_vccnz .LBB47_16
; %bb.12:                               ;   in Loop: Header=BB47_4 Depth=1
	s_and_saveexec_b32 s24, s2
	s_cbranch_execz .LBB47_23
; %bb.13:                               ;   in Loop: Header=BB47_4 Depth=1
	s_delay_alu instid0(VALU_DEP_1) | instskip(NEXT) | instid1(VALU_DEP_1)
	v_lshl_add_u64 v[22:23], v[6:7], 2, v[20:21]
	v_lshl_add_u64 v[24:25], v[4:5], 2, v[22:23]
	s_and_saveexec_b32 s25, s3
	s_cbranch_execnz .LBB47_17
; %bb.14:                               ;   in Loop: Header=BB47_4 Depth=1
	s_or_b32 exec_lo, exec_lo, s25
	s_and_saveexec_b32 s25, s4
	s_cbranch_execnz .LBB47_18
.LBB47_15:                              ;   in Loop: Header=BB47_4 Depth=1
	s_or_b32 exec_lo, exec_lo, s25
	s_delay_alu instid0(SALU_CYCLE_1)
	s_and_b32 exec_lo, exec_lo, s5
	s_cbranch_execnz .LBB47_19
	s_branch .LBB47_23
.LBB47_16:                              ;   in Loop: Header=BB47_4 Depth=1
	s_branch .LBB47_24
.LBB47_17:                              ;   in Loop: Header=BB47_4 Depth=1
	v_mul_f32_e32 v26, s38, v18
	flat_store_b32 v[24:25], v26
	s_wait_xcnt 0x0
	s_or_b32 exec_lo, exec_lo, s25
	s_and_saveexec_b32 s25, s4
	s_cbranch_execz .LBB47_15
.LBB47_18:                              ;   in Loop: Header=BB47_4 Depth=1
	v_mul_f32_e32 v26, s38, v19
	flat_store_b32 v[24:25], v26 offset:64
	s_wait_xcnt 0x0
	s_or_b32 exec_lo, exec_lo, s25
	s_delay_alu instid0(SALU_CYCLE_1)
	s_and_b32 exec_lo, exec_lo, s5
	s_cbranch_execz .LBB47_23
.LBB47_19:                              ;   in Loop: Header=BB47_4 Depth=1
	v_lshl_add_u64 v[22:23], s[6:7], 2, v[22:23]
	s_delay_alu instid0(VALU_DEP_1)
	v_lshl_add_u64 v[22:23], v[4:5], 2, v[22:23]
	s_and_saveexec_b32 s25, s3
	s_cbranch_execz .LBB47_21
; %bb.20:                               ;   in Loop: Header=BB47_4 Depth=1
	v_mul_f32_e32 v24, s38, v14
	flat_store_b32 v[22:23], v24
.LBB47_21:                              ;   in Loop: Header=BB47_4 Depth=1
	s_wait_xcnt 0x0
	s_or_b32 exec_lo, exec_lo, s25
	s_delay_alu instid0(SALU_CYCLE_1)
	s_and_b32 exec_lo, exec_lo, s4
	s_cbranch_execz .LBB47_23
; %bb.22:                               ;   in Loop: Header=BB47_4 Depth=1
	v_mul_f32_e32 v24, s38, v15
	flat_store_b32 v[22:23], v24 offset:64
.LBB47_23:                              ;   in Loop: Header=BB47_4 Depth=1
	s_wait_xcnt 0x0
	s_or_b32 exec_lo, exec_lo, s24
	s_cbranch_execnz .LBB47_3
.LBB47_24:                              ;   in Loop: Header=BB47_4 Depth=1
	s_and_saveexec_b32 s24, s2
	s_cbranch_execz .LBB47_2
; %bb.25:                               ;   in Loop: Header=BB47_4 Depth=1
	v_add_nc_u64_e32 v[22:23], s[20:21], v[16:17]
	v_lshlrev_b64_e32 v[16:17], 2, v[4:5]
	v_lshl_add_u64 v[20:21], v[6:7], 2, v[20:21]
	s_delay_alu instid0(VALU_DEP_3) | instskip(NEXT) | instid1(VALU_DEP_2)
	v_lshl_add_u64 v[22:23], v[8:9], 2, v[22:23]
	v_add_nc_u64_e32 v[24:25], v[20:21], v[16:17]
	s_delay_alu instid0(VALU_DEP_2)
	v_add_nc_u64_e32 v[26:27], v[22:23], v[16:17]
	s_and_saveexec_b32 s25, s3
	s_cbranch_execnz .LBB47_28
; %bb.26:                               ;   in Loop: Header=BB47_4 Depth=1
	s_or_b32 exec_lo, exec_lo, s25
	s_and_saveexec_b32 s25, s4
	s_cbranch_execnz .LBB47_29
.LBB47_27:                              ;   in Loop: Header=BB47_4 Depth=1
	s_or_b32 exec_lo, exec_lo, s25
	s_delay_alu instid0(SALU_CYCLE_1)
	s_and_b32 exec_lo, exec_lo, s5
	s_cbranch_execz .LBB47_2
	s_branch .LBB47_30
.LBB47_28:                              ;   in Loop: Header=BB47_4 Depth=1
	flat_load_b32 v33, v[26:27]
	v_mov_b64_e32 v[34:35], s[40:41]
	v_mov_b32_e32 v32, v18
	s_wait_loadcnt_dscnt 0x0
	s_delay_alu instid0(VALU_DEP_1) | instskip(NEXT) | instid1(VALU_DEP_1)
	v_pk_mul_f32 v[32:33], v[34:35], v[32:33]
	v_add_f32_e32 v18, v32, v33
	flat_store_b32 v[24:25], v18
	s_wait_xcnt 0x0
	s_or_b32 exec_lo, exec_lo, s25
	s_and_saveexec_b32 s25, s4
	s_cbranch_execz .LBB47_27
.LBB47_29:                              ;   in Loop: Header=BB47_4 Depth=1
	flat_load_b32 v27, v[26:27] offset:64
	s_wait_xcnt 0x0
	v_mov_b32_e32 v26, v19
	v_mov_b64_e32 v[18:19], s[40:41]
	s_wait_loadcnt_dscnt 0x0
	s_delay_alu instid0(VALU_DEP_1) | instskip(NEXT) | instid1(VALU_DEP_1)
	v_pk_mul_f32 v[18:19], v[18:19], v[26:27]
	v_add_f32_e32 v18, v18, v19
	flat_store_b32 v[24:25], v18 offset:64
	s_wait_xcnt 0x0
	s_or_b32 exec_lo, exec_lo, s25
	s_delay_alu instid0(SALU_CYCLE_1)
	s_and_b32 exec_lo, exec_lo, s5
	s_cbranch_execz .LBB47_2
.LBB47_30:                              ;   in Loop: Header=BB47_4 Depth=1
	v_lshl_add_u64 v[18:19], s[12:13], 2, v[22:23]
	v_lshl_add_u64 v[20:21], s[6:7], 2, v[20:21]
	s_delay_alu instid0(VALU_DEP_2) | instskip(NEXT) | instid1(VALU_DEP_2)
	v_add_nc_u64_e32 v[18:19], v[18:19], v[16:17]
	v_add_nc_u64_e32 v[16:17], v[20:21], v[16:17]
	s_and_saveexec_b32 s25, s3
	s_cbranch_execz .LBB47_32
; %bb.31:                               ;   in Loop: Header=BB47_4 Depth=1
	flat_load_b32 v21, v[18:19]
	v_mov_b64_e32 v[22:23], s[40:41]
	v_mov_b32_e32 v20, v14
	s_wait_loadcnt_dscnt 0x0
	s_delay_alu instid0(VALU_DEP_1) | instskip(NEXT) | instid1(VALU_DEP_1)
	v_pk_mul_f32 v[20:21], v[22:23], v[20:21]
	v_add_f32_e32 v14, v20, v21
	flat_store_b32 v[16:17], v14
.LBB47_32:                              ;   in Loop: Header=BB47_4 Depth=1
	s_wait_xcnt 0x0
	s_or_b32 exec_lo, exec_lo, s25
	s_delay_alu instid0(SALU_CYCLE_1)
	s_and_b32 exec_lo, exec_lo, s4
	s_cbranch_execz .LBB47_2
; %bb.33:                               ;   in Loop: Header=BB47_4 Depth=1
	flat_load_b32 v19, v[18:19] offset:64
	s_wait_xcnt 0x0
	v_mov_b32_e32 v18, v15
	v_mov_b64_e32 v[14:15], s[40:41]
	s_wait_loadcnt_dscnt 0x0
	s_delay_alu instid0(VALU_DEP_1) | instskip(NEXT) | instid1(VALU_DEP_1)
	v_pk_mul_f32 v[14:15], v[14:15], v[18:19]
	v_add_f32_e32 v14, v14, v15
	flat_store_b32 v[16:17], v14 offset:64
	s_branch .LBB47_2
.LBB47_34:
	s_endpgm
	.section	.rodata,"a",@progbits
	.p2align	6, 0x0
	.amdhsa_kernel _ZN12_GLOBAL__N_135rocblas_gemm_batched_general_kernelIfLi16ELi16ELi32ELi32ELi8ELi32ELi8ELi8ELi32ELc78ELc78EKPKfS3_KPfEEvlllT_PT11_llS8_llS6_PT12_llPT13_lli
		.amdhsa_group_segment_fixed_size 2048
		.amdhsa_private_segment_fixed_size 0
		.amdhsa_kernarg_size 140
		.amdhsa_user_sgpr_count 2
		.amdhsa_user_sgpr_dispatch_ptr 0
		.amdhsa_user_sgpr_queue_ptr 0
		.amdhsa_user_sgpr_kernarg_segment_ptr 1
		.amdhsa_user_sgpr_dispatch_id 0
		.amdhsa_user_sgpr_kernarg_preload_length 0
		.amdhsa_user_sgpr_kernarg_preload_offset 0
		.amdhsa_user_sgpr_private_segment_size 0
		.amdhsa_wavefront_size32 1
		.amdhsa_uses_dynamic_stack 0
		.amdhsa_enable_private_segment 0
		.amdhsa_system_sgpr_workgroup_id_x 1
		.amdhsa_system_sgpr_workgroup_id_y 1
		.amdhsa_system_sgpr_workgroup_id_z 1
		.amdhsa_system_sgpr_workgroup_info 0
		.amdhsa_system_vgpr_workitem_id 1
		.amdhsa_next_free_vgpr 56
		.amdhsa_next_free_sgpr 44
		.amdhsa_named_barrier_count 0
		.amdhsa_reserve_vcc 1
		.amdhsa_float_round_mode_32 0
		.amdhsa_float_round_mode_16_64 0
		.amdhsa_float_denorm_mode_32 3
		.amdhsa_float_denorm_mode_16_64 3
		.amdhsa_fp16_overflow 0
		.amdhsa_memory_ordered 1
		.amdhsa_forward_progress 1
		.amdhsa_inst_pref_size 15
		.amdhsa_round_robin_scheduling 0
		.amdhsa_exception_fp_ieee_invalid_op 0
		.amdhsa_exception_fp_denorm_src 0
		.amdhsa_exception_fp_ieee_div_zero 0
		.amdhsa_exception_fp_ieee_overflow 0
		.amdhsa_exception_fp_ieee_underflow 0
		.amdhsa_exception_fp_ieee_inexact 0
		.amdhsa_exception_int_div_zero 0
	.end_amdhsa_kernel
	.section	.text._ZN12_GLOBAL__N_135rocblas_gemm_batched_general_kernelIfLi16ELi16ELi32ELi32ELi8ELi32ELi8ELi8ELi32ELc78ELc78EKPKfS3_KPfEEvlllT_PT11_llS8_llS6_PT12_llPT13_lli,"axG",@progbits,_ZN12_GLOBAL__N_135rocblas_gemm_batched_general_kernelIfLi16ELi16ELi32ELi32ELi8ELi32ELi8ELi8ELi32ELc78ELc78EKPKfS3_KPfEEvlllT_PT11_llS8_llS6_PT12_llPT13_lli,comdat
.Lfunc_end47:
	.size	_ZN12_GLOBAL__N_135rocblas_gemm_batched_general_kernelIfLi16ELi16ELi32ELi32ELi8ELi32ELi8ELi8ELi32ELc78ELc78EKPKfS3_KPfEEvlllT_PT11_llS8_llS6_PT12_llPT13_lli, .Lfunc_end47-_ZN12_GLOBAL__N_135rocblas_gemm_batched_general_kernelIfLi16ELi16ELi32ELi32ELi8ELi32ELi8ELi8ELi32ELc78ELc78EKPKfS3_KPfEEvlllT_PT11_llS8_llS6_PT12_llPT13_lli
                                        ; -- End function
	.set _ZN12_GLOBAL__N_135rocblas_gemm_batched_general_kernelIfLi16ELi16ELi32ELi32ELi8ELi32ELi8ELi8ELi32ELc78ELc78EKPKfS3_KPfEEvlllT_PT11_llS8_llS6_PT12_llPT13_lli.num_vgpr, 56
	.set _ZN12_GLOBAL__N_135rocblas_gemm_batched_general_kernelIfLi16ELi16ELi32ELi32ELi8ELi32ELi8ELi8ELi32ELc78ELc78EKPKfS3_KPfEEvlllT_PT11_llS8_llS6_PT12_llPT13_lli.num_agpr, 0
	.set _ZN12_GLOBAL__N_135rocblas_gemm_batched_general_kernelIfLi16ELi16ELi32ELi32ELi8ELi32ELi8ELi8ELi32ELc78ELc78EKPKfS3_KPfEEvlllT_PT11_llS8_llS6_PT12_llPT13_lli.numbered_sgpr, 44
	.set _ZN12_GLOBAL__N_135rocblas_gemm_batched_general_kernelIfLi16ELi16ELi32ELi32ELi8ELi32ELi8ELi8ELi32ELc78ELc78EKPKfS3_KPfEEvlllT_PT11_llS8_llS6_PT12_llPT13_lli.num_named_barrier, 0
	.set _ZN12_GLOBAL__N_135rocblas_gemm_batched_general_kernelIfLi16ELi16ELi32ELi32ELi8ELi32ELi8ELi8ELi32ELc78ELc78EKPKfS3_KPfEEvlllT_PT11_llS8_llS6_PT12_llPT13_lli.private_seg_size, 0
	.set _ZN12_GLOBAL__N_135rocblas_gemm_batched_general_kernelIfLi16ELi16ELi32ELi32ELi8ELi32ELi8ELi8ELi32ELc78ELc78EKPKfS3_KPfEEvlllT_PT11_llS8_llS6_PT12_llPT13_lli.uses_vcc, 1
	.set _ZN12_GLOBAL__N_135rocblas_gemm_batched_general_kernelIfLi16ELi16ELi32ELi32ELi8ELi32ELi8ELi8ELi32ELc78ELc78EKPKfS3_KPfEEvlllT_PT11_llS8_llS6_PT12_llPT13_lli.uses_flat_scratch, 0
	.set _ZN12_GLOBAL__N_135rocblas_gemm_batched_general_kernelIfLi16ELi16ELi32ELi32ELi8ELi32ELi8ELi8ELi32ELc78ELc78EKPKfS3_KPfEEvlllT_PT11_llS8_llS6_PT12_llPT13_lli.has_dyn_sized_stack, 0
	.set _ZN12_GLOBAL__N_135rocblas_gemm_batched_general_kernelIfLi16ELi16ELi32ELi32ELi8ELi32ELi8ELi8ELi32ELc78ELc78EKPKfS3_KPfEEvlllT_PT11_llS8_llS6_PT12_llPT13_lli.has_recursion, 0
	.set _ZN12_GLOBAL__N_135rocblas_gemm_batched_general_kernelIfLi16ELi16ELi32ELi32ELi8ELi32ELi8ELi8ELi32ELc78ELc78EKPKfS3_KPfEEvlllT_PT11_llS8_llS6_PT12_llPT13_lli.has_indirect_call, 0
	.section	.AMDGPU.csdata,"",@progbits
; Kernel info:
; codeLenInByte = 1824
; TotalNumSgprs: 46
; NumVgprs: 56
; ScratchSize: 0
; MemoryBound: 0
; FloatMode: 240
; IeeeMode: 1
; LDSByteSize: 2048 bytes/workgroup (compile time only)
; SGPRBlocks: 0
; VGPRBlocks: 3
; NumSGPRsForWavesPerEU: 46
; NumVGPRsForWavesPerEU: 56
; NamedBarCnt: 0
; Occupancy: 16
; WaveLimiterHint : 1
; COMPUTE_PGM_RSRC2:SCRATCH_EN: 0
; COMPUTE_PGM_RSRC2:USER_SGPR: 2
; COMPUTE_PGM_RSRC2:TRAP_HANDLER: 0
; COMPUTE_PGM_RSRC2:TGID_X_EN: 1
; COMPUTE_PGM_RSRC2:TGID_Y_EN: 1
; COMPUTE_PGM_RSRC2:TGID_Z_EN: 1
; COMPUTE_PGM_RSRC2:TIDIG_COMP_CNT: 1
	.section	.text._ZN12_GLOBAL__N_135rocblas_gemm_batched_general_kernelIfLi16ELi16ELi32ELi32ELi8ELi32ELi8ELi8ELi32ELc84ELc78EKPKfS3_KPfEEvlllT_PT11_llS8_llS6_PT12_llPT13_lli,"axG",@progbits,_ZN12_GLOBAL__N_135rocblas_gemm_batched_general_kernelIfLi16ELi16ELi32ELi32ELi8ELi32ELi8ELi8ELi32ELc84ELc78EKPKfS3_KPfEEvlllT_PT11_llS8_llS6_PT12_llPT13_lli,comdat
	.globl	_ZN12_GLOBAL__N_135rocblas_gemm_batched_general_kernelIfLi16ELi16ELi32ELi32ELi8ELi32ELi8ELi8ELi32ELc84ELc78EKPKfS3_KPfEEvlllT_PT11_llS8_llS6_PT12_llPT13_lli ; -- Begin function _ZN12_GLOBAL__N_135rocblas_gemm_batched_general_kernelIfLi16ELi16ELi32ELi32ELi8ELi32ELi8ELi8ELi32ELc84ELc78EKPKfS3_KPfEEvlllT_PT11_llS8_llS6_PT12_llPT13_lli
	.p2align	8
	.type	_ZN12_GLOBAL__N_135rocblas_gemm_batched_general_kernelIfLi16ELi16ELi32ELi32ELi8ELi32ELi8ELi8ELi32ELc84ELc78EKPKfS3_KPfEEvlllT_PT11_llS8_llS6_PT12_llPT13_lli,@function
_ZN12_GLOBAL__N_135rocblas_gemm_batched_general_kernelIfLi16ELi16ELi32ELi32ELi8ELi32ELi8ELi8ELi32ELc84ELc78EKPKfS3_KPfEEvlllT_PT11_llS8_llS6_PT12_llPT13_lli: ; @_ZN12_GLOBAL__N_135rocblas_gemm_batched_general_kernelIfLi16ELi16ELi32ELi32ELi8ELi32ELi8ELi8ELi32ELc84ELc78EKPKfS3_KPfEEvlllT_PT11_llS8_llS6_PT12_llPT13_lli
; %bb.0:
	s_load_b32 s33, s[0:1], 0x88
	s_bfe_u32 s2, ttmp6, 0x40014
	s_lshr_b32 s3, ttmp7, 16
	s_add_co_i32 s2, s2, 1
	s_bfe_u32 s5, ttmp6, 0x40008
	s_mul_i32 s4, s3, s2
	s_getreg_b32 s2, hwreg(HW_REG_IB_STS2, 6, 4)
	s_add_co_i32 s5, s5, s4
	s_cmp_eq_u32 s2, 0
	s_mov_b32 s35, 0
	s_cselect_b32 s34, s3, s5
	s_wait_kmcnt 0x0
	s_cmp_ge_i32 s34, s33
	s_cbranch_scc1 .LBB48_34
; %bb.1:
	v_bfe_u32 v10, v0, 10, 10
	v_and_b32_e32 v12, 0x3ff, v0
	s_clause 0x1
	s_load_b128 s[24:27], s[0:1], 0x40
	s_load_b96 s[36:38], s[0:1], 0x10
	s_bfe_u32 s16, ttmp6, 0x4000c
	s_bfe_u32 s17, ttmp6, 0x40010
	s_clause 0x1
	s_load_b128 s[4:7], s[0:1], 0x0
	s_load_b256 s[8:15], s[0:1], 0x20
	s_add_co_i32 s16, s16, 1
	s_and_b32 s18, ttmp7, 0xffff
	s_add_co_i32 s17, s17, 1
	v_lshl_add_u32 v3, v10, 4, v12
	v_mov_b32_e32 v1, 0
	s_and_b32 s3, ttmp6, 15
	s_mul_i32 s16, ttmp9, s16
	s_mul_i32 s17, s18, s17
	s_bfe_u32 s19, ttmp6, 0x40004
	s_add_co_i32 s3, s3, s16
	s_add_co_i32 s19, s19, s17
	s_cmp_eq_u32 s2, 0
	v_dual_lshrrev_b32 v14, 3, v3 :: v_dual_bitop2_b32 v6, 31, v3 bitop3:0x40
	v_mov_b32_e32 v15, v1
	s_cselect_b32 s16, s18, s19
	s_cselect_b32 s2, ttmp9, s3
	s_lshl_b32 s42, s16, 5
	s_mov_b32 s43, s35
	s_ashr_i32 s3, s2, 31
	v_add_nc_u64_e32 v[16:17], s[42:43], v[14:15]
	s_clause 0x1
	s_load_b128 s[28:31], s[0:1], 0x78
	s_load_b256 s[16:23], s[0:1], 0x58
	s_lshl_b64 s[2:3], s[2:3], 5
	v_dual_mov_b32 v11, v1 :: v_dual_mov_b32 v13, v1
	v_dual_mov_b32 v5, s3 :: v_dual_bitop2_b32 v4, s2, v6 bitop3:0x54
	s_wait_kmcnt 0x0
	v_mul_u64_e32 v[18:19], s[24:25], v[16:17]
	s_load_b32 s41, s[0:1], 0x50
	v_add_nc_u64_e32 v[22:23], s[42:43], v[10:11]
	v_dual_lshlrev_b32 v11, 2, v6 :: v_dual_lshlrev_b32 v30, 2, v12
	v_mul_u64_e32 v[20:21], s[10:11], v[4:5]
	v_dual_lshrrev_b32 v0, 5, v3 :: v_dual_bitop2_b32 v2, 7, v0 bitop3:0x40
	s_wait_xcnt 0x0
	v_cmp_gt_i64_e64 s0, s[4:5], v[4:5]
	v_add_nc_u64_e32 v[4:5], s[2:3], v[12:13]
	s_delay_alu instid0(VALU_DEP_3)
	v_dual_mov_b32 v3, v1 :: v_dual_lshlrev_b32 v24, 2, v2
	v_lshl_or_b32 v28, v0, 7, v11
	v_mul_u64_e32 v[6:7], s[28:29], v[22:23]
	v_mul_u64_e32 v[8:9], s[18:19], v[22:23]
	v_lshl_add_u32 v31, v10, 5, 0x400
	v_lshl_or_b32 v13, v14, 5, v24
	v_add_nc_u64_e32 v[14:15], 16, v[4:5]
	v_add_nc_u64_e32 v[10:11], 16, v[22:23]
	v_cmp_gt_i64_e64 s1, s[6:7], v[16:17]
	v_cmp_gt_i64_e64 s3, s[4:5], v[4:5]
	s_wait_kmcnt 0x0
	s_cmp_eq_f32 s41, 0
	v_add_nc_u32_e32 v29, 0x400, v13
	v_dual_mov_b32 v25, v1 :: v_dual_lshlrev_b32 v16, 2, v0
	s_cselect_b32 s24, -1, 0
	s_lshl_b64 s[10:11], s[26:27], 2
	v_cmp_gt_i64_e64 s4, s[4:5], v[14:15]
	v_mov_b32_e32 v17, v1
	v_cmp_gt_i64_e64 s2, s[6:7], v[22:23]
	v_cmp_gt_i64_e64 s5, s[6:7], v[10:11]
	;; [unrolled: 1-line block ×3, first 2 shown]
	v_lshl_add_u64 v[12:13], v[18:19], 2, s[10:11]
	s_lshl_b64 s[10:11], s[12:13], 2
	s_lshl_b64 s[6:7], s[28:29], 4
	s_mov_b32 s40, s38
	s_lshl_b64 s[12:13], s[30:31], 2
	v_lshl_add_u64 v[14:15], v[20:21], 2, s[10:11]
	v_add_nc_u64_e32 v[10:11], v[12:13], v[24:25]
	s_lshl_b64 s[10:11], s[18:19], 4
	s_lshl_b64 s[18:19], s[20:21], 2
	s_delay_alu instid0(VALU_DEP_2)
	v_add_nc_u64_e32 v[12:13], v[14:15], v[16:17]
	s_branch .LBB48_4
.LBB48_2:                               ;   in Loop: Header=BB48_4 Depth=1
	s_wait_xcnt 0x0
	s_or_b32 exec_lo, exec_lo, s20
.LBB48_3:                               ;   in Loop: Header=BB48_4 Depth=1
	s_add_co_i32 s34, s34, 0x10000
	s_delay_alu instid0(SALU_CYCLE_1)
	s_cmp_lt_i32 s34, s33
	s_cbranch_scc0 .LBB48_34
.LBB48_4:                               ; =>This Loop Header: Depth=1
                                        ;     Child Loop BB48_7 Depth 2
	v_dual_mov_b32 v14, s34 :: v_dual_mov_b32 v19, 0
	v_dual_mov_b32 v18, 0 :: v_dual_mov_b32 v15, 0
	s_and_not1_b32 vcc_lo, exec_lo, s25
	s_clause 0x1
	global_load_b64 v[16:17], v14, s[16:17] scale_offset
	global_load_b64 v[20:21], v14, s[22:23] scale_offset
	s_wait_xcnt 0x0
	v_mov_b32_e32 v14, 0
	s_cbranch_vccnz .LBB48_11
; %bb.5:                                ;   in Loop: Header=BB48_4 Depth=1
	s_lshl_b64 s[20:21], s[34:35], 3
	v_mov_b32_e32 v18, 0
	s_add_nc_u64 s[26:27], s[14:15], s[20:21]
	s_add_nc_u64 s[20:21], s[8:9], s[20:21]
	s_clause 0x1
	global_load_b64 v[14:15], v1, s[26:27]
	global_load_b64 v[24:25], v1, s[20:21]
	s_wait_xcnt 0x0
	s_mov_b64 s[20:21], 0
	v_mov_b32_e32 v19, v18
	s_wait_loadcnt 0x1
	v_add_nc_u64_e32 v[22:23], v[14:15], v[10:11]
	s_wait_loadcnt 0x0
	v_add_nc_u64_e32 v[24:25], v[24:25], v[12:13]
	v_dual_mov_b32 v14, v18 :: v_dual_mov_b32 v15, v18
	s_branch .LBB48_7
.LBB48_6:                               ;   in Loop: Header=BB48_7 Depth=2
	s_wait_xcnt 0x0
	s_or_b32 exec_lo, exec_lo, s26
	s_wait_loadcnt_dscnt 0x0
	ds_store_b32 v29, v27
	s_wait_dscnt 0x0
	s_barrier_signal -1
	s_barrier_wait -1
	ds_load_b128 v[32:35], v31
	ds_load_2addr_b32 v[26:27], v30 offset1:16
	ds_load_b128 v[36:39], v31 offset:512
	ds_load_2addr_b32 v[48:49], v30 offset0:32 offset1:48
	ds_load_2addr_b32 v[50:51], v30 offset0:64 offset1:80
	;; [unrolled: 1-line block ×3, first 2 shown]
	ds_load_b128 v[40:43], v31 offset:16
	ds_load_2addr_b32 v[54:55], v30 offset0:128 offset1:144
	ds_load_b128 v[44:47], v31 offset:528
	s_add_nc_u64 s[20:21], s[20:21], 8
	v_add_nc_u64_e32 v[22:23], 32, v[22:23]
	v_cmp_lt_i64_e64 s26, s[20:21], s[36:37]
	v_add_nc_u64_e32 v[24:25], 32, v[24:25]
	s_and_b32 vcc_lo, exec_lo, s26
	s_wait_dscnt 0x7
	v_pk_fma_f32 v[18:19], v[26:27], v[32:33], v[18:19] op_sel_hi:[1,0,1]
	s_wait_dscnt 0x6
	v_pk_fma_f32 v[14:15], v[26:27], v[36:37], v[14:15] op_sel_hi:[1,0,1]
	ds_load_2addr_b32 v[26:27], v30 offset0:160 offset1:176
	s_wait_dscnt 0x6
	v_pk_fma_f32 v[18:19], v[48:49], v[32:33], v[18:19] op_sel:[0,1,0]
	v_pk_fma_f32 v[14:15], v[48:49], v[36:37], v[14:15] op_sel:[0,1,0]
	ds_load_2addr_b32 v[32:33], v30 offset0:192 offset1:208
	v_dual_mov_b32 v36, v35 :: v_dual_mov_b32 v48, v39
	s_wait_dscnt 0x6
	v_pk_fma_f32 v[18:19], v[50:51], v[34:35], v[18:19] op_sel_hi:[1,0,1]
	v_pk_fma_f32 v[14:15], v[50:51], v[38:39], v[14:15] op_sel_hi:[1,0,1]
	ds_load_2addr_b32 v[34:35], v30 offset0:224 offset1:240
	s_wait_dscnt 0x0
	s_barrier_signal -1
	v_pk_fma_f32 v[18:19], v[52:53], v[36:37], v[18:19] op_sel_hi:[1,0,1]
	v_pk_fma_f32 v[14:15], v[52:53], v[48:49], v[14:15] op_sel_hi:[1,0,1]
	s_barrier_wait -1
	v_mov_b32_e32 v36, v47
	s_delay_alu instid0(VALU_DEP_3) | instskip(NEXT) | instid1(VALU_DEP_3)
	v_pk_fma_f32 v[18:19], v[54:55], v[40:41], v[18:19] op_sel_hi:[1,0,1]
	v_pk_fma_f32 v[14:15], v[54:55], v[44:45], v[14:15] op_sel_hi:[1,0,1]
	s_delay_alu instid0(VALU_DEP_2) | instskip(NEXT) | instid1(VALU_DEP_2)
	v_pk_fma_f32 v[18:19], v[26:27], v[40:41], v[18:19] op_sel:[0,1,0]
	v_pk_fma_f32 v[14:15], v[26:27], v[44:45], v[14:15] op_sel:[0,1,0]
	v_mov_b32_e32 v26, v43
	s_delay_alu instid0(VALU_DEP_3) | instskip(NEXT) | instid1(VALU_DEP_3)
	v_pk_fma_f32 v[18:19], v[32:33], v[42:43], v[18:19] op_sel_hi:[1,0,1]
	v_pk_fma_f32 v[14:15], v[32:33], v[46:47], v[14:15] op_sel_hi:[1,0,1]
	s_delay_alu instid0(VALU_DEP_2) | instskip(NEXT) | instid1(VALU_DEP_2)
	v_pk_fma_f32 v[18:19], v[34:35], v[26:27], v[18:19] op_sel_hi:[1,0,1]
	v_pk_fma_f32 v[14:15], v[34:35], v[36:37], v[14:15] op_sel_hi:[1,0,1]
	s_cbranch_vccz .LBB48_11
.LBB48_7:                               ;   Parent Loop BB48_4 Depth=1
                                        ; =>  This Inner Loop Header: Depth=2
	v_add_nc_u64_e32 v[26:27], s[20:21], v[0:1]
	s_delay_alu instid0(VALU_DEP_1) | instskip(SKIP_2) | instid1(SALU_CYCLE_1)
	v_cmp_gt_i64_e32 vcc_lo, s[36:37], v[26:27]
	v_mov_b32_e32 v26, 0
	s_and_b32 s27, s0, vcc_lo
	s_and_saveexec_b32 s26, s27
	s_cbranch_execz .LBB48_9
; %bb.8:                                ;   in Loop: Header=BB48_7 Depth=2
	flat_load_b32 v26, v[24:25]
.LBB48_9:                               ;   in Loop: Header=BB48_7 Depth=2
	s_wait_xcnt 0x0
	s_or_b32 exec_lo, exec_lo, s26
	v_add_nc_u64_e32 v[32:33], s[20:21], v[2:3]
	v_mov_b32_e32 v27, 0
	s_wait_loadcnt_dscnt 0x0
	ds_store_b32 v28, v26
	v_cmp_gt_i64_e32 vcc_lo, s[36:37], v[32:33]
	s_and_b32 s27, vcc_lo, s1
	s_delay_alu instid0(SALU_CYCLE_1)
	s_and_saveexec_b32 s26, s27
	s_cbranch_execz .LBB48_6
; %bb.10:                               ;   in Loop: Header=BB48_7 Depth=2
	flat_load_b32 v27, v[22:23]
	s_branch .LBB48_6
.LBB48_11:                              ;   in Loop: Header=BB48_4 Depth=1
	s_wait_loadcnt 0x0
	v_add_nc_u64_e32 v[20:21], s[12:13], v[20:21]
	s_and_not1_b32 vcc_lo, exec_lo, s24
	s_cbranch_vccnz .LBB48_16
; %bb.12:                               ;   in Loop: Header=BB48_4 Depth=1
	s_and_saveexec_b32 s20, s2
	s_cbranch_execz .LBB48_23
; %bb.13:                               ;   in Loop: Header=BB48_4 Depth=1
	s_delay_alu instid0(VALU_DEP_1) | instskip(NEXT) | instid1(VALU_DEP_1)
	v_lshl_add_u64 v[22:23], v[6:7], 2, v[20:21]
	v_lshl_add_u64 v[24:25], v[4:5], 2, v[22:23]
	s_and_saveexec_b32 s21, s3
	s_cbranch_execnz .LBB48_17
; %bb.14:                               ;   in Loop: Header=BB48_4 Depth=1
	s_or_b32 exec_lo, exec_lo, s21
	s_and_saveexec_b32 s21, s4
	s_cbranch_execnz .LBB48_18
.LBB48_15:                              ;   in Loop: Header=BB48_4 Depth=1
	s_or_b32 exec_lo, exec_lo, s21
	s_delay_alu instid0(SALU_CYCLE_1)
	s_and_b32 exec_lo, exec_lo, s5
	s_cbranch_execnz .LBB48_19
	s_branch .LBB48_23
.LBB48_16:                              ;   in Loop: Header=BB48_4 Depth=1
	s_branch .LBB48_24
.LBB48_17:                              ;   in Loop: Header=BB48_4 Depth=1
	v_mul_f32_e32 v26, s38, v18
	flat_store_b32 v[24:25], v26
	s_wait_xcnt 0x0
	s_or_b32 exec_lo, exec_lo, s21
	s_and_saveexec_b32 s21, s4
	s_cbranch_execz .LBB48_15
.LBB48_18:                              ;   in Loop: Header=BB48_4 Depth=1
	v_mul_f32_e32 v26, s38, v19
	flat_store_b32 v[24:25], v26 offset:64
	s_wait_xcnt 0x0
	s_or_b32 exec_lo, exec_lo, s21
	s_delay_alu instid0(SALU_CYCLE_1)
	s_and_b32 exec_lo, exec_lo, s5
	s_cbranch_execz .LBB48_23
.LBB48_19:                              ;   in Loop: Header=BB48_4 Depth=1
	v_lshl_add_u64 v[22:23], s[6:7], 2, v[22:23]
	s_delay_alu instid0(VALU_DEP_1)
	v_lshl_add_u64 v[22:23], v[4:5], 2, v[22:23]
	s_and_saveexec_b32 s21, s3
	s_cbranch_execz .LBB48_21
; %bb.20:                               ;   in Loop: Header=BB48_4 Depth=1
	v_mul_f32_e32 v24, s38, v14
	flat_store_b32 v[22:23], v24
.LBB48_21:                              ;   in Loop: Header=BB48_4 Depth=1
	s_wait_xcnt 0x0
	s_or_b32 exec_lo, exec_lo, s21
	s_delay_alu instid0(SALU_CYCLE_1)
	s_and_b32 exec_lo, exec_lo, s4
	s_cbranch_execz .LBB48_23
; %bb.22:                               ;   in Loop: Header=BB48_4 Depth=1
	v_mul_f32_e32 v24, s38, v15
	flat_store_b32 v[22:23], v24 offset:64
.LBB48_23:                              ;   in Loop: Header=BB48_4 Depth=1
	s_wait_xcnt 0x0
	s_or_b32 exec_lo, exec_lo, s20
	s_cbranch_execnz .LBB48_3
.LBB48_24:                              ;   in Loop: Header=BB48_4 Depth=1
	s_and_saveexec_b32 s20, s2
	s_cbranch_execz .LBB48_2
; %bb.25:                               ;   in Loop: Header=BB48_4 Depth=1
	v_add_nc_u64_e32 v[22:23], s[18:19], v[16:17]
	v_lshlrev_b64_e32 v[16:17], 2, v[4:5]
	v_lshl_add_u64 v[20:21], v[6:7], 2, v[20:21]
	s_delay_alu instid0(VALU_DEP_3) | instskip(NEXT) | instid1(VALU_DEP_2)
	v_lshl_add_u64 v[22:23], v[8:9], 2, v[22:23]
	v_add_nc_u64_e32 v[24:25], v[20:21], v[16:17]
	s_delay_alu instid0(VALU_DEP_2)
	v_add_nc_u64_e32 v[26:27], v[22:23], v[16:17]
	s_and_saveexec_b32 s21, s3
	s_cbranch_execnz .LBB48_28
; %bb.26:                               ;   in Loop: Header=BB48_4 Depth=1
	s_or_b32 exec_lo, exec_lo, s21
	s_and_saveexec_b32 s21, s4
	s_cbranch_execnz .LBB48_29
.LBB48_27:                              ;   in Loop: Header=BB48_4 Depth=1
	s_or_b32 exec_lo, exec_lo, s21
	s_delay_alu instid0(SALU_CYCLE_1)
	s_and_b32 exec_lo, exec_lo, s5
	s_cbranch_execz .LBB48_2
	s_branch .LBB48_30
.LBB48_28:                              ;   in Loop: Header=BB48_4 Depth=1
	flat_load_b32 v33, v[26:27]
	v_mov_b64_e32 v[34:35], s[40:41]
	v_mov_b32_e32 v32, v18
	s_wait_loadcnt_dscnt 0x0
	s_delay_alu instid0(VALU_DEP_1) | instskip(NEXT) | instid1(VALU_DEP_1)
	v_pk_mul_f32 v[32:33], v[34:35], v[32:33]
	v_add_f32_e32 v18, v32, v33
	flat_store_b32 v[24:25], v18
	s_wait_xcnt 0x0
	s_or_b32 exec_lo, exec_lo, s21
	s_and_saveexec_b32 s21, s4
	s_cbranch_execz .LBB48_27
.LBB48_29:                              ;   in Loop: Header=BB48_4 Depth=1
	flat_load_b32 v27, v[26:27] offset:64
	s_wait_xcnt 0x0
	v_mov_b32_e32 v26, v19
	v_mov_b64_e32 v[18:19], s[40:41]
	s_wait_loadcnt_dscnt 0x0
	s_delay_alu instid0(VALU_DEP_1) | instskip(NEXT) | instid1(VALU_DEP_1)
	v_pk_mul_f32 v[18:19], v[18:19], v[26:27]
	v_add_f32_e32 v18, v18, v19
	flat_store_b32 v[24:25], v18 offset:64
	s_wait_xcnt 0x0
	s_or_b32 exec_lo, exec_lo, s21
	s_delay_alu instid0(SALU_CYCLE_1)
	s_and_b32 exec_lo, exec_lo, s5
	s_cbranch_execz .LBB48_2
.LBB48_30:                              ;   in Loop: Header=BB48_4 Depth=1
	v_lshl_add_u64 v[18:19], s[10:11], 2, v[22:23]
	v_lshl_add_u64 v[20:21], s[6:7], 2, v[20:21]
	s_delay_alu instid0(VALU_DEP_2) | instskip(NEXT) | instid1(VALU_DEP_2)
	v_add_nc_u64_e32 v[18:19], v[18:19], v[16:17]
	v_add_nc_u64_e32 v[16:17], v[20:21], v[16:17]
	s_and_saveexec_b32 s21, s3
	s_cbranch_execz .LBB48_32
; %bb.31:                               ;   in Loop: Header=BB48_4 Depth=1
	flat_load_b32 v21, v[18:19]
	v_mov_b64_e32 v[22:23], s[40:41]
	v_mov_b32_e32 v20, v14
	s_wait_loadcnt_dscnt 0x0
	s_delay_alu instid0(VALU_DEP_1) | instskip(NEXT) | instid1(VALU_DEP_1)
	v_pk_mul_f32 v[20:21], v[22:23], v[20:21]
	v_add_f32_e32 v14, v20, v21
	flat_store_b32 v[16:17], v14
.LBB48_32:                              ;   in Loop: Header=BB48_4 Depth=1
	s_wait_xcnt 0x0
	s_or_b32 exec_lo, exec_lo, s21
	s_delay_alu instid0(SALU_CYCLE_1)
	s_and_b32 exec_lo, exec_lo, s4
	s_cbranch_execz .LBB48_2
; %bb.33:                               ;   in Loop: Header=BB48_4 Depth=1
	flat_load_b32 v19, v[18:19] offset:64
	s_wait_xcnt 0x0
	v_mov_b32_e32 v18, v15
	v_mov_b64_e32 v[14:15], s[40:41]
	s_wait_loadcnt_dscnt 0x0
	s_delay_alu instid0(VALU_DEP_1) | instskip(NEXT) | instid1(VALU_DEP_1)
	v_pk_mul_f32 v[14:15], v[14:15], v[18:19]
	v_add_f32_e32 v14, v14, v15
	flat_store_b32 v[16:17], v14 offset:64
	s_branch .LBB48_2
.LBB48_34:
	s_endpgm
	.section	.rodata,"a",@progbits
	.p2align	6, 0x0
	.amdhsa_kernel _ZN12_GLOBAL__N_135rocblas_gemm_batched_general_kernelIfLi16ELi16ELi32ELi32ELi8ELi32ELi8ELi8ELi32ELc84ELc78EKPKfS3_KPfEEvlllT_PT11_llS8_llS6_PT12_llPT13_lli
		.amdhsa_group_segment_fixed_size 2048
		.amdhsa_private_segment_fixed_size 0
		.amdhsa_kernarg_size 140
		.amdhsa_user_sgpr_count 2
		.amdhsa_user_sgpr_dispatch_ptr 0
		.amdhsa_user_sgpr_queue_ptr 0
		.amdhsa_user_sgpr_kernarg_segment_ptr 1
		.amdhsa_user_sgpr_dispatch_id 0
		.amdhsa_user_sgpr_kernarg_preload_length 0
		.amdhsa_user_sgpr_kernarg_preload_offset 0
		.amdhsa_user_sgpr_private_segment_size 0
		.amdhsa_wavefront_size32 1
		.amdhsa_uses_dynamic_stack 0
		.amdhsa_enable_private_segment 0
		.amdhsa_system_sgpr_workgroup_id_x 1
		.amdhsa_system_sgpr_workgroup_id_y 1
		.amdhsa_system_sgpr_workgroup_id_z 1
		.amdhsa_system_sgpr_workgroup_info 0
		.amdhsa_system_vgpr_workitem_id 1
		.amdhsa_next_free_vgpr 56
		.amdhsa_next_free_sgpr 44
		.amdhsa_named_barrier_count 0
		.amdhsa_reserve_vcc 1
		.amdhsa_float_round_mode_32 0
		.amdhsa_float_round_mode_16_64 0
		.amdhsa_float_denorm_mode_32 3
		.amdhsa_float_denorm_mode_16_64 3
		.amdhsa_fp16_overflow 0
		.amdhsa_memory_ordered 1
		.amdhsa_forward_progress 1
		.amdhsa_inst_pref_size 15
		.amdhsa_round_robin_scheduling 0
		.amdhsa_exception_fp_ieee_invalid_op 0
		.amdhsa_exception_fp_denorm_src 0
		.amdhsa_exception_fp_ieee_div_zero 0
		.amdhsa_exception_fp_ieee_overflow 0
		.amdhsa_exception_fp_ieee_underflow 0
		.amdhsa_exception_fp_ieee_inexact 0
		.amdhsa_exception_int_div_zero 0
	.end_amdhsa_kernel
	.section	.text._ZN12_GLOBAL__N_135rocblas_gemm_batched_general_kernelIfLi16ELi16ELi32ELi32ELi8ELi32ELi8ELi8ELi32ELc84ELc78EKPKfS3_KPfEEvlllT_PT11_llS8_llS6_PT12_llPT13_lli,"axG",@progbits,_ZN12_GLOBAL__N_135rocblas_gemm_batched_general_kernelIfLi16ELi16ELi32ELi32ELi8ELi32ELi8ELi8ELi32ELc84ELc78EKPKfS3_KPfEEvlllT_PT11_llS8_llS6_PT12_llPT13_lli,comdat
.Lfunc_end48:
	.size	_ZN12_GLOBAL__N_135rocblas_gemm_batched_general_kernelIfLi16ELi16ELi32ELi32ELi8ELi32ELi8ELi8ELi32ELc84ELc78EKPKfS3_KPfEEvlllT_PT11_llS8_llS6_PT12_llPT13_lli, .Lfunc_end48-_ZN12_GLOBAL__N_135rocblas_gemm_batched_general_kernelIfLi16ELi16ELi32ELi32ELi8ELi32ELi8ELi8ELi32ELc84ELc78EKPKfS3_KPfEEvlllT_PT11_llS8_llS6_PT12_llPT13_lli
                                        ; -- End function
	.set _ZN12_GLOBAL__N_135rocblas_gemm_batched_general_kernelIfLi16ELi16ELi32ELi32ELi8ELi32ELi8ELi8ELi32ELc84ELc78EKPKfS3_KPfEEvlllT_PT11_llS8_llS6_PT12_llPT13_lli.num_vgpr, 56
	.set _ZN12_GLOBAL__N_135rocblas_gemm_batched_general_kernelIfLi16ELi16ELi32ELi32ELi8ELi32ELi8ELi8ELi32ELc84ELc78EKPKfS3_KPfEEvlllT_PT11_llS8_llS6_PT12_llPT13_lli.num_agpr, 0
	.set _ZN12_GLOBAL__N_135rocblas_gemm_batched_general_kernelIfLi16ELi16ELi32ELi32ELi8ELi32ELi8ELi8ELi32ELc84ELc78EKPKfS3_KPfEEvlllT_PT11_llS8_llS6_PT12_llPT13_lli.numbered_sgpr, 44
	.set _ZN12_GLOBAL__N_135rocblas_gemm_batched_general_kernelIfLi16ELi16ELi32ELi32ELi8ELi32ELi8ELi8ELi32ELc84ELc78EKPKfS3_KPfEEvlllT_PT11_llS8_llS6_PT12_llPT13_lli.num_named_barrier, 0
	.set _ZN12_GLOBAL__N_135rocblas_gemm_batched_general_kernelIfLi16ELi16ELi32ELi32ELi8ELi32ELi8ELi8ELi32ELc84ELc78EKPKfS3_KPfEEvlllT_PT11_llS8_llS6_PT12_llPT13_lli.private_seg_size, 0
	.set _ZN12_GLOBAL__N_135rocblas_gemm_batched_general_kernelIfLi16ELi16ELi32ELi32ELi8ELi32ELi8ELi8ELi32ELc84ELc78EKPKfS3_KPfEEvlllT_PT11_llS8_llS6_PT12_llPT13_lli.uses_vcc, 1
	.set _ZN12_GLOBAL__N_135rocblas_gemm_batched_general_kernelIfLi16ELi16ELi32ELi32ELi8ELi32ELi8ELi8ELi32ELc84ELc78EKPKfS3_KPfEEvlllT_PT11_llS8_llS6_PT12_llPT13_lli.uses_flat_scratch, 0
	.set _ZN12_GLOBAL__N_135rocblas_gemm_batched_general_kernelIfLi16ELi16ELi32ELi32ELi8ELi32ELi8ELi8ELi32ELc84ELc78EKPKfS3_KPfEEvlllT_PT11_llS8_llS6_PT12_llPT13_lli.has_dyn_sized_stack, 0
	.set _ZN12_GLOBAL__N_135rocblas_gemm_batched_general_kernelIfLi16ELi16ELi32ELi32ELi8ELi32ELi8ELi8ELi32ELc84ELc78EKPKfS3_KPfEEvlllT_PT11_llS8_llS6_PT12_llPT13_lli.has_recursion, 0
	.set _ZN12_GLOBAL__N_135rocblas_gemm_batched_general_kernelIfLi16ELi16ELi32ELi32ELi8ELi32ELi8ELi8ELi32ELc84ELc78EKPKfS3_KPfEEvlllT_PT11_llS8_llS6_PT12_llPT13_lli.has_indirect_call, 0
	.section	.AMDGPU.csdata,"",@progbits
; Kernel info:
; codeLenInByte = 1824
; TotalNumSgprs: 46
; NumVgprs: 56
; ScratchSize: 0
; MemoryBound: 0
; FloatMode: 240
; IeeeMode: 1
; LDSByteSize: 2048 bytes/workgroup (compile time only)
; SGPRBlocks: 0
; VGPRBlocks: 3
; NumSGPRsForWavesPerEU: 46
; NumVGPRsForWavesPerEU: 56
; NamedBarCnt: 0
; Occupancy: 16
; WaveLimiterHint : 1
; COMPUTE_PGM_RSRC2:SCRATCH_EN: 0
; COMPUTE_PGM_RSRC2:USER_SGPR: 2
; COMPUTE_PGM_RSRC2:TRAP_HANDLER: 0
; COMPUTE_PGM_RSRC2:TGID_X_EN: 1
; COMPUTE_PGM_RSRC2:TGID_Y_EN: 1
; COMPUTE_PGM_RSRC2:TGID_Z_EN: 1
; COMPUTE_PGM_RSRC2:TIDIG_COMP_CNT: 1
	.section	.text._ZN12_GLOBAL__N_135rocblas_gemm_batched_general_kernelIfLi16ELi16ELi32ELi32ELi8ELi32ELi8ELi8ELi32ELc78ELc84EKPKfS3_KPfEEvlllT_PT11_llS8_llS6_PT12_llPT13_lli,"axG",@progbits,_ZN12_GLOBAL__N_135rocblas_gemm_batched_general_kernelIfLi16ELi16ELi32ELi32ELi8ELi32ELi8ELi8ELi32ELc78ELc84EKPKfS3_KPfEEvlllT_PT11_llS8_llS6_PT12_llPT13_lli,comdat
	.globl	_ZN12_GLOBAL__N_135rocblas_gemm_batched_general_kernelIfLi16ELi16ELi32ELi32ELi8ELi32ELi8ELi8ELi32ELc78ELc84EKPKfS3_KPfEEvlllT_PT11_llS8_llS6_PT12_llPT13_lli ; -- Begin function _ZN12_GLOBAL__N_135rocblas_gemm_batched_general_kernelIfLi16ELi16ELi32ELi32ELi8ELi32ELi8ELi8ELi32ELc78ELc84EKPKfS3_KPfEEvlllT_PT11_llS8_llS6_PT12_llPT13_lli
	.p2align	8
	.type	_ZN12_GLOBAL__N_135rocblas_gemm_batched_general_kernelIfLi16ELi16ELi32ELi32ELi8ELi32ELi8ELi8ELi32ELc78ELc84EKPKfS3_KPfEEvlllT_PT11_llS8_llS6_PT12_llPT13_lli,@function
_ZN12_GLOBAL__N_135rocblas_gemm_batched_general_kernelIfLi16ELi16ELi32ELi32ELi8ELi32ELi8ELi8ELi32ELc78ELc84EKPKfS3_KPfEEvlllT_PT11_llS8_llS6_PT12_llPT13_lli: ; @_ZN12_GLOBAL__N_135rocblas_gemm_batched_general_kernelIfLi16ELi16ELi32ELi32ELi8ELi32ELi8ELi8ELi32ELc78ELc84EKPKfS3_KPfEEvlllT_PT11_llS8_llS6_PT12_llPT13_lli
; %bb.0:
	s_load_b32 s33, s[0:1], 0x88
	s_bfe_u32 s2, ttmp6, 0x40014
	s_lshr_b32 s3, ttmp7, 16
	s_add_co_i32 s2, s2, 1
	s_bfe_u32 s5, ttmp6, 0x40008
	s_mul_i32 s4, s3, s2
	s_getreg_b32 s2, hwreg(HW_REG_IB_STS2, 6, 4)
	s_add_co_i32 s5, s5, s4
	s_cmp_eq_u32 s2, 0
	s_mov_b32 s35, 0
	s_cselect_b32 s34, s3, s5
	s_wait_kmcnt 0x0
	s_cmp_ge_i32 s34, s33
	s_cbranch_scc1 .LBB49_34
; %bb.1:
	s_clause 0x4
	s_load_b256 s[8:15], s[0:1], 0x20
	s_load_b128 s[4:7], s[0:1], 0x0
	s_load_b96 s[36:38], s[0:1], 0x10
	s_load_b128 s[28:31], s[0:1], 0x40
	s_load_b32 s41, s[0:1], 0x50
	v_bfe_u32 v10, v0, 10, 10
	v_and_b32_e32 v6, 0x3ff, v0
	s_clause 0x1
	s_load_b128 s[24:27], s[0:1], 0x78
	s_load_b256 s[16:23], s[0:1], 0x58
	s_wait_xcnt 0x0
	s_bfe_u32 s0, ttmp6, 0x4000c
	s_bfe_u32 s3, ttmp6, 0x40010
	s_add_co_i32 s0, s0, 1
	s_and_b32 s39, ttmp7, 0xffff
	s_add_co_i32 s3, s3, 1
	v_lshl_add_u32 v4, v10, 4, v6
	v_mov_b32_e32 v3, 0
	s_and_b32 s1, ttmp6, 15
	s_mul_i32 s0, ttmp9, s0
	s_mul_i32 s3, s39, s3
	s_bfe_u32 s40, ttmp6, 0x40004
	s_add_co_i32 s1, s1, s0
	s_add_co_i32 s40, s40, s3
	s_cmp_eq_u32 s2, 0
	v_dual_lshrrev_b32 v2, 5, v4 :: v_dual_bitop2_b32 v18, 31, v4 bitop3:0x40
	v_dual_mov_b32 v1, v3 :: v_dual_bitop2_b32 v0, 7, v0 bitop3:0x40
	v_mov_b32_e32 v13, v3
	s_cselect_b32 s42, ttmp9, s1
	s_cselect_b32 s40, s39, s40
	s_ashr_i32 s43, s42, 31
	v_dual_mov_b32 v11, v3 :: v_dual_mov_b32 v7, v3
	s_lshl_b64 s[2:3], s[42:43], 5
	s_delay_alu instid0(SALU_CYCLE_1)
	v_dual_lshrrev_b32 v12, 3, v4 :: v_dual_bitop2_b32 v4, s2, v18 bitop3:0x54
	s_wait_kmcnt 0x0
	v_mul_u64_e32 v[14:15], s[28:29], v[0:1]
	v_mul_u64_e32 v[16:17], s[10:11], v[2:3]
	s_lshl_b32 s44, s40, 5
	s_mov_b32 s45, s35
	v_dual_mov_b32 v5, s3 :: v_dual_lshlrev_b32 v19, 2, v0
	v_add_nc_u64_e32 v[8:9], s[44:45], v[12:13]
	v_add_nc_u64_e32 v[20:21], s[44:45], v[10:11]
	v_lshlrev_b32_e32 v30, 2, v6
	s_delay_alu instid0(VALU_DEP_4)
	v_cmp_gt_i64_e64 s0, s[4:5], v[4:5]
	v_add_nc_u64_e32 v[4:5], s[2:3], v[6:7]
	v_lshl_add_u32 v31, v10, 5, 0x400
	s_cmp_eq_f32 s41, 0
	v_cmp_gt_i64_e64 s1, s[6:7], v[8:9]
	v_mul_u64_e32 v[6:7], s[24:25], v[20:21]
	v_mul_u64_e32 v[8:9], s[18:19], v[20:21]
	v_add_nc_u64_e32 v[10:11], 16, v[20:21]
	v_add_nc_u64_e32 v[22:23], 16, v[4:5]
	v_lshl_or_b32 v13, v12, 5, v19
	s_cselect_b32 s39, -1, 0
	v_cmp_gt_i64_e64 s2, s[6:7], v[20:21]
	v_cmp_gt_i64_e64 s3, s[4:5], v[4:5]
	s_lshl_b32 s44, s40, 7
	s_lshl_b64 s[30:31], s[30:31], 2
	v_cmp_gt_i64_e64 s4, s[4:5], v[22:23]
	v_cmp_gt_i64_e64 s5, s[6:7], v[10:11]
	s_lshl_b64 s[6:7], s[24:25], 4
	s_lshl_b64 s[24:25], s[42:43], 7
	;; [unrolled: 1-line block ×3, first 2 shown]
	s_add_nc_u64 s[30:31], s[30:31], s[44:45]
	s_add_nc_u64 s[12:13], s[12:13], s[24:25]
	v_dual_lshlrev_b32 v18, 2, v18 :: v_dual_lshlrev_b32 v12, 2, v12
	v_add_nc_u32_e32 v29, 0x400, v13
	v_lshl_add_u64 v[10:11], v[14:15], 2, s[30:31]
	v_mov_b32_e32 v13, v3
	v_lshl_add_u64 v[14:15], v[16:17], 2, s[12:13]
	v_mov_b32_e32 v19, v3
	s_lshl_b64 s[12:13], s[18:19], 4
	s_lshl_b64 s[18:19], s[28:29], 5
	v_add_nc_u64_e32 v[10:11], v[10:11], v[12:13]
	v_cmp_gt_i64_e64 s28, s[36:37], 0
	v_add_nc_u64_e32 v[12:13], v[14:15], v[18:19]
	v_lshl_or_b32 v28, v2, 7, v18
	s_mov_b32 s40, s38
	s_lshl_b64 s[10:11], s[10:11], 5
	s_lshl_b64 s[24:25], s[26:27], 2
	;; [unrolled: 1-line block ×3, first 2 shown]
	s_branch .LBB49_4
.LBB49_2:                               ;   in Loop: Header=BB49_4 Depth=1
	s_wait_xcnt 0x0
	s_or_b32 exec_lo, exec_lo, s26
.LBB49_3:                               ;   in Loop: Header=BB49_4 Depth=1
	s_add_co_i32 s34, s34, 0x10000
	s_delay_alu instid0(SALU_CYCLE_1)
	s_cmp_lt_i32 s34, s33
	s_cbranch_scc0 .LBB49_34
.LBB49_4:                               ; =>This Loop Header: Depth=1
                                        ;     Child Loop BB49_7 Depth 2
	v_dual_mov_b32 v14, s34 :: v_dual_mov_b32 v19, 0
	v_dual_mov_b32 v18, 0 :: v_dual_mov_b32 v15, 0
	s_and_not1_b32 vcc_lo, exec_lo, s28
	s_clause 0x1
	global_load_b64 v[16:17], v14, s[16:17] scale_offset
	global_load_b64 v[20:21], v14, s[22:23] scale_offset
	s_wait_xcnt 0x0
	v_mov_b32_e32 v14, 0
	s_cbranch_vccnz .LBB49_11
; %bb.5:                                ;   in Loop: Header=BB49_4 Depth=1
	s_lshl_b64 s[26:27], s[34:35], 3
	v_mov_b32_e32 v18, 0
	s_add_nc_u64 s[30:31], s[14:15], s[26:27]
	s_add_nc_u64 s[26:27], s[8:9], s[26:27]
	s_clause 0x1
	global_load_b64 v[14:15], v3, s[30:31]
	global_load_b64 v[24:25], v3, s[26:27]
	s_wait_xcnt 0x0
	s_mov_b64 s[26:27], 0
	v_mov_b32_e32 v19, v18
	s_wait_loadcnt 0x1
	v_add_nc_u64_e32 v[22:23], v[14:15], v[10:11]
	s_wait_loadcnt 0x0
	v_add_nc_u64_e32 v[24:25], v[24:25], v[12:13]
	v_dual_mov_b32 v14, v18 :: v_dual_mov_b32 v15, v18
	s_branch .LBB49_7
.LBB49_6:                               ;   in Loop: Header=BB49_7 Depth=2
	s_wait_xcnt 0x0
	s_or_b32 exec_lo, exec_lo, s29
	s_wait_loadcnt_dscnt 0x0
	ds_store_b32 v29, v27
	s_wait_dscnt 0x0
	s_barrier_signal -1
	s_barrier_wait -1
	ds_load_b128 v[32:35], v31
	ds_load_2addr_b32 v[26:27], v30 offset1:16
	ds_load_b128 v[36:39], v31 offset:512
	ds_load_2addr_b32 v[48:49], v30 offset0:32 offset1:48
	ds_load_2addr_b32 v[50:51], v30 offset0:64 offset1:80
	;; [unrolled: 1-line block ×3, first 2 shown]
	ds_load_b128 v[40:43], v31 offset:16
	ds_load_2addr_b32 v[54:55], v30 offset0:128 offset1:144
	ds_load_b128 v[44:47], v31 offset:528
	s_add_nc_u64 s[26:27], s[26:27], 8
	v_add_nc_u64_e32 v[22:23], s[18:19], v[22:23]
	v_cmp_lt_i64_e64 s29, s[26:27], s[36:37]
	v_add_nc_u64_e32 v[24:25], s[10:11], v[24:25]
	s_and_b32 vcc_lo, exec_lo, s29
	s_wait_dscnt 0x7
	v_pk_fma_f32 v[18:19], v[26:27], v[32:33], v[18:19] op_sel_hi:[1,0,1]
	s_wait_dscnt 0x6
	v_pk_fma_f32 v[14:15], v[26:27], v[36:37], v[14:15] op_sel_hi:[1,0,1]
	ds_load_2addr_b32 v[26:27], v30 offset0:160 offset1:176
	s_wait_dscnt 0x6
	v_pk_fma_f32 v[18:19], v[48:49], v[32:33], v[18:19] op_sel:[0,1,0]
	v_pk_fma_f32 v[14:15], v[48:49], v[36:37], v[14:15] op_sel:[0,1,0]
	ds_load_2addr_b32 v[32:33], v30 offset0:192 offset1:208
	v_dual_mov_b32 v36, v35 :: v_dual_mov_b32 v48, v39
	s_wait_dscnt 0x6
	v_pk_fma_f32 v[18:19], v[50:51], v[34:35], v[18:19] op_sel_hi:[1,0,1]
	v_pk_fma_f32 v[14:15], v[50:51], v[38:39], v[14:15] op_sel_hi:[1,0,1]
	ds_load_2addr_b32 v[34:35], v30 offset0:224 offset1:240
	s_wait_dscnt 0x0
	s_barrier_signal -1
	v_pk_fma_f32 v[18:19], v[52:53], v[36:37], v[18:19] op_sel_hi:[1,0,1]
	v_pk_fma_f32 v[14:15], v[52:53], v[48:49], v[14:15] op_sel_hi:[1,0,1]
	s_barrier_wait -1
	v_mov_b32_e32 v36, v47
	s_delay_alu instid0(VALU_DEP_3) | instskip(NEXT) | instid1(VALU_DEP_3)
	v_pk_fma_f32 v[18:19], v[54:55], v[40:41], v[18:19] op_sel_hi:[1,0,1]
	v_pk_fma_f32 v[14:15], v[54:55], v[44:45], v[14:15] op_sel_hi:[1,0,1]
	s_delay_alu instid0(VALU_DEP_2) | instskip(NEXT) | instid1(VALU_DEP_2)
	v_pk_fma_f32 v[18:19], v[26:27], v[40:41], v[18:19] op_sel:[0,1,0]
	v_pk_fma_f32 v[14:15], v[26:27], v[44:45], v[14:15] op_sel:[0,1,0]
	v_mov_b32_e32 v26, v43
	s_delay_alu instid0(VALU_DEP_3) | instskip(NEXT) | instid1(VALU_DEP_3)
	v_pk_fma_f32 v[18:19], v[32:33], v[42:43], v[18:19] op_sel_hi:[1,0,1]
	v_pk_fma_f32 v[14:15], v[32:33], v[46:47], v[14:15] op_sel_hi:[1,0,1]
	s_delay_alu instid0(VALU_DEP_2) | instskip(NEXT) | instid1(VALU_DEP_2)
	v_pk_fma_f32 v[18:19], v[34:35], v[26:27], v[18:19] op_sel_hi:[1,0,1]
	v_pk_fma_f32 v[14:15], v[34:35], v[36:37], v[14:15] op_sel_hi:[1,0,1]
	s_cbranch_vccz .LBB49_11
.LBB49_7:                               ;   Parent Loop BB49_4 Depth=1
                                        ; =>  This Inner Loop Header: Depth=2
	v_add_nc_u64_e32 v[26:27], s[26:27], v[2:3]
	s_delay_alu instid0(VALU_DEP_1) | instskip(SKIP_2) | instid1(SALU_CYCLE_1)
	v_cmp_gt_i64_e32 vcc_lo, s[36:37], v[26:27]
	v_mov_b32_e32 v26, 0
	s_and_b32 s30, s0, vcc_lo
	s_and_saveexec_b32 s29, s30
	s_cbranch_execz .LBB49_9
; %bb.8:                                ;   in Loop: Header=BB49_7 Depth=2
	flat_load_b32 v26, v[24:25]
.LBB49_9:                               ;   in Loop: Header=BB49_7 Depth=2
	s_wait_xcnt 0x0
	s_or_b32 exec_lo, exec_lo, s29
	v_add_nc_u64_e32 v[32:33], s[26:27], v[0:1]
	v_mov_b32_e32 v27, 0
	s_wait_loadcnt_dscnt 0x0
	ds_store_b32 v28, v26
	v_cmp_gt_i64_e32 vcc_lo, s[36:37], v[32:33]
	s_and_b32 s30, vcc_lo, s1
	s_delay_alu instid0(SALU_CYCLE_1)
	s_and_saveexec_b32 s29, s30
	s_cbranch_execz .LBB49_6
; %bb.10:                               ;   in Loop: Header=BB49_7 Depth=2
	flat_load_b32 v27, v[22:23]
	s_branch .LBB49_6
.LBB49_11:                              ;   in Loop: Header=BB49_4 Depth=1
	s_wait_loadcnt 0x0
	v_add_nc_u64_e32 v[20:21], s[24:25], v[20:21]
	s_and_not1_b32 vcc_lo, exec_lo, s39
	s_cbranch_vccnz .LBB49_16
; %bb.12:                               ;   in Loop: Header=BB49_4 Depth=1
	s_and_saveexec_b32 s26, s2
	s_cbranch_execz .LBB49_23
; %bb.13:                               ;   in Loop: Header=BB49_4 Depth=1
	s_delay_alu instid0(VALU_DEP_1) | instskip(NEXT) | instid1(VALU_DEP_1)
	v_lshl_add_u64 v[22:23], v[6:7], 2, v[20:21]
	v_lshl_add_u64 v[24:25], v[4:5], 2, v[22:23]
	s_and_saveexec_b32 s27, s3
	s_cbranch_execnz .LBB49_17
; %bb.14:                               ;   in Loop: Header=BB49_4 Depth=1
	s_or_b32 exec_lo, exec_lo, s27
	s_and_saveexec_b32 s27, s4
	s_cbranch_execnz .LBB49_18
.LBB49_15:                              ;   in Loop: Header=BB49_4 Depth=1
	s_or_b32 exec_lo, exec_lo, s27
	s_delay_alu instid0(SALU_CYCLE_1)
	s_and_b32 exec_lo, exec_lo, s5
	s_cbranch_execnz .LBB49_19
	s_branch .LBB49_23
.LBB49_16:                              ;   in Loop: Header=BB49_4 Depth=1
	s_branch .LBB49_24
.LBB49_17:                              ;   in Loop: Header=BB49_4 Depth=1
	v_mul_f32_e32 v26, s38, v18
	flat_store_b32 v[24:25], v26
	s_wait_xcnt 0x0
	s_or_b32 exec_lo, exec_lo, s27
	s_and_saveexec_b32 s27, s4
	s_cbranch_execz .LBB49_15
.LBB49_18:                              ;   in Loop: Header=BB49_4 Depth=1
	v_mul_f32_e32 v26, s38, v19
	flat_store_b32 v[24:25], v26 offset:64
	s_wait_xcnt 0x0
	s_or_b32 exec_lo, exec_lo, s27
	s_delay_alu instid0(SALU_CYCLE_1)
	s_and_b32 exec_lo, exec_lo, s5
	s_cbranch_execz .LBB49_23
.LBB49_19:                              ;   in Loop: Header=BB49_4 Depth=1
	v_lshl_add_u64 v[22:23], s[6:7], 2, v[22:23]
	s_delay_alu instid0(VALU_DEP_1)
	v_lshl_add_u64 v[22:23], v[4:5], 2, v[22:23]
	s_and_saveexec_b32 s27, s3
	s_cbranch_execz .LBB49_21
; %bb.20:                               ;   in Loop: Header=BB49_4 Depth=1
	v_mul_f32_e32 v24, s38, v14
	flat_store_b32 v[22:23], v24
.LBB49_21:                              ;   in Loop: Header=BB49_4 Depth=1
	s_wait_xcnt 0x0
	s_or_b32 exec_lo, exec_lo, s27
	s_delay_alu instid0(SALU_CYCLE_1)
	s_and_b32 exec_lo, exec_lo, s4
	s_cbranch_execz .LBB49_23
; %bb.22:                               ;   in Loop: Header=BB49_4 Depth=1
	v_mul_f32_e32 v24, s38, v15
	flat_store_b32 v[22:23], v24 offset:64
.LBB49_23:                              ;   in Loop: Header=BB49_4 Depth=1
	s_wait_xcnt 0x0
	s_or_b32 exec_lo, exec_lo, s26
	s_cbranch_execnz .LBB49_3
.LBB49_24:                              ;   in Loop: Header=BB49_4 Depth=1
	s_and_saveexec_b32 s26, s2
	s_cbranch_execz .LBB49_2
; %bb.25:                               ;   in Loop: Header=BB49_4 Depth=1
	v_add_nc_u64_e32 v[22:23], s[20:21], v[16:17]
	v_lshlrev_b64_e32 v[16:17], 2, v[4:5]
	v_lshl_add_u64 v[20:21], v[6:7], 2, v[20:21]
	s_delay_alu instid0(VALU_DEP_3) | instskip(NEXT) | instid1(VALU_DEP_2)
	v_lshl_add_u64 v[22:23], v[8:9], 2, v[22:23]
	v_add_nc_u64_e32 v[24:25], v[20:21], v[16:17]
	s_delay_alu instid0(VALU_DEP_2)
	v_add_nc_u64_e32 v[26:27], v[22:23], v[16:17]
	s_and_saveexec_b32 s27, s3
	s_cbranch_execnz .LBB49_28
; %bb.26:                               ;   in Loop: Header=BB49_4 Depth=1
	s_or_b32 exec_lo, exec_lo, s27
	s_and_saveexec_b32 s27, s4
	s_cbranch_execnz .LBB49_29
.LBB49_27:                              ;   in Loop: Header=BB49_4 Depth=1
	s_or_b32 exec_lo, exec_lo, s27
	s_delay_alu instid0(SALU_CYCLE_1)
	s_and_b32 exec_lo, exec_lo, s5
	s_cbranch_execz .LBB49_2
	s_branch .LBB49_30
.LBB49_28:                              ;   in Loop: Header=BB49_4 Depth=1
	flat_load_b32 v33, v[26:27]
	v_mov_b64_e32 v[34:35], s[40:41]
	v_mov_b32_e32 v32, v18
	s_wait_loadcnt_dscnt 0x0
	s_delay_alu instid0(VALU_DEP_1) | instskip(NEXT) | instid1(VALU_DEP_1)
	v_pk_mul_f32 v[32:33], v[34:35], v[32:33]
	v_add_f32_e32 v18, v32, v33
	flat_store_b32 v[24:25], v18
	s_wait_xcnt 0x0
	s_or_b32 exec_lo, exec_lo, s27
	s_and_saveexec_b32 s27, s4
	s_cbranch_execz .LBB49_27
.LBB49_29:                              ;   in Loop: Header=BB49_4 Depth=1
	flat_load_b32 v27, v[26:27] offset:64
	s_wait_xcnt 0x0
	v_mov_b32_e32 v26, v19
	v_mov_b64_e32 v[18:19], s[40:41]
	s_wait_loadcnt_dscnt 0x0
	s_delay_alu instid0(VALU_DEP_1) | instskip(NEXT) | instid1(VALU_DEP_1)
	v_pk_mul_f32 v[18:19], v[18:19], v[26:27]
	v_add_f32_e32 v18, v18, v19
	flat_store_b32 v[24:25], v18 offset:64
	s_wait_xcnt 0x0
	s_or_b32 exec_lo, exec_lo, s27
	s_delay_alu instid0(SALU_CYCLE_1)
	s_and_b32 exec_lo, exec_lo, s5
	s_cbranch_execz .LBB49_2
.LBB49_30:                              ;   in Loop: Header=BB49_4 Depth=1
	v_lshl_add_u64 v[18:19], s[12:13], 2, v[22:23]
	v_lshl_add_u64 v[20:21], s[6:7], 2, v[20:21]
	s_delay_alu instid0(VALU_DEP_2) | instskip(NEXT) | instid1(VALU_DEP_2)
	v_add_nc_u64_e32 v[18:19], v[18:19], v[16:17]
	v_add_nc_u64_e32 v[16:17], v[20:21], v[16:17]
	s_and_saveexec_b32 s27, s3
	s_cbranch_execz .LBB49_32
; %bb.31:                               ;   in Loop: Header=BB49_4 Depth=1
	flat_load_b32 v21, v[18:19]
	v_mov_b64_e32 v[22:23], s[40:41]
	v_mov_b32_e32 v20, v14
	s_wait_loadcnt_dscnt 0x0
	s_delay_alu instid0(VALU_DEP_1) | instskip(NEXT) | instid1(VALU_DEP_1)
	v_pk_mul_f32 v[20:21], v[22:23], v[20:21]
	v_add_f32_e32 v14, v20, v21
	flat_store_b32 v[16:17], v14
.LBB49_32:                              ;   in Loop: Header=BB49_4 Depth=1
	s_wait_xcnt 0x0
	s_or_b32 exec_lo, exec_lo, s27
	s_delay_alu instid0(SALU_CYCLE_1)
	s_and_b32 exec_lo, exec_lo, s4
	s_cbranch_execz .LBB49_2
; %bb.33:                               ;   in Loop: Header=BB49_4 Depth=1
	flat_load_b32 v19, v[18:19] offset:64
	s_wait_xcnt 0x0
	v_mov_b32_e32 v18, v15
	v_mov_b64_e32 v[14:15], s[40:41]
	s_wait_loadcnt_dscnt 0x0
	s_delay_alu instid0(VALU_DEP_1) | instskip(NEXT) | instid1(VALU_DEP_1)
	v_pk_mul_f32 v[14:15], v[14:15], v[18:19]
	v_add_f32_e32 v14, v14, v15
	flat_store_b32 v[16:17], v14 offset:64
	s_branch .LBB49_2
.LBB49_34:
	s_endpgm
	.section	.rodata,"a",@progbits
	.p2align	6, 0x0
	.amdhsa_kernel _ZN12_GLOBAL__N_135rocblas_gemm_batched_general_kernelIfLi16ELi16ELi32ELi32ELi8ELi32ELi8ELi8ELi32ELc78ELc84EKPKfS3_KPfEEvlllT_PT11_llS8_llS6_PT12_llPT13_lli
		.amdhsa_group_segment_fixed_size 2048
		.amdhsa_private_segment_fixed_size 0
		.amdhsa_kernarg_size 140
		.amdhsa_user_sgpr_count 2
		.amdhsa_user_sgpr_dispatch_ptr 0
		.amdhsa_user_sgpr_queue_ptr 0
		.amdhsa_user_sgpr_kernarg_segment_ptr 1
		.amdhsa_user_sgpr_dispatch_id 0
		.amdhsa_user_sgpr_kernarg_preload_length 0
		.amdhsa_user_sgpr_kernarg_preload_offset 0
		.amdhsa_user_sgpr_private_segment_size 0
		.amdhsa_wavefront_size32 1
		.amdhsa_uses_dynamic_stack 0
		.amdhsa_enable_private_segment 0
		.amdhsa_system_sgpr_workgroup_id_x 1
		.amdhsa_system_sgpr_workgroup_id_y 1
		.amdhsa_system_sgpr_workgroup_id_z 1
		.amdhsa_system_sgpr_workgroup_info 0
		.amdhsa_system_vgpr_workitem_id 1
		.amdhsa_next_free_vgpr 56
		.amdhsa_next_free_sgpr 46
		.amdhsa_named_barrier_count 0
		.amdhsa_reserve_vcc 1
		.amdhsa_float_round_mode_32 0
		.amdhsa_float_round_mode_16_64 0
		.amdhsa_float_denorm_mode_32 3
		.amdhsa_float_denorm_mode_16_64 3
		.amdhsa_fp16_overflow 0
		.amdhsa_memory_ordered 1
		.amdhsa_forward_progress 1
		.amdhsa_inst_pref_size 15
		.amdhsa_round_robin_scheduling 0
		.amdhsa_exception_fp_ieee_invalid_op 0
		.amdhsa_exception_fp_denorm_src 0
		.amdhsa_exception_fp_ieee_div_zero 0
		.amdhsa_exception_fp_ieee_overflow 0
		.amdhsa_exception_fp_ieee_underflow 0
		.amdhsa_exception_fp_ieee_inexact 0
		.amdhsa_exception_int_div_zero 0
	.end_amdhsa_kernel
	.section	.text._ZN12_GLOBAL__N_135rocblas_gemm_batched_general_kernelIfLi16ELi16ELi32ELi32ELi8ELi32ELi8ELi8ELi32ELc78ELc84EKPKfS3_KPfEEvlllT_PT11_llS8_llS6_PT12_llPT13_lli,"axG",@progbits,_ZN12_GLOBAL__N_135rocblas_gemm_batched_general_kernelIfLi16ELi16ELi32ELi32ELi8ELi32ELi8ELi8ELi32ELc78ELc84EKPKfS3_KPfEEvlllT_PT11_llS8_llS6_PT12_llPT13_lli,comdat
.Lfunc_end49:
	.size	_ZN12_GLOBAL__N_135rocblas_gemm_batched_general_kernelIfLi16ELi16ELi32ELi32ELi8ELi32ELi8ELi8ELi32ELc78ELc84EKPKfS3_KPfEEvlllT_PT11_llS8_llS6_PT12_llPT13_lli, .Lfunc_end49-_ZN12_GLOBAL__N_135rocblas_gemm_batched_general_kernelIfLi16ELi16ELi32ELi32ELi8ELi32ELi8ELi8ELi32ELc78ELc84EKPKfS3_KPfEEvlllT_PT11_llS8_llS6_PT12_llPT13_lli
                                        ; -- End function
	.set _ZN12_GLOBAL__N_135rocblas_gemm_batched_general_kernelIfLi16ELi16ELi32ELi32ELi8ELi32ELi8ELi8ELi32ELc78ELc84EKPKfS3_KPfEEvlllT_PT11_llS8_llS6_PT12_llPT13_lli.num_vgpr, 56
	.set _ZN12_GLOBAL__N_135rocblas_gemm_batched_general_kernelIfLi16ELi16ELi32ELi32ELi8ELi32ELi8ELi8ELi32ELc78ELc84EKPKfS3_KPfEEvlllT_PT11_llS8_llS6_PT12_llPT13_lli.num_agpr, 0
	.set _ZN12_GLOBAL__N_135rocblas_gemm_batched_general_kernelIfLi16ELi16ELi32ELi32ELi8ELi32ELi8ELi8ELi32ELc78ELc84EKPKfS3_KPfEEvlllT_PT11_llS8_llS6_PT12_llPT13_lli.numbered_sgpr, 46
	.set _ZN12_GLOBAL__N_135rocblas_gemm_batched_general_kernelIfLi16ELi16ELi32ELi32ELi8ELi32ELi8ELi8ELi32ELc78ELc84EKPKfS3_KPfEEvlllT_PT11_llS8_llS6_PT12_llPT13_lli.num_named_barrier, 0
	.set _ZN12_GLOBAL__N_135rocblas_gemm_batched_general_kernelIfLi16ELi16ELi32ELi32ELi8ELi32ELi8ELi8ELi32ELc78ELc84EKPKfS3_KPfEEvlllT_PT11_llS8_llS6_PT12_llPT13_lli.private_seg_size, 0
	.set _ZN12_GLOBAL__N_135rocblas_gemm_batched_general_kernelIfLi16ELi16ELi32ELi32ELi8ELi32ELi8ELi8ELi32ELc78ELc84EKPKfS3_KPfEEvlllT_PT11_llS8_llS6_PT12_llPT13_lli.uses_vcc, 1
	.set _ZN12_GLOBAL__N_135rocblas_gemm_batched_general_kernelIfLi16ELi16ELi32ELi32ELi8ELi32ELi8ELi8ELi32ELc78ELc84EKPKfS3_KPfEEvlllT_PT11_llS8_llS6_PT12_llPT13_lli.uses_flat_scratch, 0
	.set _ZN12_GLOBAL__N_135rocblas_gemm_batched_general_kernelIfLi16ELi16ELi32ELi32ELi8ELi32ELi8ELi8ELi32ELc78ELc84EKPKfS3_KPfEEvlllT_PT11_llS8_llS6_PT12_llPT13_lli.has_dyn_sized_stack, 0
	.set _ZN12_GLOBAL__N_135rocblas_gemm_batched_general_kernelIfLi16ELi16ELi32ELi32ELi8ELi32ELi8ELi8ELi32ELc78ELc84EKPKfS3_KPfEEvlllT_PT11_llS8_llS6_PT12_llPT13_lli.has_recursion, 0
	.set _ZN12_GLOBAL__N_135rocblas_gemm_batched_general_kernelIfLi16ELi16ELi32ELi32ELi8ELi32ELi8ELi8ELi32ELc78ELc84EKPKfS3_KPfEEvlllT_PT11_llS8_llS6_PT12_llPT13_lli.has_indirect_call, 0
	.section	.AMDGPU.csdata,"",@progbits
; Kernel info:
; codeLenInByte = 1844
; TotalNumSgprs: 48
; NumVgprs: 56
; ScratchSize: 0
; MemoryBound: 0
; FloatMode: 240
; IeeeMode: 1
; LDSByteSize: 2048 bytes/workgroup (compile time only)
; SGPRBlocks: 0
; VGPRBlocks: 3
; NumSGPRsForWavesPerEU: 48
; NumVGPRsForWavesPerEU: 56
; NamedBarCnt: 0
; Occupancy: 16
; WaveLimiterHint : 1
; COMPUTE_PGM_RSRC2:SCRATCH_EN: 0
; COMPUTE_PGM_RSRC2:USER_SGPR: 2
; COMPUTE_PGM_RSRC2:TRAP_HANDLER: 0
; COMPUTE_PGM_RSRC2:TGID_X_EN: 1
; COMPUTE_PGM_RSRC2:TGID_Y_EN: 1
; COMPUTE_PGM_RSRC2:TGID_Z_EN: 1
; COMPUTE_PGM_RSRC2:TIDIG_COMP_CNT: 1
	.section	.text._ZN12_GLOBAL__N_135rocblas_gemm_batched_general_kernelIfLi16ELi16ELi32ELi32ELi8ELi32ELi8ELi8ELi32ELc84ELc84EKPKfS3_KPfEEvlllT_PT11_llS8_llS6_PT12_llPT13_lli,"axG",@progbits,_ZN12_GLOBAL__N_135rocblas_gemm_batched_general_kernelIfLi16ELi16ELi32ELi32ELi8ELi32ELi8ELi8ELi32ELc84ELc84EKPKfS3_KPfEEvlllT_PT11_llS8_llS6_PT12_llPT13_lli,comdat
	.globl	_ZN12_GLOBAL__N_135rocblas_gemm_batched_general_kernelIfLi16ELi16ELi32ELi32ELi8ELi32ELi8ELi8ELi32ELc84ELc84EKPKfS3_KPfEEvlllT_PT11_llS8_llS6_PT12_llPT13_lli ; -- Begin function _ZN12_GLOBAL__N_135rocblas_gemm_batched_general_kernelIfLi16ELi16ELi32ELi32ELi8ELi32ELi8ELi8ELi32ELc84ELc84EKPKfS3_KPfEEvlllT_PT11_llS8_llS6_PT12_llPT13_lli
	.p2align	8
	.type	_ZN12_GLOBAL__N_135rocblas_gemm_batched_general_kernelIfLi16ELi16ELi32ELi32ELi8ELi32ELi8ELi8ELi32ELc84ELc84EKPKfS3_KPfEEvlllT_PT11_llS8_llS6_PT12_llPT13_lli,@function
_ZN12_GLOBAL__N_135rocblas_gemm_batched_general_kernelIfLi16ELi16ELi32ELi32ELi8ELi32ELi8ELi8ELi32ELc84ELc84EKPKfS3_KPfEEvlllT_PT11_llS8_llS6_PT12_llPT13_lli: ; @_ZN12_GLOBAL__N_135rocblas_gemm_batched_general_kernelIfLi16ELi16ELi32ELi32ELi8ELi32ELi8ELi8ELi32ELc84ELc84EKPKfS3_KPfEEvlllT_PT11_llS8_llS6_PT12_llPT13_lli
; %bb.0:
	s_load_b32 s33, s[0:1], 0x88
	s_bfe_u32 s2, ttmp6, 0x40014
	s_lshr_b32 s3, ttmp7, 16
	s_add_co_i32 s2, s2, 1
	s_bfe_u32 s5, ttmp6, 0x40008
	s_mul_i32 s4, s3, s2
	s_getreg_b32 s2, hwreg(HW_REG_IB_STS2, 6, 4)
	s_add_co_i32 s5, s5, s4
	s_cmp_eq_u32 s2, 0
	s_mov_b32 s35, 0
	s_cselect_b32 s34, s3, s5
	s_wait_kmcnt 0x0
	s_cmp_ge_i32 s34, s33
	s_cbranch_scc1 .LBB50_34
; %bb.1:
	v_bfe_u32 v10, v0, 10, 10
	v_and_b32_e32 v12, 0x3ff, v0
	s_clause 0x6
	s_load_b128 s[4:7], s[0:1], 0x0
	s_load_b96 s[36:38], s[0:1], 0x10
	s_load_b256 s[8:15], s[0:1], 0x20
	s_load_b128 s[24:27], s[0:1], 0x40
	s_load_b32 s41, s[0:1], 0x50
	s_load_b128 s[28:31], s[0:1], 0x78
	s_load_b256 s[16:23], s[0:1], 0x58
	s_wait_xcnt 0x0
	s_bfe_u32 s0, ttmp6, 0x4000c
	s_bfe_u32 s3, ttmp6, 0x40010
	s_add_co_i32 s0, s0, 1
	s_and_b32 s39, ttmp7, 0xffff
	s_add_co_i32 s3, s3, 1
	s_and_b32 s1, ttmp6, 15
	s_mul_i32 s0, ttmp9, s0
	s_mul_i32 s3, s39, s3
	s_bfe_u32 s40, ttmp6, 0x40004
	v_lshl_add_u32 v6, v10, 4, v12
	s_add_co_i32 s1, s1, s0
	s_add_co_i32 s40, s40, s3
	s_cmp_eq_u32 s2, 0
	s_delay_alu instid0(VALU_DEP_1) | instskip(SKIP_3) | instid1(VALU_DEP_1)
	v_dual_mov_b32 v1, 0 :: v_dual_bitop2_b32 v8, 31, v6 bitop3:0x40
	s_cselect_b32 s0, ttmp9, s1
	s_cselect_b32 s40, s39, s40
	s_ashr_i32 s1, s0, 31
	v_dual_mov_b32 v11, v1 :: v_dual_bitop2_b32 v2, 7, v0 bitop3:0x40
	s_lshl_b64 s[2:3], s[0:1], 5
	v_dual_mov_b32 v3, v1 :: v_dual_lshrrev_b32 v14, 3, v6
	v_dual_mov_b32 v15, v1 :: v_dual_bitop2_b32 v4, s2, v8 bitop3:0x54
	s_delay_alu instid0(VALU_DEP_3) | instskip(SKIP_1) | instid1(VALU_DEP_3)
	v_dual_mov_b32 v5, s3 :: v_dual_lshlrev_b32 v9, 2, v2
	s_wait_kmcnt 0x0
	v_mul_u64_e32 v[16:17], s[24:25], v[2:3]
	s_lshl_b32 s0, s40, 5
	s_mov_b32 s1, s35
	v_mul_u64_e32 v[18:19], s[10:11], v[4:5]
	v_dual_lshrrev_b32 v0, 5, v6 :: v_dual_lshlrev_b32 v8, 2, v8
	v_add_nc_u64_e32 v[6:7], s[0:1], v[14:15]
	v_add_nc_u64_e32 v[20:21], s[0:1], v[10:11]
	v_lshl_or_b32 v9, v14, 5, v9
	v_dual_mov_b32 v13, v1 :: v_dual_lshlrev_b32 v30, 2, v12
	v_lshl_or_b32 v28, v0, 7, v8
	v_cmp_gt_i64_e64 s0, s[4:5], v[4:5]
	v_cmp_gt_i64_e64 s1, s[6:7], v[6:7]
	v_add_nc_u32_e32 v29, 0x400, v9
	v_mul_u64_e32 v[6:7], s[28:29], v[20:21]
	v_mul_u64_e32 v[8:9], s[18:19], v[20:21]
	v_add_nc_u64_e32 v[4:5], s[2:3], v[12:13]
	v_lshl_add_u32 v31, v10, 5, 0x400
	v_add_nc_u64_e32 v[12:13], 16, v[20:21]
	s_cmp_eq_f32 s41, 0
	s_mov_b32 s11, s35
	v_cmp_gt_i64_e64 s2, s[6:7], v[20:21]
	s_delay_alu instid0(VALU_DEP_4)
	v_add_nc_u64_e32 v[10:11], 16, v[4:5]
	s_cselect_b32 s39, -1, 0
	s_lshl_b32 s10, s40, 7
	s_lshl_b64 s[26:27], s[26:27], 2
	v_cmp_gt_i64_e64 s3, s[4:5], v[4:5]
	s_add_nc_u64 s[10:11], s[26:27], s[10:11]
	v_cmp_gt_i64_e64 s26, s[36:37], 0
	v_cmp_gt_i64_e64 s4, s[4:5], v[10:11]
	;; [unrolled: 1-line block ×3, first 2 shown]
	s_lshl_b64 s[6:7], s[12:13], 2
	v_lshl_add_u64 v[10:11], v[16:17], 2, s[10:11]
	v_dual_mov_b32 v13, v1 :: v_dual_lshlrev_b32 v12, 2, v14
	v_lshl_add_u64 v[14:15], v[18:19], 2, s[6:7]
	v_dual_mov_b32 v17, v1 :: v_dual_lshlrev_b32 v16, 2, v0
	s_lshl_b64 s[6:7], s[28:29], 4
	s_delay_alu instid0(VALU_DEP_3)
	v_add_nc_u64_e32 v[10:11], v[10:11], v[12:13]
	s_mov_b32 s40, s38
	s_lshl_b64 s[10:11], s[18:19], 4
	v_add_nc_u64_e32 v[12:13], v[14:15], v[16:17]
	s_lshl_b64 s[12:13], s[24:25], 5
	s_lshl_b64 s[18:19], s[30:31], 2
	;; [unrolled: 1-line block ×3, first 2 shown]
	s_branch .LBB50_4
.LBB50_2:                               ;   in Loop: Header=BB50_4 Depth=1
	s_wait_xcnt 0x0
	s_or_b32 exec_lo, exec_lo, s24
.LBB50_3:                               ;   in Loop: Header=BB50_4 Depth=1
	s_add_co_i32 s34, s34, 0x10000
	s_delay_alu instid0(SALU_CYCLE_1)
	s_cmp_lt_i32 s34, s33
	s_cbranch_scc0 .LBB50_34
.LBB50_4:                               ; =>This Loop Header: Depth=1
                                        ;     Child Loop BB50_7 Depth 2
	v_dual_mov_b32 v14, s34 :: v_dual_mov_b32 v19, 0
	v_dual_mov_b32 v18, 0 :: v_dual_mov_b32 v15, 0
	s_and_not1_b32 vcc_lo, exec_lo, s26
	s_clause 0x1
	global_load_b64 v[16:17], v14, s[16:17] scale_offset
	global_load_b64 v[20:21], v14, s[22:23] scale_offset
	s_wait_xcnt 0x0
	v_mov_b32_e32 v14, 0
	s_cbranch_vccnz .LBB50_11
; %bb.5:                                ;   in Loop: Header=BB50_4 Depth=1
	s_lshl_b64 s[24:25], s[34:35], 3
	v_mov_b32_e32 v18, 0
	s_add_nc_u64 s[28:29], s[14:15], s[24:25]
	s_add_nc_u64 s[24:25], s[8:9], s[24:25]
	s_clause 0x1
	global_load_b64 v[14:15], v1, s[28:29]
	global_load_b64 v[24:25], v1, s[24:25]
	s_wait_xcnt 0x0
	s_mov_b64 s[24:25], 0
	v_mov_b32_e32 v19, v18
	s_wait_loadcnt 0x1
	v_add_nc_u64_e32 v[22:23], v[14:15], v[10:11]
	s_wait_loadcnt 0x0
	v_add_nc_u64_e32 v[24:25], v[24:25], v[12:13]
	v_dual_mov_b32 v14, v18 :: v_dual_mov_b32 v15, v18
	s_branch .LBB50_7
.LBB50_6:                               ;   in Loop: Header=BB50_7 Depth=2
	s_wait_xcnt 0x0
	s_or_b32 exec_lo, exec_lo, s27
	s_wait_loadcnt_dscnt 0x0
	ds_store_b32 v29, v27
	s_wait_dscnt 0x0
	s_barrier_signal -1
	s_barrier_wait -1
	ds_load_b128 v[32:35], v31
	ds_load_2addr_b32 v[26:27], v30 offset1:16
	ds_load_b128 v[36:39], v31 offset:512
	ds_load_2addr_b32 v[48:49], v30 offset0:32 offset1:48
	ds_load_2addr_b32 v[50:51], v30 offset0:64 offset1:80
	;; [unrolled: 1-line block ×3, first 2 shown]
	ds_load_b128 v[40:43], v31 offset:16
	ds_load_2addr_b32 v[54:55], v30 offset0:128 offset1:144
	ds_load_b128 v[44:47], v31 offset:528
	s_add_nc_u64 s[24:25], s[24:25], 8
	v_add_nc_u64_e32 v[22:23], s[12:13], v[22:23]
	v_cmp_lt_i64_e64 s27, s[24:25], s[36:37]
	v_add_nc_u64_e32 v[24:25], 32, v[24:25]
	s_and_b32 vcc_lo, exec_lo, s27
	s_wait_dscnt 0x7
	v_pk_fma_f32 v[18:19], v[26:27], v[32:33], v[18:19] op_sel_hi:[1,0,1]
	s_wait_dscnt 0x6
	v_pk_fma_f32 v[14:15], v[26:27], v[36:37], v[14:15] op_sel_hi:[1,0,1]
	ds_load_2addr_b32 v[26:27], v30 offset0:160 offset1:176
	s_wait_dscnt 0x6
	v_pk_fma_f32 v[18:19], v[48:49], v[32:33], v[18:19] op_sel:[0,1,0]
	v_pk_fma_f32 v[14:15], v[48:49], v[36:37], v[14:15] op_sel:[0,1,0]
	ds_load_2addr_b32 v[32:33], v30 offset0:192 offset1:208
	v_dual_mov_b32 v36, v35 :: v_dual_mov_b32 v48, v39
	s_wait_dscnt 0x6
	v_pk_fma_f32 v[18:19], v[50:51], v[34:35], v[18:19] op_sel_hi:[1,0,1]
	v_pk_fma_f32 v[14:15], v[50:51], v[38:39], v[14:15] op_sel_hi:[1,0,1]
	ds_load_2addr_b32 v[34:35], v30 offset0:224 offset1:240
	s_wait_dscnt 0x0
	s_barrier_signal -1
	v_pk_fma_f32 v[18:19], v[52:53], v[36:37], v[18:19] op_sel_hi:[1,0,1]
	v_pk_fma_f32 v[14:15], v[52:53], v[48:49], v[14:15] op_sel_hi:[1,0,1]
	s_barrier_wait -1
	v_mov_b32_e32 v36, v47
	s_delay_alu instid0(VALU_DEP_3) | instskip(NEXT) | instid1(VALU_DEP_3)
	v_pk_fma_f32 v[18:19], v[54:55], v[40:41], v[18:19] op_sel_hi:[1,0,1]
	v_pk_fma_f32 v[14:15], v[54:55], v[44:45], v[14:15] op_sel_hi:[1,0,1]
	s_delay_alu instid0(VALU_DEP_2) | instskip(NEXT) | instid1(VALU_DEP_2)
	v_pk_fma_f32 v[18:19], v[26:27], v[40:41], v[18:19] op_sel:[0,1,0]
	v_pk_fma_f32 v[14:15], v[26:27], v[44:45], v[14:15] op_sel:[0,1,0]
	v_mov_b32_e32 v26, v43
	s_delay_alu instid0(VALU_DEP_3) | instskip(NEXT) | instid1(VALU_DEP_3)
	v_pk_fma_f32 v[18:19], v[32:33], v[42:43], v[18:19] op_sel_hi:[1,0,1]
	v_pk_fma_f32 v[14:15], v[32:33], v[46:47], v[14:15] op_sel_hi:[1,0,1]
	s_delay_alu instid0(VALU_DEP_2) | instskip(NEXT) | instid1(VALU_DEP_2)
	v_pk_fma_f32 v[18:19], v[34:35], v[26:27], v[18:19] op_sel_hi:[1,0,1]
	v_pk_fma_f32 v[14:15], v[34:35], v[36:37], v[14:15] op_sel_hi:[1,0,1]
	s_cbranch_vccz .LBB50_11
.LBB50_7:                               ;   Parent Loop BB50_4 Depth=1
                                        ; =>  This Inner Loop Header: Depth=2
	v_add_nc_u64_e32 v[26:27], s[24:25], v[0:1]
	s_delay_alu instid0(VALU_DEP_1) | instskip(SKIP_2) | instid1(SALU_CYCLE_1)
	v_cmp_gt_i64_e32 vcc_lo, s[36:37], v[26:27]
	v_mov_b32_e32 v26, 0
	s_and_b32 s28, s0, vcc_lo
	s_and_saveexec_b32 s27, s28
	s_cbranch_execz .LBB50_9
; %bb.8:                                ;   in Loop: Header=BB50_7 Depth=2
	flat_load_b32 v26, v[24:25]
.LBB50_9:                               ;   in Loop: Header=BB50_7 Depth=2
	s_wait_xcnt 0x0
	s_or_b32 exec_lo, exec_lo, s27
	v_add_nc_u64_e32 v[32:33], s[24:25], v[2:3]
	v_mov_b32_e32 v27, 0
	s_wait_loadcnt_dscnt 0x0
	ds_store_b32 v28, v26
	v_cmp_gt_i64_e32 vcc_lo, s[36:37], v[32:33]
	s_and_b32 s28, vcc_lo, s1
	s_delay_alu instid0(SALU_CYCLE_1)
	s_and_saveexec_b32 s27, s28
	s_cbranch_execz .LBB50_6
; %bb.10:                               ;   in Loop: Header=BB50_7 Depth=2
	flat_load_b32 v27, v[22:23]
	s_branch .LBB50_6
.LBB50_11:                              ;   in Loop: Header=BB50_4 Depth=1
	s_wait_loadcnt 0x0
	v_add_nc_u64_e32 v[20:21], s[18:19], v[20:21]
	s_and_not1_b32 vcc_lo, exec_lo, s39
	s_cbranch_vccnz .LBB50_16
; %bb.12:                               ;   in Loop: Header=BB50_4 Depth=1
	s_and_saveexec_b32 s24, s2
	s_cbranch_execz .LBB50_23
; %bb.13:                               ;   in Loop: Header=BB50_4 Depth=1
	s_delay_alu instid0(VALU_DEP_1) | instskip(NEXT) | instid1(VALU_DEP_1)
	v_lshl_add_u64 v[22:23], v[6:7], 2, v[20:21]
	v_lshl_add_u64 v[24:25], v[4:5], 2, v[22:23]
	s_and_saveexec_b32 s25, s3
	s_cbranch_execnz .LBB50_17
; %bb.14:                               ;   in Loop: Header=BB50_4 Depth=1
	s_or_b32 exec_lo, exec_lo, s25
	s_and_saveexec_b32 s25, s4
	s_cbranch_execnz .LBB50_18
.LBB50_15:                              ;   in Loop: Header=BB50_4 Depth=1
	s_or_b32 exec_lo, exec_lo, s25
	s_delay_alu instid0(SALU_CYCLE_1)
	s_and_b32 exec_lo, exec_lo, s5
	s_cbranch_execnz .LBB50_19
	s_branch .LBB50_23
.LBB50_16:                              ;   in Loop: Header=BB50_4 Depth=1
	s_branch .LBB50_24
.LBB50_17:                              ;   in Loop: Header=BB50_4 Depth=1
	v_mul_f32_e32 v26, s38, v18
	flat_store_b32 v[24:25], v26
	s_wait_xcnt 0x0
	s_or_b32 exec_lo, exec_lo, s25
	s_and_saveexec_b32 s25, s4
	s_cbranch_execz .LBB50_15
.LBB50_18:                              ;   in Loop: Header=BB50_4 Depth=1
	v_mul_f32_e32 v26, s38, v19
	flat_store_b32 v[24:25], v26 offset:64
	s_wait_xcnt 0x0
	s_or_b32 exec_lo, exec_lo, s25
	s_delay_alu instid0(SALU_CYCLE_1)
	s_and_b32 exec_lo, exec_lo, s5
	s_cbranch_execz .LBB50_23
.LBB50_19:                              ;   in Loop: Header=BB50_4 Depth=1
	v_lshl_add_u64 v[22:23], s[6:7], 2, v[22:23]
	s_delay_alu instid0(VALU_DEP_1)
	v_lshl_add_u64 v[22:23], v[4:5], 2, v[22:23]
	s_and_saveexec_b32 s25, s3
	s_cbranch_execz .LBB50_21
; %bb.20:                               ;   in Loop: Header=BB50_4 Depth=1
	v_mul_f32_e32 v24, s38, v14
	flat_store_b32 v[22:23], v24
.LBB50_21:                              ;   in Loop: Header=BB50_4 Depth=1
	s_wait_xcnt 0x0
	s_or_b32 exec_lo, exec_lo, s25
	s_delay_alu instid0(SALU_CYCLE_1)
	s_and_b32 exec_lo, exec_lo, s4
	s_cbranch_execz .LBB50_23
; %bb.22:                               ;   in Loop: Header=BB50_4 Depth=1
	v_mul_f32_e32 v24, s38, v15
	flat_store_b32 v[22:23], v24 offset:64
.LBB50_23:                              ;   in Loop: Header=BB50_4 Depth=1
	s_wait_xcnt 0x0
	s_or_b32 exec_lo, exec_lo, s24
	s_cbranch_execnz .LBB50_3
.LBB50_24:                              ;   in Loop: Header=BB50_4 Depth=1
	s_and_saveexec_b32 s24, s2
	s_cbranch_execz .LBB50_2
; %bb.25:                               ;   in Loop: Header=BB50_4 Depth=1
	v_add_nc_u64_e32 v[22:23], s[20:21], v[16:17]
	v_lshlrev_b64_e32 v[16:17], 2, v[4:5]
	v_lshl_add_u64 v[20:21], v[6:7], 2, v[20:21]
	s_delay_alu instid0(VALU_DEP_3) | instskip(NEXT) | instid1(VALU_DEP_2)
	v_lshl_add_u64 v[22:23], v[8:9], 2, v[22:23]
	v_add_nc_u64_e32 v[24:25], v[20:21], v[16:17]
	s_delay_alu instid0(VALU_DEP_2)
	v_add_nc_u64_e32 v[26:27], v[22:23], v[16:17]
	s_and_saveexec_b32 s25, s3
	s_cbranch_execnz .LBB50_28
; %bb.26:                               ;   in Loop: Header=BB50_4 Depth=1
	s_or_b32 exec_lo, exec_lo, s25
	s_and_saveexec_b32 s25, s4
	s_cbranch_execnz .LBB50_29
.LBB50_27:                              ;   in Loop: Header=BB50_4 Depth=1
	s_or_b32 exec_lo, exec_lo, s25
	s_delay_alu instid0(SALU_CYCLE_1)
	s_and_b32 exec_lo, exec_lo, s5
	s_cbranch_execz .LBB50_2
	s_branch .LBB50_30
.LBB50_28:                              ;   in Loop: Header=BB50_4 Depth=1
	flat_load_b32 v33, v[26:27]
	v_mov_b64_e32 v[34:35], s[40:41]
	v_mov_b32_e32 v32, v18
	s_wait_loadcnt_dscnt 0x0
	s_delay_alu instid0(VALU_DEP_1) | instskip(NEXT) | instid1(VALU_DEP_1)
	v_pk_mul_f32 v[32:33], v[34:35], v[32:33]
	v_add_f32_e32 v18, v32, v33
	flat_store_b32 v[24:25], v18
	s_wait_xcnt 0x0
	s_or_b32 exec_lo, exec_lo, s25
	s_and_saveexec_b32 s25, s4
	s_cbranch_execz .LBB50_27
.LBB50_29:                              ;   in Loop: Header=BB50_4 Depth=1
	flat_load_b32 v27, v[26:27] offset:64
	s_wait_xcnt 0x0
	v_mov_b32_e32 v26, v19
	v_mov_b64_e32 v[18:19], s[40:41]
	s_wait_loadcnt_dscnt 0x0
	s_delay_alu instid0(VALU_DEP_1) | instskip(NEXT) | instid1(VALU_DEP_1)
	v_pk_mul_f32 v[18:19], v[18:19], v[26:27]
	v_add_f32_e32 v18, v18, v19
	flat_store_b32 v[24:25], v18 offset:64
	s_wait_xcnt 0x0
	s_or_b32 exec_lo, exec_lo, s25
	s_delay_alu instid0(SALU_CYCLE_1)
	s_and_b32 exec_lo, exec_lo, s5
	s_cbranch_execz .LBB50_2
.LBB50_30:                              ;   in Loop: Header=BB50_4 Depth=1
	v_lshl_add_u64 v[18:19], s[10:11], 2, v[22:23]
	v_lshl_add_u64 v[20:21], s[6:7], 2, v[20:21]
	s_delay_alu instid0(VALU_DEP_2) | instskip(NEXT) | instid1(VALU_DEP_2)
	v_add_nc_u64_e32 v[18:19], v[18:19], v[16:17]
	v_add_nc_u64_e32 v[16:17], v[20:21], v[16:17]
	s_and_saveexec_b32 s25, s3
	s_cbranch_execz .LBB50_32
; %bb.31:                               ;   in Loop: Header=BB50_4 Depth=1
	flat_load_b32 v21, v[18:19]
	v_mov_b64_e32 v[22:23], s[40:41]
	v_mov_b32_e32 v20, v14
	s_wait_loadcnt_dscnt 0x0
	s_delay_alu instid0(VALU_DEP_1) | instskip(NEXT) | instid1(VALU_DEP_1)
	v_pk_mul_f32 v[20:21], v[22:23], v[20:21]
	v_add_f32_e32 v14, v20, v21
	flat_store_b32 v[16:17], v14
.LBB50_32:                              ;   in Loop: Header=BB50_4 Depth=1
	s_wait_xcnt 0x0
	s_or_b32 exec_lo, exec_lo, s25
	s_delay_alu instid0(SALU_CYCLE_1)
	s_and_b32 exec_lo, exec_lo, s4
	s_cbranch_execz .LBB50_2
; %bb.33:                               ;   in Loop: Header=BB50_4 Depth=1
	flat_load_b32 v19, v[18:19] offset:64
	s_wait_xcnt 0x0
	v_mov_b32_e32 v18, v15
	v_mov_b64_e32 v[14:15], s[40:41]
	s_wait_loadcnt_dscnt 0x0
	s_delay_alu instid0(VALU_DEP_1) | instskip(NEXT) | instid1(VALU_DEP_1)
	v_pk_mul_f32 v[14:15], v[14:15], v[18:19]
	v_add_f32_e32 v14, v14, v15
	flat_store_b32 v[16:17], v14 offset:64
	s_branch .LBB50_2
.LBB50_34:
	s_endpgm
	.section	.rodata,"a",@progbits
	.p2align	6, 0x0
	.amdhsa_kernel _ZN12_GLOBAL__N_135rocblas_gemm_batched_general_kernelIfLi16ELi16ELi32ELi32ELi8ELi32ELi8ELi8ELi32ELc84ELc84EKPKfS3_KPfEEvlllT_PT11_llS8_llS6_PT12_llPT13_lli
		.amdhsa_group_segment_fixed_size 2048
		.amdhsa_private_segment_fixed_size 0
		.amdhsa_kernarg_size 140
		.amdhsa_user_sgpr_count 2
		.amdhsa_user_sgpr_dispatch_ptr 0
		.amdhsa_user_sgpr_queue_ptr 0
		.amdhsa_user_sgpr_kernarg_segment_ptr 1
		.amdhsa_user_sgpr_dispatch_id 0
		.amdhsa_user_sgpr_kernarg_preload_length 0
		.amdhsa_user_sgpr_kernarg_preload_offset 0
		.amdhsa_user_sgpr_private_segment_size 0
		.amdhsa_wavefront_size32 1
		.amdhsa_uses_dynamic_stack 0
		.amdhsa_enable_private_segment 0
		.amdhsa_system_sgpr_workgroup_id_x 1
		.amdhsa_system_sgpr_workgroup_id_y 1
		.amdhsa_system_sgpr_workgroup_id_z 1
		.amdhsa_system_sgpr_workgroup_info 0
		.amdhsa_system_vgpr_workitem_id 1
		.amdhsa_next_free_vgpr 56
		.amdhsa_next_free_sgpr 42
		.amdhsa_named_barrier_count 0
		.amdhsa_reserve_vcc 1
		.amdhsa_float_round_mode_32 0
		.amdhsa_float_round_mode_16_64 0
		.amdhsa_float_denorm_mode_32 3
		.amdhsa_float_denorm_mode_16_64 3
		.amdhsa_fp16_overflow 0
		.amdhsa_memory_ordered 1
		.amdhsa_forward_progress 1
		.amdhsa_inst_pref_size 15
		.amdhsa_round_robin_scheduling 0
		.amdhsa_exception_fp_ieee_invalid_op 0
		.amdhsa_exception_fp_denorm_src 0
		.amdhsa_exception_fp_ieee_div_zero 0
		.amdhsa_exception_fp_ieee_overflow 0
		.amdhsa_exception_fp_ieee_underflow 0
		.amdhsa_exception_fp_ieee_inexact 0
		.amdhsa_exception_int_div_zero 0
	.end_amdhsa_kernel
	.section	.text._ZN12_GLOBAL__N_135rocblas_gemm_batched_general_kernelIfLi16ELi16ELi32ELi32ELi8ELi32ELi8ELi8ELi32ELc84ELc84EKPKfS3_KPfEEvlllT_PT11_llS8_llS6_PT12_llPT13_lli,"axG",@progbits,_ZN12_GLOBAL__N_135rocblas_gemm_batched_general_kernelIfLi16ELi16ELi32ELi32ELi8ELi32ELi8ELi8ELi32ELc84ELc84EKPKfS3_KPfEEvlllT_PT11_llS8_llS6_PT12_llPT13_lli,comdat
.Lfunc_end50:
	.size	_ZN12_GLOBAL__N_135rocblas_gemm_batched_general_kernelIfLi16ELi16ELi32ELi32ELi8ELi32ELi8ELi8ELi32ELc84ELc84EKPKfS3_KPfEEvlllT_PT11_llS8_llS6_PT12_llPT13_lli, .Lfunc_end50-_ZN12_GLOBAL__N_135rocblas_gemm_batched_general_kernelIfLi16ELi16ELi32ELi32ELi8ELi32ELi8ELi8ELi32ELc84ELc84EKPKfS3_KPfEEvlllT_PT11_llS8_llS6_PT12_llPT13_lli
                                        ; -- End function
	.set _ZN12_GLOBAL__N_135rocblas_gemm_batched_general_kernelIfLi16ELi16ELi32ELi32ELi8ELi32ELi8ELi8ELi32ELc84ELc84EKPKfS3_KPfEEvlllT_PT11_llS8_llS6_PT12_llPT13_lli.num_vgpr, 56
	.set _ZN12_GLOBAL__N_135rocblas_gemm_batched_general_kernelIfLi16ELi16ELi32ELi32ELi8ELi32ELi8ELi8ELi32ELc84ELc84EKPKfS3_KPfEEvlllT_PT11_llS8_llS6_PT12_llPT13_lli.num_agpr, 0
	.set _ZN12_GLOBAL__N_135rocblas_gemm_batched_general_kernelIfLi16ELi16ELi32ELi32ELi8ELi32ELi8ELi8ELi32ELc84ELc84EKPKfS3_KPfEEvlllT_PT11_llS8_llS6_PT12_llPT13_lli.numbered_sgpr, 42
	.set _ZN12_GLOBAL__N_135rocblas_gemm_batched_general_kernelIfLi16ELi16ELi32ELi32ELi8ELi32ELi8ELi8ELi32ELc84ELc84EKPKfS3_KPfEEvlllT_PT11_llS8_llS6_PT12_llPT13_lli.num_named_barrier, 0
	.set _ZN12_GLOBAL__N_135rocblas_gemm_batched_general_kernelIfLi16ELi16ELi32ELi32ELi8ELi32ELi8ELi8ELi32ELc84ELc84EKPKfS3_KPfEEvlllT_PT11_llS8_llS6_PT12_llPT13_lli.private_seg_size, 0
	.set _ZN12_GLOBAL__N_135rocblas_gemm_batched_general_kernelIfLi16ELi16ELi32ELi32ELi8ELi32ELi8ELi8ELi32ELc84ELc84EKPKfS3_KPfEEvlllT_PT11_llS8_llS6_PT12_llPT13_lli.uses_vcc, 1
	.set _ZN12_GLOBAL__N_135rocblas_gemm_batched_general_kernelIfLi16ELi16ELi32ELi32ELi8ELi32ELi8ELi8ELi32ELc84ELc84EKPKfS3_KPfEEvlllT_PT11_llS8_llS6_PT12_llPT13_lli.uses_flat_scratch, 0
	.set _ZN12_GLOBAL__N_135rocblas_gemm_batched_general_kernelIfLi16ELi16ELi32ELi32ELi8ELi32ELi8ELi8ELi32ELc84ELc84EKPKfS3_KPfEEvlllT_PT11_llS8_llS6_PT12_llPT13_lli.has_dyn_sized_stack, 0
	.set _ZN12_GLOBAL__N_135rocblas_gemm_batched_general_kernelIfLi16ELi16ELi32ELi32ELi8ELi32ELi8ELi8ELi32ELc84ELc84EKPKfS3_KPfEEvlllT_PT11_llS8_llS6_PT12_llPT13_lli.has_recursion, 0
	.set _ZN12_GLOBAL__N_135rocblas_gemm_batched_general_kernelIfLi16ELi16ELi32ELi32ELi8ELi32ELi8ELi8ELi32ELc84ELc84EKPKfS3_KPfEEvlllT_PT11_llS8_llS6_PT12_llPT13_lli.has_indirect_call, 0
	.section	.AMDGPU.csdata,"",@progbits
; Kernel info:
; codeLenInByte = 1840
; TotalNumSgprs: 44
; NumVgprs: 56
; ScratchSize: 0
; MemoryBound: 0
; FloatMode: 240
; IeeeMode: 1
; LDSByteSize: 2048 bytes/workgroup (compile time only)
; SGPRBlocks: 0
; VGPRBlocks: 3
; NumSGPRsForWavesPerEU: 44
; NumVGPRsForWavesPerEU: 56
; NamedBarCnt: 0
; Occupancy: 16
; WaveLimiterHint : 1
; COMPUTE_PGM_RSRC2:SCRATCH_EN: 0
; COMPUTE_PGM_RSRC2:USER_SGPR: 2
; COMPUTE_PGM_RSRC2:TRAP_HANDLER: 0
; COMPUTE_PGM_RSRC2:TGID_X_EN: 1
; COMPUTE_PGM_RSRC2:TGID_Y_EN: 1
; COMPUTE_PGM_RSRC2:TGID_Z_EN: 1
; COMPUTE_PGM_RSRC2:TIDIG_COMP_CNT: 1
	.section	.text._ZN12_GLOBAL__N_135rocblas_gemm_batched_general_kernelIfLi16ELi16ELi32ELi32ELi8ELi32ELi8ELi8ELi32ELc67ELc67EKPKfS3_KPfEEvlllT_PT11_llS8_llS6_PT12_llPT13_lli,"axG",@progbits,_ZN12_GLOBAL__N_135rocblas_gemm_batched_general_kernelIfLi16ELi16ELi32ELi32ELi8ELi32ELi8ELi8ELi32ELc67ELc67EKPKfS3_KPfEEvlllT_PT11_llS8_llS6_PT12_llPT13_lli,comdat
	.globl	_ZN12_GLOBAL__N_135rocblas_gemm_batched_general_kernelIfLi16ELi16ELi32ELi32ELi8ELi32ELi8ELi8ELi32ELc67ELc67EKPKfS3_KPfEEvlllT_PT11_llS8_llS6_PT12_llPT13_lli ; -- Begin function _ZN12_GLOBAL__N_135rocblas_gemm_batched_general_kernelIfLi16ELi16ELi32ELi32ELi8ELi32ELi8ELi8ELi32ELc67ELc67EKPKfS3_KPfEEvlllT_PT11_llS8_llS6_PT12_llPT13_lli
	.p2align	8
	.type	_ZN12_GLOBAL__N_135rocblas_gemm_batched_general_kernelIfLi16ELi16ELi32ELi32ELi8ELi32ELi8ELi8ELi32ELc67ELc67EKPKfS3_KPfEEvlllT_PT11_llS8_llS6_PT12_llPT13_lli,@function
_ZN12_GLOBAL__N_135rocblas_gemm_batched_general_kernelIfLi16ELi16ELi32ELi32ELi8ELi32ELi8ELi8ELi32ELc67ELc67EKPKfS3_KPfEEvlllT_PT11_llS8_llS6_PT12_llPT13_lli: ; @_ZN12_GLOBAL__N_135rocblas_gemm_batched_general_kernelIfLi16ELi16ELi32ELi32ELi8ELi32ELi8ELi8ELi32ELc67ELc67EKPKfS3_KPfEEvlllT_PT11_llS8_llS6_PT12_llPT13_lli
; %bb.0:
	s_load_b32 s33, s[0:1], 0x88
	s_bfe_u32 s2, ttmp6, 0x40014
	s_lshr_b32 s3, ttmp7, 16
	s_add_co_i32 s2, s2, 1
	s_bfe_u32 s5, ttmp6, 0x40008
	s_mul_i32 s4, s3, s2
	s_getreg_b32 s2, hwreg(HW_REG_IB_STS2, 6, 4)
	s_add_co_i32 s5, s5, s4
	s_cmp_eq_u32 s2, 0
	s_mov_b32 s35, 0
	s_cselect_b32 s34, s3, s5
	s_wait_kmcnt 0x0
	s_cmp_ge_i32 s34, s33
	s_cbranch_scc1 .LBB51_34
; %bb.1:
	v_bfe_u32 v10, v0, 10, 10
	v_and_b32_e32 v12, 0x3ff, v0
	s_clause 0x6
	s_load_b128 s[4:7], s[0:1], 0x0
	s_load_b96 s[36:38], s[0:1], 0x10
	s_load_b256 s[8:15], s[0:1], 0x20
	s_load_b128 s[24:27], s[0:1], 0x40
	s_load_b32 s41, s[0:1], 0x50
	s_load_b128 s[28:31], s[0:1], 0x78
	s_load_b256 s[16:23], s[0:1], 0x58
	s_wait_xcnt 0x0
	s_bfe_u32 s0, ttmp6, 0x4000c
	s_bfe_u32 s3, ttmp6, 0x40010
	s_add_co_i32 s0, s0, 1
	s_and_b32 s39, ttmp7, 0xffff
	s_add_co_i32 s3, s3, 1
	s_and_b32 s1, ttmp6, 15
	s_mul_i32 s0, ttmp9, s0
	s_mul_i32 s3, s39, s3
	s_bfe_u32 s40, ttmp6, 0x40004
	v_lshl_add_u32 v6, v10, 4, v12
	s_add_co_i32 s1, s1, s0
	s_add_co_i32 s40, s40, s3
	s_cmp_eq_u32 s2, 0
	s_delay_alu instid0(VALU_DEP_1) | instskip(SKIP_3) | instid1(VALU_DEP_1)
	v_dual_mov_b32 v1, 0 :: v_dual_bitop2_b32 v8, 31, v6 bitop3:0x40
	s_cselect_b32 s0, ttmp9, s1
	s_cselect_b32 s40, s39, s40
	s_ashr_i32 s1, s0, 31
	v_dual_mov_b32 v11, v1 :: v_dual_bitop2_b32 v2, 7, v0 bitop3:0x40
	s_lshl_b64 s[2:3], s[0:1], 5
	v_dual_mov_b32 v3, v1 :: v_dual_lshrrev_b32 v14, 3, v6
	v_dual_mov_b32 v15, v1 :: v_dual_bitop2_b32 v4, s2, v8 bitop3:0x54
	s_delay_alu instid0(VALU_DEP_3) | instskip(SKIP_1) | instid1(VALU_DEP_3)
	v_dual_mov_b32 v5, s3 :: v_dual_lshlrev_b32 v9, 2, v2
	s_wait_kmcnt 0x0
	v_mul_u64_e32 v[16:17], s[24:25], v[2:3]
	s_lshl_b32 s0, s40, 5
	s_mov_b32 s1, s35
	v_mul_u64_e32 v[18:19], s[10:11], v[4:5]
	v_dual_lshrrev_b32 v0, 5, v6 :: v_dual_lshlrev_b32 v8, 2, v8
	v_add_nc_u64_e32 v[6:7], s[0:1], v[14:15]
	v_add_nc_u64_e32 v[20:21], s[0:1], v[10:11]
	v_lshl_or_b32 v9, v14, 5, v9
	v_dual_mov_b32 v13, v1 :: v_dual_lshlrev_b32 v30, 2, v12
	v_lshl_or_b32 v28, v0, 7, v8
	v_cmp_gt_i64_e64 s0, s[4:5], v[4:5]
	v_cmp_gt_i64_e64 s1, s[6:7], v[6:7]
	v_add_nc_u32_e32 v29, 0x400, v9
	v_mul_u64_e32 v[6:7], s[28:29], v[20:21]
	v_mul_u64_e32 v[8:9], s[18:19], v[20:21]
	v_add_nc_u64_e32 v[4:5], s[2:3], v[12:13]
	v_lshl_add_u32 v31, v10, 5, 0x400
	v_add_nc_u64_e32 v[12:13], 16, v[20:21]
	s_cmp_eq_f32 s41, 0
	s_mov_b32 s11, s35
	v_cmp_gt_i64_e64 s2, s[6:7], v[20:21]
	s_delay_alu instid0(VALU_DEP_4)
	v_add_nc_u64_e32 v[10:11], 16, v[4:5]
	s_cselect_b32 s39, -1, 0
	s_lshl_b32 s10, s40, 7
	s_lshl_b64 s[26:27], s[26:27], 2
	v_cmp_gt_i64_e64 s3, s[4:5], v[4:5]
	s_add_nc_u64 s[10:11], s[26:27], s[10:11]
	v_cmp_gt_i64_e64 s26, s[36:37], 0
	v_cmp_gt_i64_e64 s4, s[4:5], v[10:11]
	;; [unrolled: 1-line block ×3, first 2 shown]
	s_lshl_b64 s[6:7], s[12:13], 2
	v_lshl_add_u64 v[10:11], v[16:17], 2, s[10:11]
	v_dual_mov_b32 v13, v1 :: v_dual_lshlrev_b32 v12, 2, v14
	v_lshl_add_u64 v[14:15], v[18:19], 2, s[6:7]
	v_dual_mov_b32 v17, v1 :: v_dual_lshlrev_b32 v16, 2, v0
	s_lshl_b64 s[6:7], s[28:29], 4
	s_delay_alu instid0(VALU_DEP_3)
	v_add_nc_u64_e32 v[10:11], v[10:11], v[12:13]
	s_mov_b32 s40, s38
	s_lshl_b64 s[10:11], s[18:19], 4
	v_add_nc_u64_e32 v[12:13], v[14:15], v[16:17]
	s_lshl_b64 s[12:13], s[24:25], 5
	s_lshl_b64 s[18:19], s[30:31], 2
	;; [unrolled: 1-line block ×3, first 2 shown]
	s_branch .LBB51_4
.LBB51_2:                               ;   in Loop: Header=BB51_4 Depth=1
	s_wait_xcnt 0x0
	s_or_b32 exec_lo, exec_lo, s24
.LBB51_3:                               ;   in Loop: Header=BB51_4 Depth=1
	s_add_co_i32 s34, s34, 0x10000
	s_delay_alu instid0(SALU_CYCLE_1)
	s_cmp_lt_i32 s34, s33
	s_cbranch_scc0 .LBB51_34
.LBB51_4:                               ; =>This Loop Header: Depth=1
                                        ;     Child Loop BB51_7 Depth 2
	v_dual_mov_b32 v14, s34 :: v_dual_mov_b32 v19, 0
	v_dual_mov_b32 v18, 0 :: v_dual_mov_b32 v15, 0
	s_and_not1_b32 vcc_lo, exec_lo, s26
	s_clause 0x1
	global_load_b64 v[16:17], v14, s[16:17] scale_offset
	global_load_b64 v[20:21], v14, s[22:23] scale_offset
	s_wait_xcnt 0x0
	v_mov_b32_e32 v14, 0
	s_cbranch_vccnz .LBB51_11
; %bb.5:                                ;   in Loop: Header=BB51_4 Depth=1
	s_lshl_b64 s[24:25], s[34:35], 3
	v_mov_b32_e32 v18, 0
	s_add_nc_u64 s[28:29], s[14:15], s[24:25]
	s_add_nc_u64 s[24:25], s[8:9], s[24:25]
	s_clause 0x1
	global_load_b64 v[14:15], v1, s[28:29]
	global_load_b64 v[24:25], v1, s[24:25]
	s_wait_xcnt 0x0
	s_mov_b64 s[24:25], 0
	v_mov_b32_e32 v19, v18
	s_wait_loadcnt 0x1
	v_add_nc_u64_e32 v[22:23], v[14:15], v[10:11]
	s_wait_loadcnt 0x0
	v_add_nc_u64_e32 v[24:25], v[24:25], v[12:13]
	v_dual_mov_b32 v14, v18 :: v_dual_mov_b32 v15, v18
	s_branch .LBB51_7
.LBB51_6:                               ;   in Loop: Header=BB51_7 Depth=2
	s_wait_xcnt 0x0
	s_or_b32 exec_lo, exec_lo, s27
	s_wait_loadcnt_dscnt 0x0
	ds_store_b32 v29, v27
	s_wait_dscnt 0x0
	s_barrier_signal -1
	s_barrier_wait -1
	ds_load_b128 v[32:35], v31
	ds_load_2addr_b32 v[26:27], v30 offset1:16
	ds_load_b128 v[36:39], v31 offset:512
	ds_load_2addr_b32 v[48:49], v30 offset0:32 offset1:48
	ds_load_2addr_b32 v[50:51], v30 offset0:64 offset1:80
	;; [unrolled: 1-line block ×3, first 2 shown]
	ds_load_b128 v[40:43], v31 offset:16
	ds_load_2addr_b32 v[54:55], v30 offset0:128 offset1:144
	ds_load_b128 v[44:47], v31 offset:528
	s_add_nc_u64 s[24:25], s[24:25], 8
	v_add_nc_u64_e32 v[22:23], s[12:13], v[22:23]
	v_cmp_lt_i64_e64 s27, s[24:25], s[36:37]
	v_add_nc_u64_e32 v[24:25], 32, v[24:25]
	s_and_b32 vcc_lo, exec_lo, s27
	s_wait_dscnt 0x7
	v_pk_fma_f32 v[18:19], v[26:27], v[32:33], v[18:19] op_sel_hi:[1,0,1]
	s_wait_dscnt 0x6
	v_pk_fma_f32 v[14:15], v[26:27], v[36:37], v[14:15] op_sel_hi:[1,0,1]
	ds_load_2addr_b32 v[26:27], v30 offset0:160 offset1:176
	s_wait_dscnt 0x6
	v_pk_fma_f32 v[18:19], v[48:49], v[32:33], v[18:19] op_sel:[0,1,0]
	v_pk_fma_f32 v[14:15], v[48:49], v[36:37], v[14:15] op_sel:[0,1,0]
	ds_load_2addr_b32 v[32:33], v30 offset0:192 offset1:208
	v_dual_mov_b32 v36, v35 :: v_dual_mov_b32 v48, v39
	s_wait_dscnt 0x6
	v_pk_fma_f32 v[18:19], v[50:51], v[34:35], v[18:19] op_sel_hi:[1,0,1]
	v_pk_fma_f32 v[14:15], v[50:51], v[38:39], v[14:15] op_sel_hi:[1,0,1]
	ds_load_2addr_b32 v[34:35], v30 offset0:224 offset1:240
	s_wait_dscnt 0x0
	s_barrier_signal -1
	v_pk_fma_f32 v[18:19], v[52:53], v[36:37], v[18:19] op_sel_hi:[1,0,1]
	v_pk_fma_f32 v[14:15], v[52:53], v[48:49], v[14:15] op_sel_hi:[1,0,1]
	s_barrier_wait -1
	v_mov_b32_e32 v36, v47
	s_delay_alu instid0(VALU_DEP_3) | instskip(NEXT) | instid1(VALU_DEP_3)
	v_pk_fma_f32 v[18:19], v[54:55], v[40:41], v[18:19] op_sel_hi:[1,0,1]
	v_pk_fma_f32 v[14:15], v[54:55], v[44:45], v[14:15] op_sel_hi:[1,0,1]
	s_delay_alu instid0(VALU_DEP_2) | instskip(NEXT) | instid1(VALU_DEP_2)
	v_pk_fma_f32 v[18:19], v[26:27], v[40:41], v[18:19] op_sel:[0,1,0]
	v_pk_fma_f32 v[14:15], v[26:27], v[44:45], v[14:15] op_sel:[0,1,0]
	v_mov_b32_e32 v26, v43
	s_delay_alu instid0(VALU_DEP_3) | instskip(NEXT) | instid1(VALU_DEP_3)
	v_pk_fma_f32 v[18:19], v[32:33], v[42:43], v[18:19] op_sel_hi:[1,0,1]
	v_pk_fma_f32 v[14:15], v[32:33], v[46:47], v[14:15] op_sel_hi:[1,0,1]
	s_delay_alu instid0(VALU_DEP_2) | instskip(NEXT) | instid1(VALU_DEP_2)
	v_pk_fma_f32 v[18:19], v[34:35], v[26:27], v[18:19] op_sel_hi:[1,0,1]
	v_pk_fma_f32 v[14:15], v[34:35], v[36:37], v[14:15] op_sel_hi:[1,0,1]
	s_cbranch_vccz .LBB51_11
.LBB51_7:                               ;   Parent Loop BB51_4 Depth=1
                                        ; =>  This Inner Loop Header: Depth=2
	v_add_nc_u64_e32 v[26:27], s[24:25], v[0:1]
	s_delay_alu instid0(VALU_DEP_1) | instskip(SKIP_2) | instid1(SALU_CYCLE_1)
	v_cmp_gt_i64_e32 vcc_lo, s[36:37], v[26:27]
	v_mov_b32_e32 v26, 0
	s_and_b32 s28, s0, vcc_lo
	s_and_saveexec_b32 s27, s28
	s_cbranch_execz .LBB51_9
; %bb.8:                                ;   in Loop: Header=BB51_7 Depth=2
	flat_load_b32 v26, v[24:25]
.LBB51_9:                               ;   in Loop: Header=BB51_7 Depth=2
	s_wait_xcnt 0x0
	s_or_b32 exec_lo, exec_lo, s27
	v_add_nc_u64_e32 v[32:33], s[24:25], v[2:3]
	v_mov_b32_e32 v27, 0
	s_wait_loadcnt_dscnt 0x0
	ds_store_b32 v28, v26
	v_cmp_gt_i64_e32 vcc_lo, s[36:37], v[32:33]
	s_and_b32 s28, vcc_lo, s1
	s_delay_alu instid0(SALU_CYCLE_1)
	s_and_saveexec_b32 s27, s28
	s_cbranch_execz .LBB51_6
; %bb.10:                               ;   in Loop: Header=BB51_7 Depth=2
	flat_load_b32 v27, v[22:23]
	s_branch .LBB51_6
.LBB51_11:                              ;   in Loop: Header=BB51_4 Depth=1
	s_wait_loadcnt 0x0
	v_add_nc_u64_e32 v[20:21], s[18:19], v[20:21]
	s_and_not1_b32 vcc_lo, exec_lo, s39
	s_cbranch_vccnz .LBB51_16
; %bb.12:                               ;   in Loop: Header=BB51_4 Depth=1
	s_and_saveexec_b32 s24, s2
	s_cbranch_execz .LBB51_23
; %bb.13:                               ;   in Loop: Header=BB51_4 Depth=1
	s_delay_alu instid0(VALU_DEP_1) | instskip(NEXT) | instid1(VALU_DEP_1)
	v_lshl_add_u64 v[22:23], v[6:7], 2, v[20:21]
	v_lshl_add_u64 v[24:25], v[4:5], 2, v[22:23]
	s_and_saveexec_b32 s25, s3
	s_cbranch_execnz .LBB51_17
; %bb.14:                               ;   in Loop: Header=BB51_4 Depth=1
	s_or_b32 exec_lo, exec_lo, s25
	s_and_saveexec_b32 s25, s4
	s_cbranch_execnz .LBB51_18
.LBB51_15:                              ;   in Loop: Header=BB51_4 Depth=1
	s_or_b32 exec_lo, exec_lo, s25
	s_delay_alu instid0(SALU_CYCLE_1)
	s_and_b32 exec_lo, exec_lo, s5
	s_cbranch_execnz .LBB51_19
	s_branch .LBB51_23
.LBB51_16:                              ;   in Loop: Header=BB51_4 Depth=1
	s_branch .LBB51_24
.LBB51_17:                              ;   in Loop: Header=BB51_4 Depth=1
	v_mul_f32_e32 v26, s38, v18
	flat_store_b32 v[24:25], v26
	s_wait_xcnt 0x0
	s_or_b32 exec_lo, exec_lo, s25
	s_and_saveexec_b32 s25, s4
	s_cbranch_execz .LBB51_15
.LBB51_18:                              ;   in Loop: Header=BB51_4 Depth=1
	v_mul_f32_e32 v26, s38, v19
	flat_store_b32 v[24:25], v26 offset:64
	s_wait_xcnt 0x0
	s_or_b32 exec_lo, exec_lo, s25
	s_delay_alu instid0(SALU_CYCLE_1)
	s_and_b32 exec_lo, exec_lo, s5
	s_cbranch_execz .LBB51_23
.LBB51_19:                              ;   in Loop: Header=BB51_4 Depth=1
	v_lshl_add_u64 v[22:23], s[6:7], 2, v[22:23]
	s_delay_alu instid0(VALU_DEP_1)
	v_lshl_add_u64 v[22:23], v[4:5], 2, v[22:23]
	s_and_saveexec_b32 s25, s3
	s_cbranch_execz .LBB51_21
; %bb.20:                               ;   in Loop: Header=BB51_4 Depth=1
	v_mul_f32_e32 v24, s38, v14
	flat_store_b32 v[22:23], v24
.LBB51_21:                              ;   in Loop: Header=BB51_4 Depth=1
	s_wait_xcnt 0x0
	s_or_b32 exec_lo, exec_lo, s25
	s_delay_alu instid0(SALU_CYCLE_1)
	s_and_b32 exec_lo, exec_lo, s4
	s_cbranch_execz .LBB51_23
; %bb.22:                               ;   in Loop: Header=BB51_4 Depth=1
	v_mul_f32_e32 v24, s38, v15
	flat_store_b32 v[22:23], v24 offset:64
.LBB51_23:                              ;   in Loop: Header=BB51_4 Depth=1
	s_wait_xcnt 0x0
	s_or_b32 exec_lo, exec_lo, s24
	s_cbranch_execnz .LBB51_3
.LBB51_24:                              ;   in Loop: Header=BB51_4 Depth=1
	s_and_saveexec_b32 s24, s2
	s_cbranch_execz .LBB51_2
; %bb.25:                               ;   in Loop: Header=BB51_4 Depth=1
	v_add_nc_u64_e32 v[22:23], s[20:21], v[16:17]
	v_lshlrev_b64_e32 v[16:17], 2, v[4:5]
	v_lshl_add_u64 v[20:21], v[6:7], 2, v[20:21]
	s_delay_alu instid0(VALU_DEP_3) | instskip(NEXT) | instid1(VALU_DEP_2)
	v_lshl_add_u64 v[22:23], v[8:9], 2, v[22:23]
	v_add_nc_u64_e32 v[24:25], v[20:21], v[16:17]
	s_delay_alu instid0(VALU_DEP_2)
	v_add_nc_u64_e32 v[26:27], v[22:23], v[16:17]
	s_and_saveexec_b32 s25, s3
	s_cbranch_execnz .LBB51_28
; %bb.26:                               ;   in Loop: Header=BB51_4 Depth=1
	s_or_b32 exec_lo, exec_lo, s25
	s_and_saveexec_b32 s25, s4
	s_cbranch_execnz .LBB51_29
.LBB51_27:                              ;   in Loop: Header=BB51_4 Depth=1
	s_or_b32 exec_lo, exec_lo, s25
	s_delay_alu instid0(SALU_CYCLE_1)
	s_and_b32 exec_lo, exec_lo, s5
	s_cbranch_execz .LBB51_2
	s_branch .LBB51_30
.LBB51_28:                              ;   in Loop: Header=BB51_4 Depth=1
	flat_load_b32 v33, v[26:27]
	v_mov_b64_e32 v[34:35], s[40:41]
	v_mov_b32_e32 v32, v18
	s_wait_loadcnt_dscnt 0x0
	s_delay_alu instid0(VALU_DEP_1) | instskip(NEXT) | instid1(VALU_DEP_1)
	v_pk_mul_f32 v[32:33], v[34:35], v[32:33]
	v_add_f32_e32 v18, v32, v33
	flat_store_b32 v[24:25], v18
	s_wait_xcnt 0x0
	s_or_b32 exec_lo, exec_lo, s25
	s_and_saveexec_b32 s25, s4
	s_cbranch_execz .LBB51_27
.LBB51_29:                              ;   in Loop: Header=BB51_4 Depth=1
	flat_load_b32 v27, v[26:27] offset:64
	s_wait_xcnt 0x0
	v_mov_b32_e32 v26, v19
	v_mov_b64_e32 v[18:19], s[40:41]
	s_wait_loadcnt_dscnt 0x0
	s_delay_alu instid0(VALU_DEP_1) | instskip(NEXT) | instid1(VALU_DEP_1)
	v_pk_mul_f32 v[18:19], v[18:19], v[26:27]
	v_add_f32_e32 v18, v18, v19
	flat_store_b32 v[24:25], v18 offset:64
	s_wait_xcnt 0x0
	s_or_b32 exec_lo, exec_lo, s25
	s_delay_alu instid0(SALU_CYCLE_1)
	s_and_b32 exec_lo, exec_lo, s5
	s_cbranch_execz .LBB51_2
.LBB51_30:                              ;   in Loop: Header=BB51_4 Depth=1
	v_lshl_add_u64 v[18:19], s[10:11], 2, v[22:23]
	v_lshl_add_u64 v[20:21], s[6:7], 2, v[20:21]
	s_delay_alu instid0(VALU_DEP_2) | instskip(NEXT) | instid1(VALU_DEP_2)
	v_add_nc_u64_e32 v[18:19], v[18:19], v[16:17]
	v_add_nc_u64_e32 v[16:17], v[20:21], v[16:17]
	s_and_saveexec_b32 s25, s3
	s_cbranch_execz .LBB51_32
; %bb.31:                               ;   in Loop: Header=BB51_4 Depth=1
	flat_load_b32 v21, v[18:19]
	v_mov_b64_e32 v[22:23], s[40:41]
	v_mov_b32_e32 v20, v14
	s_wait_loadcnt_dscnt 0x0
	s_delay_alu instid0(VALU_DEP_1) | instskip(NEXT) | instid1(VALU_DEP_1)
	v_pk_mul_f32 v[20:21], v[22:23], v[20:21]
	v_add_f32_e32 v14, v20, v21
	flat_store_b32 v[16:17], v14
.LBB51_32:                              ;   in Loop: Header=BB51_4 Depth=1
	s_wait_xcnt 0x0
	s_or_b32 exec_lo, exec_lo, s25
	s_delay_alu instid0(SALU_CYCLE_1)
	s_and_b32 exec_lo, exec_lo, s4
	s_cbranch_execz .LBB51_2
; %bb.33:                               ;   in Loop: Header=BB51_4 Depth=1
	flat_load_b32 v19, v[18:19] offset:64
	s_wait_xcnt 0x0
	v_mov_b32_e32 v18, v15
	v_mov_b64_e32 v[14:15], s[40:41]
	s_wait_loadcnt_dscnt 0x0
	s_delay_alu instid0(VALU_DEP_1) | instskip(NEXT) | instid1(VALU_DEP_1)
	v_pk_mul_f32 v[14:15], v[14:15], v[18:19]
	v_add_f32_e32 v14, v14, v15
	flat_store_b32 v[16:17], v14 offset:64
	s_branch .LBB51_2
.LBB51_34:
	s_endpgm
	.section	.rodata,"a",@progbits
	.p2align	6, 0x0
	.amdhsa_kernel _ZN12_GLOBAL__N_135rocblas_gemm_batched_general_kernelIfLi16ELi16ELi32ELi32ELi8ELi32ELi8ELi8ELi32ELc67ELc67EKPKfS3_KPfEEvlllT_PT11_llS8_llS6_PT12_llPT13_lli
		.amdhsa_group_segment_fixed_size 2048
		.amdhsa_private_segment_fixed_size 0
		.amdhsa_kernarg_size 140
		.amdhsa_user_sgpr_count 2
		.amdhsa_user_sgpr_dispatch_ptr 0
		.amdhsa_user_sgpr_queue_ptr 0
		.amdhsa_user_sgpr_kernarg_segment_ptr 1
		.amdhsa_user_sgpr_dispatch_id 0
		.amdhsa_user_sgpr_kernarg_preload_length 0
		.amdhsa_user_sgpr_kernarg_preload_offset 0
		.amdhsa_user_sgpr_private_segment_size 0
		.amdhsa_wavefront_size32 1
		.amdhsa_uses_dynamic_stack 0
		.amdhsa_enable_private_segment 0
		.amdhsa_system_sgpr_workgroup_id_x 1
		.amdhsa_system_sgpr_workgroup_id_y 1
		.amdhsa_system_sgpr_workgroup_id_z 1
		.amdhsa_system_sgpr_workgroup_info 0
		.amdhsa_system_vgpr_workitem_id 1
		.amdhsa_next_free_vgpr 56
		.amdhsa_next_free_sgpr 42
		.amdhsa_named_barrier_count 0
		.amdhsa_reserve_vcc 1
		.amdhsa_float_round_mode_32 0
		.amdhsa_float_round_mode_16_64 0
		.amdhsa_float_denorm_mode_32 3
		.amdhsa_float_denorm_mode_16_64 3
		.amdhsa_fp16_overflow 0
		.amdhsa_memory_ordered 1
		.amdhsa_forward_progress 1
		.amdhsa_inst_pref_size 15
		.amdhsa_round_robin_scheduling 0
		.amdhsa_exception_fp_ieee_invalid_op 0
		.amdhsa_exception_fp_denorm_src 0
		.amdhsa_exception_fp_ieee_div_zero 0
		.amdhsa_exception_fp_ieee_overflow 0
		.amdhsa_exception_fp_ieee_underflow 0
		.amdhsa_exception_fp_ieee_inexact 0
		.amdhsa_exception_int_div_zero 0
	.end_amdhsa_kernel
	.section	.text._ZN12_GLOBAL__N_135rocblas_gemm_batched_general_kernelIfLi16ELi16ELi32ELi32ELi8ELi32ELi8ELi8ELi32ELc67ELc67EKPKfS3_KPfEEvlllT_PT11_llS8_llS6_PT12_llPT13_lli,"axG",@progbits,_ZN12_GLOBAL__N_135rocblas_gemm_batched_general_kernelIfLi16ELi16ELi32ELi32ELi8ELi32ELi8ELi8ELi32ELc67ELc67EKPKfS3_KPfEEvlllT_PT11_llS8_llS6_PT12_llPT13_lli,comdat
.Lfunc_end51:
	.size	_ZN12_GLOBAL__N_135rocblas_gemm_batched_general_kernelIfLi16ELi16ELi32ELi32ELi8ELi32ELi8ELi8ELi32ELc67ELc67EKPKfS3_KPfEEvlllT_PT11_llS8_llS6_PT12_llPT13_lli, .Lfunc_end51-_ZN12_GLOBAL__N_135rocblas_gemm_batched_general_kernelIfLi16ELi16ELi32ELi32ELi8ELi32ELi8ELi8ELi32ELc67ELc67EKPKfS3_KPfEEvlllT_PT11_llS8_llS6_PT12_llPT13_lli
                                        ; -- End function
	.set _ZN12_GLOBAL__N_135rocblas_gemm_batched_general_kernelIfLi16ELi16ELi32ELi32ELi8ELi32ELi8ELi8ELi32ELc67ELc67EKPKfS3_KPfEEvlllT_PT11_llS8_llS6_PT12_llPT13_lli.num_vgpr, 56
	.set _ZN12_GLOBAL__N_135rocblas_gemm_batched_general_kernelIfLi16ELi16ELi32ELi32ELi8ELi32ELi8ELi8ELi32ELc67ELc67EKPKfS3_KPfEEvlllT_PT11_llS8_llS6_PT12_llPT13_lli.num_agpr, 0
	.set _ZN12_GLOBAL__N_135rocblas_gemm_batched_general_kernelIfLi16ELi16ELi32ELi32ELi8ELi32ELi8ELi8ELi32ELc67ELc67EKPKfS3_KPfEEvlllT_PT11_llS8_llS6_PT12_llPT13_lli.numbered_sgpr, 42
	.set _ZN12_GLOBAL__N_135rocblas_gemm_batched_general_kernelIfLi16ELi16ELi32ELi32ELi8ELi32ELi8ELi8ELi32ELc67ELc67EKPKfS3_KPfEEvlllT_PT11_llS8_llS6_PT12_llPT13_lli.num_named_barrier, 0
	.set _ZN12_GLOBAL__N_135rocblas_gemm_batched_general_kernelIfLi16ELi16ELi32ELi32ELi8ELi32ELi8ELi8ELi32ELc67ELc67EKPKfS3_KPfEEvlllT_PT11_llS8_llS6_PT12_llPT13_lli.private_seg_size, 0
	.set _ZN12_GLOBAL__N_135rocblas_gemm_batched_general_kernelIfLi16ELi16ELi32ELi32ELi8ELi32ELi8ELi8ELi32ELc67ELc67EKPKfS3_KPfEEvlllT_PT11_llS8_llS6_PT12_llPT13_lli.uses_vcc, 1
	.set _ZN12_GLOBAL__N_135rocblas_gemm_batched_general_kernelIfLi16ELi16ELi32ELi32ELi8ELi32ELi8ELi8ELi32ELc67ELc67EKPKfS3_KPfEEvlllT_PT11_llS8_llS6_PT12_llPT13_lli.uses_flat_scratch, 0
	.set _ZN12_GLOBAL__N_135rocblas_gemm_batched_general_kernelIfLi16ELi16ELi32ELi32ELi8ELi32ELi8ELi8ELi32ELc67ELc67EKPKfS3_KPfEEvlllT_PT11_llS8_llS6_PT12_llPT13_lli.has_dyn_sized_stack, 0
	.set _ZN12_GLOBAL__N_135rocblas_gemm_batched_general_kernelIfLi16ELi16ELi32ELi32ELi8ELi32ELi8ELi8ELi32ELc67ELc67EKPKfS3_KPfEEvlllT_PT11_llS8_llS6_PT12_llPT13_lli.has_recursion, 0
	.set _ZN12_GLOBAL__N_135rocblas_gemm_batched_general_kernelIfLi16ELi16ELi32ELi32ELi8ELi32ELi8ELi8ELi32ELc67ELc67EKPKfS3_KPfEEvlllT_PT11_llS8_llS6_PT12_llPT13_lli.has_indirect_call, 0
	.section	.AMDGPU.csdata,"",@progbits
; Kernel info:
; codeLenInByte = 1840
; TotalNumSgprs: 44
; NumVgprs: 56
; ScratchSize: 0
; MemoryBound: 0
; FloatMode: 240
; IeeeMode: 1
; LDSByteSize: 2048 bytes/workgroup (compile time only)
; SGPRBlocks: 0
; VGPRBlocks: 3
; NumSGPRsForWavesPerEU: 44
; NumVGPRsForWavesPerEU: 56
; NamedBarCnt: 0
; Occupancy: 16
; WaveLimiterHint : 1
; COMPUTE_PGM_RSRC2:SCRATCH_EN: 0
; COMPUTE_PGM_RSRC2:USER_SGPR: 2
; COMPUTE_PGM_RSRC2:TRAP_HANDLER: 0
; COMPUTE_PGM_RSRC2:TGID_X_EN: 1
; COMPUTE_PGM_RSRC2:TGID_Y_EN: 1
; COMPUTE_PGM_RSRC2:TGID_Z_EN: 1
; COMPUTE_PGM_RSRC2:TIDIG_COMP_CNT: 1
	.section	.text._ZN12_GLOBAL__N_135rocblas_gemm_batched_general_kernelIfLi16ELi16ELi32ELi32ELi8ELi32ELi8ELi8ELi32ELc67ELc78EKPKfS3_KPfEEvlllT_PT11_llS8_llS6_PT12_llPT13_lli,"axG",@progbits,_ZN12_GLOBAL__N_135rocblas_gemm_batched_general_kernelIfLi16ELi16ELi32ELi32ELi8ELi32ELi8ELi8ELi32ELc67ELc78EKPKfS3_KPfEEvlllT_PT11_llS8_llS6_PT12_llPT13_lli,comdat
	.globl	_ZN12_GLOBAL__N_135rocblas_gemm_batched_general_kernelIfLi16ELi16ELi32ELi32ELi8ELi32ELi8ELi8ELi32ELc67ELc78EKPKfS3_KPfEEvlllT_PT11_llS8_llS6_PT12_llPT13_lli ; -- Begin function _ZN12_GLOBAL__N_135rocblas_gemm_batched_general_kernelIfLi16ELi16ELi32ELi32ELi8ELi32ELi8ELi8ELi32ELc67ELc78EKPKfS3_KPfEEvlllT_PT11_llS8_llS6_PT12_llPT13_lli
	.p2align	8
	.type	_ZN12_GLOBAL__N_135rocblas_gemm_batched_general_kernelIfLi16ELi16ELi32ELi32ELi8ELi32ELi8ELi8ELi32ELc67ELc78EKPKfS3_KPfEEvlllT_PT11_llS8_llS6_PT12_llPT13_lli,@function
_ZN12_GLOBAL__N_135rocblas_gemm_batched_general_kernelIfLi16ELi16ELi32ELi32ELi8ELi32ELi8ELi8ELi32ELc67ELc78EKPKfS3_KPfEEvlllT_PT11_llS8_llS6_PT12_llPT13_lli: ; @_ZN12_GLOBAL__N_135rocblas_gemm_batched_general_kernelIfLi16ELi16ELi32ELi32ELi8ELi32ELi8ELi8ELi32ELc67ELc78EKPKfS3_KPfEEvlllT_PT11_llS8_llS6_PT12_llPT13_lli
; %bb.0:
	s_load_b32 s33, s[0:1], 0x88
	s_bfe_u32 s2, ttmp6, 0x40014
	s_lshr_b32 s3, ttmp7, 16
	s_add_co_i32 s2, s2, 1
	s_bfe_u32 s5, ttmp6, 0x40008
	s_mul_i32 s4, s3, s2
	s_getreg_b32 s2, hwreg(HW_REG_IB_STS2, 6, 4)
	s_add_co_i32 s5, s5, s4
	s_cmp_eq_u32 s2, 0
	s_mov_b32 s35, 0
	s_cselect_b32 s34, s3, s5
	s_wait_kmcnt 0x0
	s_cmp_ge_i32 s34, s33
	s_cbranch_scc1 .LBB52_34
; %bb.1:
	v_bfe_u32 v10, v0, 10, 10
	v_and_b32_e32 v12, 0x3ff, v0
	s_clause 0x1
	s_load_b128 s[24:27], s[0:1], 0x40
	s_load_b96 s[36:38], s[0:1], 0x10
	s_bfe_u32 s16, ttmp6, 0x4000c
	s_bfe_u32 s17, ttmp6, 0x40010
	s_clause 0x1
	s_load_b128 s[4:7], s[0:1], 0x0
	s_load_b256 s[8:15], s[0:1], 0x20
	s_add_co_i32 s16, s16, 1
	s_and_b32 s18, ttmp7, 0xffff
	s_add_co_i32 s17, s17, 1
	v_lshl_add_u32 v3, v10, 4, v12
	v_mov_b32_e32 v1, 0
	s_and_b32 s3, ttmp6, 15
	s_mul_i32 s16, ttmp9, s16
	s_mul_i32 s17, s18, s17
	s_bfe_u32 s19, ttmp6, 0x40004
	s_add_co_i32 s3, s3, s16
	s_add_co_i32 s19, s19, s17
	s_cmp_eq_u32 s2, 0
	v_dual_lshrrev_b32 v14, 3, v3 :: v_dual_bitop2_b32 v6, 31, v3 bitop3:0x40
	v_mov_b32_e32 v15, v1
	s_cselect_b32 s16, s18, s19
	s_cselect_b32 s2, ttmp9, s3
	s_lshl_b32 s42, s16, 5
	s_mov_b32 s43, s35
	s_ashr_i32 s3, s2, 31
	v_add_nc_u64_e32 v[16:17], s[42:43], v[14:15]
	s_clause 0x1
	s_load_b128 s[28:31], s[0:1], 0x78
	s_load_b256 s[16:23], s[0:1], 0x58
	s_lshl_b64 s[2:3], s[2:3], 5
	v_dual_mov_b32 v11, v1 :: v_dual_mov_b32 v13, v1
	v_dual_mov_b32 v5, s3 :: v_dual_bitop2_b32 v4, s2, v6 bitop3:0x54
	s_wait_kmcnt 0x0
	v_mul_u64_e32 v[18:19], s[24:25], v[16:17]
	s_load_b32 s41, s[0:1], 0x50
	v_add_nc_u64_e32 v[22:23], s[42:43], v[10:11]
	v_dual_lshlrev_b32 v11, 2, v6 :: v_dual_lshlrev_b32 v30, 2, v12
	v_mul_u64_e32 v[20:21], s[10:11], v[4:5]
	v_dual_lshrrev_b32 v0, 5, v3 :: v_dual_bitop2_b32 v2, 7, v0 bitop3:0x40
	s_wait_xcnt 0x0
	v_cmp_gt_i64_e64 s0, s[4:5], v[4:5]
	v_add_nc_u64_e32 v[4:5], s[2:3], v[12:13]
	s_delay_alu instid0(VALU_DEP_3)
	v_dual_mov_b32 v3, v1 :: v_dual_lshlrev_b32 v24, 2, v2
	v_lshl_or_b32 v28, v0, 7, v11
	v_mul_u64_e32 v[6:7], s[28:29], v[22:23]
	v_mul_u64_e32 v[8:9], s[18:19], v[22:23]
	v_lshl_add_u32 v31, v10, 5, 0x400
	v_lshl_or_b32 v13, v14, 5, v24
	v_add_nc_u64_e32 v[14:15], 16, v[4:5]
	v_add_nc_u64_e32 v[10:11], 16, v[22:23]
	v_cmp_gt_i64_e64 s1, s[6:7], v[16:17]
	v_cmp_gt_i64_e64 s3, s[4:5], v[4:5]
	s_wait_kmcnt 0x0
	s_cmp_eq_f32 s41, 0
	v_add_nc_u32_e32 v29, 0x400, v13
	v_dual_mov_b32 v25, v1 :: v_dual_lshlrev_b32 v16, 2, v0
	s_cselect_b32 s24, -1, 0
	s_lshl_b64 s[10:11], s[26:27], 2
	v_cmp_gt_i64_e64 s4, s[4:5], v[14:15]
	v_mov_b32_e32 v17, v1
	v_cmp_gt_i64_e64 s2, s[6:7], v[22:23]
	v_cmp_gt_i64_e64 s5, s[6:7], v[10:11]
	v_cmp_gt_i64_e64 s25, s[36:37], 0
	v_lshl_add_u64 v[12:13], v[18:19], 2, s[10:11]
	s_lshl_b64 s[10:11], s[12:13], 2
	s_lshl_b64 s[6:7], s[28:29], 4
	s_mov_b32 s40, s38
	s_lshl_b64 s[12:13], s[30:31], 2
	v_lshl_add_u64 v[14:15], v[20:21], 2, s[10:11]
	v_add_nc_u64_e32 v[10:11], v[12:13], v[24:25]
	s_lshl_b64 s[10:11], s[18:19], 4
	s_lshl_b64 s[18:19], s[20:21], 2
	s_delay_alu instid0(VALU_DEP_2)
	v_add_nc_u64_e32 v[12:13], v[14:15], v[16:17]
	s_branch .LBB52_4
.LBB52_2:                               ;   in Loop: Header=BB52_4 Depth=1
	s_wait_xcnt 0x0
	s_or_b32 exec_lo, exec_lo, s20
.LBB52_3:                               ;   in Loop: Header=BB52_4 Depth=1
	s_add_co_i32 s34, s34, 0x10000
	s_delay_alu instid0(SALU_CYCLE_1)
	s_cmp_lt_i32 s34, s33
	s_cbranch_scc0 .LBB52_34
.LBB52_4:                               ; =>This Loop Header: Depth=1
                                        ;     Child Loop BB52_7 Depth 2
	v_dual_mov_b32 v14, s34 :: v_dual_mov_b32 v19, 0
	v_dual_mov_b32 v18, 0 :: v_dual_mov_b32 v15, 0
	s_and_not1_b32 vcc_lo, exec_lo, s25
	s_clause 0x1
	global_load_b64 v[16:17], v14, s[16:17] scale_offset
	global_load_b64 v[20:21], v14, s[22:23] scale_offset
	s_wait_xcnt 0x0
	v_mov_b32_e32 v14, 0
	s_cbranch_vccnz .LBB52_11
; %bb.5:                                ;   in Loop: Header=BB52_4 Depth=1
	s_lshl_b64 s[20:21], s[34:35], 3
	v_mov_b32_e32 v18, 0
	s_add_nc_u64 s[26:27], s[14:15], s[20:21]
	s_add_nc_u64 s[20:21], s[8:9], s[20:21]
	s_clause 0x1
	global_load_b64 v[14:15], v1, s[26:27]
	global_load_b64 v[24:25], v1, s[20:21]
	s_wait_xcnt 0x0
	s_mov_b64 s[20:21], 0
	v_mov_b32_e32 v19, v18
	s_wait_loadcnt 0x1
	v_add_nc_u64_e32 v[22:23], v[14:15], v[10:11]
	s_wait_loadcnt 0x0
	v_add_nc_u64_e32 v[24:25], v[24:25], v[12:13]
	v_dual_mov_b32 v14, v18 :: v_dual_mov_b32 v15, v18
	s_branch .LBB52_7
.LBB52_6:                               ;   in Loop: Header=BB52_7 Depth=2
	s_wait_xcnt 0x0
	s_or_b32 exec_lo, exec_lo, s26
	s_wait_loadcnt_dscnt 0x0
	ds_store_b32 v29, v27
	s_wait_dscnt 0x0
	s_barrier_signal -1
	s_barrier_wait -1
	ds_load_b128 v[32:35], v31
	ds_load_2addr_b32 v[26:27], v30 offset1:16
	ds_load_b128 v[36:39], v31 offset:512
	ds_load_2addr_b32 v[48:49], v30 offset0:32 offset1:48
	ds_load_2addr_b32 v[50:51], v30 offset0:64 offset1:80
	;; [unrolled: 1-line block ×3, first 2 shown]
	ds_load_b128 v[40:43], v31 offset:16
	ds_load_2addr_b32 v[54:55], v30 offset0:128 offset1:144
	ds_load_b128 v[44:47], v31 offset:528
	s_add_nc_u64 s[20:21], s[20:21], 8
	v_add_nc_u64_e32 v[22:23], 32, v[22:23]
	v_cmp_lt_i64_e64 s26, s[20:21], s[36:37]
	v_add_nc_u64_e32 v[24:25], 32, v[24:25]
	s_and_b32 vcc_lo, exec_lo, s26
	s_wait_dscnt 0x7
	v_pk_fma_f32 v[18:19], v[26:27], v[32:33], v[18:19] op_sel_hi:[1,0,1]
	s_wait_dscnt 0x6
	v_pk_fma_f32 v[14:15], v[26:27], v[36:37], v[14:15] op_sel_hi:[1,0,1]
	ds_load_2addr_b32 v[26:27], v30 offset0:160 offset1:176
	s_wait_dscnt 0x6
	v_pk_fma_f32 v[18:19], v[48:49], v[32:33], v[18:19] op_sel:[0,1,0]
	v_pk_fma_f32 v[14:15], v[48:49], v[36:37], v[14:15] op_sel:[0,1,0]
	ds_load_2addr_b32 v[32:33], v30 offset0:192 offset1:208
	v_dual_mov_b32 v36, v35 :: v_dual_mov_b32 v48, v39
	s_wait_dscnt 0x6
	v_pk_fma_f32 v[18:19], v[50:51], v[34:35], v[18:19] op_sel_hi:[1,0,1]
	v_pk_fma_f32 v[14:15], v[50:51], v[38:39], v[14:15] op_sel_hi:[1,0,1]
	ds_load_2addr_b32 v[34:35], v30 offset0:224 offset1:240
	s_wait_dscnt 0x0
	s_barrier_signal -1
	v_pk_fma_f32 v[18:19], v[52:53], v[36:37], v[18:19] op_sel_hi:[1,0,1]
	v_pk_fma_f32 v[14:15], v[52:53], v[48:49], v[14:15] op_sel_hi:[1,0,1]
	s_barrier_wait -1
	v_mov_b32_e32 v36, v47
	s_delay_alu instid0(VALU_DEP_3) | instskip(NEXT) | instid1(VALU_DEP_3)
	v_pk_fma_f32 v[18:19], v[54:55], v[40:41], v[18:19] op_sel_hi:[1,0,1]
	v_pk_fma_f32 v[14:15], v[54:55], v[44:45], v[14:15] op_sel_hi:[1,0,1]
	s_delay_alu instid0(VALU_DEP_2) | instskip(NEXT) | instid1(VALU_DEP_2)
	v_pk_fma_f32 v[18:19], v[26:27], v[40:41], v[18:19] op_sel:[0,1,0]
	v_pk_fma_f32 v[14:15], v[26:27], v[44:45], v[14:15] op_sel:[0,1,0]
	v_mov_b32_e32 v26, v43
	s_delay_alu instid0(VALU_DEP_3) | instskip(NEXT) | instid1(VALU_DEP_3)
	v_pk_fma_f32 v[18:19], v[32:33], v[42:43], v[18:19] op_sel_hi:[1,0,1]
	v_pk_fma_f32 v[14:15], v[32:33], v[46:47], v[14:15] op_sel_hi:[1,0,1]
	s_delay_alu instid0(VALU_DEP_2) | instskip(NEXT) | instid1(VALU_DEP_2)
	v_pk_fma_f32 v[18:19], v[34:35], v[26:27], v[18:19] op_sel_hi:[1,0,1]
	v_pk_fma_f32 v[14:15], v[34:35], v[36:37], v[14:15] op_sel_hi:[1,0,1]
	s_cbranch_vccz .LBB52_11
.LBB52_7:                               ;   Parent Loop BB52_4 Depth=1
                                        ; =>  This Inner Loop Header: Depth=2
	v_add_nc_u64_e32 v[26:27], s[20:21], v[0:1]
	s_delay_alu instid0(VALU_DEP_1) | instskip(SKIP_2) | instid1(SALU_CYCLE_1)
	v_cmp_gt_i64_e32 vcc_lo, s[36:37], v[26:27]
	v_mov_b32_e32 v26, 0
	s_and_b32 s27, s0, vcc_lo
	s_and_saveexec_b32 s26, s27
	s_cbranch_execz .LBB52_9
; %bb.8:                                ;   in Loop: Header=BB52_7 Depth=2
	flat_load_b32 v26, v[24:25]
.LBB52_9:                               ;   in Loop: Header=BB52_7 Depth=2
	s_wait_xcnt 0x0
	s_or_b32 exec_lo, exec_lo, s26
	v_add_nc_u64_e32 v[32:33], s[20:21], v[2:3]
	v_mov_b32_e32 v27, 0
	s_wait_loadcnt_dscnt 0x0
	ds_store_b32 v28, v26
	v_cmp_gt_i64_e32 vcc_lo, s[36:37], v[32:33]
	s_and_b32 s27, vcc_lo, s1
	s_delay_alu instid0(SALU_CYCLE_1)
	s_and_saveexec_b32 s26, s27
	s_cbranch_execz .LBB52_6
; %bb.10:                               ;   in Loop: Header=BB52_7 Depth=2
	flat_load_b32 v27, v[22:23]
	s_branch .LBB52_6
.LBB52_11:                              ;   in Loop: Header=BB52_4 Depth=1
	s_wait_loadcnt 0x0
	v_add_nc_u64_e32 v[20:21], s[12:13], v[20:21]
	s_and_not1_b32 vcc_lo, exec_lo, s24
	s_cbranch_vccnz .LBB52_16
; %bb.12:                               ;   in Loop: Header=BB52_4 Depth=1
	s_and_saveexec_b32 s20, s2
	s_cbranch_execz .LBB52_23
; %bb.13:                               ;   in Loop: Header=BB52_4 Depth=1
	s_delay_alu instid0(VALU_DEP_1) | instskip(NEXT) | instid1(VALU_DEP_1)
	v_lshl_add_u64 v[22:23], v[6:7], 2, v[20:21]
	v_lshl_add_u64 v[24:25], v[4:5], 2, v[22:23]
	s_and_saveexec_b32 s21, s3
	s_cbranch_execnz .LBB52_17
; %bb.14:                               ;   in Loop: Header=BB52_4 Depth=1
	s_or_b32 exec_lo, exec_lo, s21
	s_and_saveexec_b32 s21, s4
	s_cbranch_execnz .LBB52_18
.LBB52_15:                              ;   in Loop: Header=BB52_4 Depth=1
	s_or_b32 exec_lo, exec_lo, s21
	s_delay_alu instid0(SALU_CYCLE_1)
	s_and_b32 exec_lo, exec_lo, s5
	s_cbranch_execnz .LBB52_19
	s_branch .LBB52_23
.LBB52_16:                              ;   in Loop: Header=BB52_4 Depth=1
	s_branch .LBB52_24
.LBB52_17:                              ;   in Loop: Header=BB52_4 Depth=1
	v_mul_f32_e32 v26, s38, v18
	flat_store_b32 v[24:25], v26
	s_wait_xcnt 0x0
	s_or_b32 exec_lo, exec_lo, s21
	s_and_saveexec_b32 s21, s4
	s_cbranch_execz .LBB52_15
.LBB52_18:                              ;   in Loop: Header=BB52_4 Depth=1
	v_mul_f32_e32 v26, s38, v19
	flat_store_b32 v[24:25], v26 offset:64
	s_wait_xcnt 0x0
	s_or_b32 exec_lo, exec_lo, s21
	s_delay_alu instid0(SALU_CYCLE_1)
	s_and_b32 exec_lo, exec_lo, s5
	s_cbranch_execz .LBB52_23
.LBB52_19:                              ;   in Loop: Header=BB52_4 Depth=1
	v_lshl_add_u64 v[22:23], s[6:7], 2, v[22:23]
	s_delay_alu instid0(VALU_DEP_1)
	v_lshl_add_u64 v[22:23], v[4:5], 2, v[22:23]
	s_and_saveexec_b32 s21, s3
	s_cbranch_execz .LBB52_21
; %bb.20:                               ;   in Loop: Header=BB52_4 Depth=1
	v_mul_f32_e32 v24, s38, v14
	flat_store_b32 v[22:23], v24
.LBB52_21:                              ;   in Loop: Header=BB52_4 Depth=1
	s_wait_xcnt 0x0
	s_or_b32 exec_lo, exec_lo, s21
	s_delay_alu instid0(SALU_CYCLE_1)
	s_and_b32 exec_lo, exec_lo, s4
	s_cbranch_execz .LBB52_23
; %bb.22:                               ;   in Loop: Header=BB52_4 Depth=1
	v_mul_f32_e32 v24, s38, v15
	flat_store_b32 v[22:23], v24 offset:64
.LBB52_23:                              ;   in Loop: Header=BB52_4 Depth=1
	s_wait_xcnt 0x0
	s_or_b32 exec_lo, exec_lo, s20
	s_cbranch_execnz .LBB52_3
.LBB52_24:                              ;   in Loop: Header=BB52_4 Depth=1
	s_and_saveexec_b32 s20, s2
	s_cbranch_execz .LBB52_2
; %bb.25:                               ;   in Loop: Header=BB52_4 Depth=1
	v_add_nc_u64_e32 v[22:23], s[18:19], v[16:17]
	v_lshlrev_b64_e32 v[16:17], 2, v[4:5]
	v_lshl_add_u64 v[20:21], v[6:7], 2, v[20:21]
	s_delay_alu instid0(VALU_DEP_3) | instskip(NEXT) | instid1(VALU_DEP_2)
	v_lshl_add_u64 v[22:23], v[8:9], 2, v[22:23]
	v_add_nc_u64_e32 v[24:25], v[20:21], v[16:17]
	s_delay_alu instid0(VALU_DEP_2)
	v_add_nc_u64_e32 v[26:27], v[22:23], v[16:17]
	s_and_saveexec_b32 s21, s3
	s_cbranch_execnz .LBB52_28
; %bb.26:                               ;   in Loop: Header=BB52_4 Depth=1
	s_or_b32 exec_lo, exec_lo, s21
	s_and_saveexec_b32 s21, s4
	s_cbranch_execnz .LBB52_29
.LBB52_27:                              ;   in Loop: Header=BB52_4 Depth=1
	s_or_b32 exec_lo, exec_lo, s21
	s_delay_alu instid0(SALU_CYCLE_1)
	s_and_b32 exec_lo, exec_lo, s5
	s_cbranch_execz .LBB52_2
	s_branch .LBB52_30
.LBB52_28:                              ;   in Loop: Header=BB52_4 Depth=1
	flat_load_b32 v33, v[26:27]
	v_mov_b64_e32 v[34:35], s[40:41]
	v_mov_b32_e32 v32, v18
	s_wait_loadcnt_dscnt 0x0
	s_delay_alu instid0(VALU_DEP_1) | instskip(NEXT) | instid1(VALU_DEP_1)
	v_pk_mul_f32 v[32:33], v[34:35], v[32:33]
	v_add_f32_e32 v18, v32, v33
	flat_store_b32 v[24:25], v18
	s_wait_xcnt 0x0
	s_or_b32 exec_lo, exec_lo, s21
	s_and_saveexec_b32 s21, s4
	s_cbranch_execz .LBB52_27
.LBB52_29:                              ;   in Loop: Header=BB52_4 Depth=1
	flat_load_b32 v27, v[26:27] offset:64
	s_wait_xcnt 0x0
	v_mov_b32_e32 v26, v19
	v_mov_b64_e32 v[18:19], s[40:41]
	s_wait_loadcnt_dscnt 0x0
	s_delay_alu instid0(VALU_DEP_1) | instskip(NEXT) | instid1(VALU_DEP_1)
	v_pk_mul_f32 v[18:19], v[18:19], v[26:27]
	v_add_f32_e32 v18, v18, v19
	flat_store_b32 v[24:25], v18 offset:64
	s_wait_xcnt 0x0
	s_or_b32 exec_lo, exec_lo, s21
	s_delay_alu instid0(SALU_CYCLE_1)
	s_and_b32 exec_lo, exec_lo, s5
	s_cbranch_execz .LBB52_2
.LBB52_30:                              ;   in Loop: Header=BB52_4 Depth=1
	v_lshl_add_u64 v[18:19], s[10:11], 2, v[22:23]
	v_lshl_add_u64 v[20:21], s[6:7], 2, v[20:21]
	s_delay_alu instid0(VALU_DEP_2) | instskip(NEXT) | instid1(VALU_DEP_2)
	v_add_nc_u64_e32 v[18:19], v[18:19], v[16:17]
	v_add_nc_u64_e32 v[16:17], v[20:21], v[16:17]
	s_and_saveexec_b32 s21, s3
	s_cbranch_execz .LBB52_32
; %bb.31:                               ;   in Loop: Header=BB52_4 Depth=1
	flat_load_b32 v21, v[18:19]
	v_mov_b64_e32 v[22:23], s[40:41]
	v_mov_b32_e32 v20, v14
	s_wait_loadcnt_dscnt 0x0
	s_delay_alu instid0(VALU_DEP_1) | instskip(NEXT) | instid1(VALU_DEP_1)
	v_pk_mul_f32 v[20:21], v[22:23], v[20:21]
	v_add_f32_e32 v14, v20, v21
	flat_store_b32 v[16:17], v14
.LBB52_32:                              ;   in Loop: Header=BB52_4 Depth=1
	s_wait_xcnt 0x0
	s_or_b32 exec_lo, exec_lo, s21
	s_delay_alu instid0(SALU_CYCLE_1)
	s_and_b32 exec_lo, exec_lo, s4
	s_cbranch_execz .LBB52_2
; %bb.33:                               ;   in Loop: Header=BB52_4 Depth=1
	flat_load_b32 v19, v[18:19] offset:64
	s_wait_xcnt 0x0
	v_mov_b32_e32 v18, v15
	v_mov_b64_e32 v[14:15], s[40:41]
	s_wait_loadcnt_dscnt 0x0
	s_delay_alu instid0(VALU_DEP_1) | instskip(NEXT) | instid1(VALU_DEP_1)
	v_pk_mul_f32 v[14:15], v[14:15], v[18:19]
	v_add_f32_e32 v14, v14, v15
	flat_store_b32 v[16:17], v14 offset:64
	s_branch .LBB52_2
.LBB52_34:
	s_endpgm
	.section	.rodata,"a",@progbits
	.p2align	6, 0x0
	.amdhsa_kernel _ZN12_GLOBAL__N_135rocblas_gemm_batched_general_kernelIfLi16ELi16ELi32ELi32ELi8ELi32ELi8ELi8ELi32ELc67ELc78EKPKfS3_KPfEEvlllT_PT11_llS8_llS6_PT12_llPT13_lli
		.amdhsa_group_segment_fixed_size 2048
		.amdhsa_private_segment_fixed_size 0
		.amdhsa_kernarg_size 140
		.amdhsa_user_sgpr_count 2
		.amdhsa_user_sgpr_dispatch_ptr 0
		.amdhsa_user_sgpr_queue_ptr 0
		.amdhsa_user_sgpr_kernarg_segment_ptr 1
		.amdhsa_user_sgpr_dispatch_id 0
		.amdhsa_user_sgpr_kernarg_preload_length 0
		.amdhsa_user_sgpr_kernarg_preload_offset 0
		.amdhsa_user_sgpr_private_segment_size 0
		.amdhsa_wavefront_size32 1
		.amdhsa_uses_dynamic_stack 0
		.amdhsa_enable_private_segment 0
		.amdhsa_system_sgpr_workgroup_id_x 1
		.amdhsa_system_sgpr_workgroup_id_y 1
		.amdhsa_system_sgpr_workgroup_id_z 1
		.amdhsa_system_sgpr_workgroup_info 0
		.amdhsa_system_vgpr_workitem_id 1
		.amdhsa_next_free_vgpr 56
		.amdhsa_next_free_sgpr 44
		.amdhsa_named_barrier_count 0
		.amdhsa_reserve_vcc 1
		.amdhsa_float_round_mode_32 0
		.amdhsa_float_round_mode_16_64 0
		.amdhsa_float_denorm_mode_32 3
		.amdhsa_float_denorm_mode_16_64 3
		.amdhsa_fp16_overflow 0
		.amdhsa_memory_ordered 1
		.amdhsa_forward_progress 1
		.amdhsa_inst_pref_size 15
		.amdhsa_round_robin_scheduling 0
		.amdhsa_exception_fp_ieee_invalid_op 0
		.amdhsa_exception_fp_denorm_src 0
		.amdhsa_exception_fp_ieee_div_zero 0
		.amdhsa_exception_fp_ieee_overflow 0
		.amdhsa_exception_fp_ieee_underflow 0
		.amdhsa_exception_fp_ieee_inexact 0
		.amdhsa_exception_int_div_zero 0
	.end_amdhsa_kernel
	.section	.text._ZN12_GLOBAL__N_135rocblas_gemm_batched_general_kernelIfLi16ELi16ELi32ELi32ELi8ELi32ELi8ELi8ELi32ELc67ELc78EKPKfS3_KPfEEvlllT_PT11_llS8_llS6_PT12_llPT13_lli,"axG",@progbits,_ZN12_GLOBAL__N_135rocblas_gemm_batched_general_kernelIfLi16ELi16ELi32ELi32ELi8ELi32ELi8ELi8ELi32ELc67ELc78EKPKfS3_KPfEEvlllT_PT11_llS8_llS6_PT12_llPT13_lli,comdat
.Lfunc_end52:
	.size	_ZN12_GLOBAL__N_135rocblas_gemm_batched_general_kernelIfLi16ELi16ELi32ELi32ELi8ELi32ELi8ELi8ELi32ELc67ELc78EKPKfS3_KPfEEvlllT_PT11_llS8_llS6_PT12_llPT13_lli, .Lfunc_end52-_ZN12_GLOBAL__N_135rocblas_gemm_batched_general_kernelIfLi16ELi16ELi32ELi32ELi8ELi32ELi8ELi8ELi32ELc67ELc78EKPKfS3_KPfEEvlllT_PT11_llS8_llS6_PT12_llPT13_lli
                                        ; -- End function
	.set _ZN12_GLOBAL__N_135rocblas_gemm_batched_general_kernelIfLi16ELi16ELi32ELi32ELi8ELi32ELi8ELi8ELi32ELc67ELc78EKPKfS3_KPfEEvlllT_PT11_llS8_llS6_PT12_llPT13_lli.num_vgpr, 56
	.set _ZN12_GLOBAL__N_135rocblas_gemm_batched_general_kernelIfLi16ELi16ELi32ELi32ELi8ELi32ELi8ELi8ELi32ELc67ELc78EKPKfS3_KPfEEvlllT_PT11_llS8_llS6_PT12_llPT13_lli.num_agpr, 0
	.set _ZN12_GLOBAL__N_135rocblas_gemm_batched_general_kernelIfLi16ELi16ELi32ELi32ELi8ELi32ELi8ELi8ELi32ELc67ELc78EKPKfS3_KPfEEvlllT_PT11_llS8_llS6_PT12_llPT13_lli.numbered_sgpr, 44
	.set _ZN12_GLOBAL__N_135rocblas_gemm_batched_general_kernelIfLi16ELi16ELi32ELi32ELi8ELi32ELi8ELi8ELi32ELc67ELc78EKPKfS3_KPfEEvlllT_PT11_llS8_llS6_PT12_llPT13_lli.num_named_barrier, 0
	.set _ZN12_GLOBAL__N_135rocblas_gemm_batched_general_kernelIfLi16ELi16ELi32ELi32ELi8ELi32ELi8ELi8ELi32ELc67ELc78EKPKfS3_KPfEEvlllT_PT11_llS8_llS6_PT12_llPT13_lli.private_seg_size, 0
	.set _ZN12_GLOBAL__N_135rocblas_gemm_batched_general_kernelIfLi16ELi16ELi32ELi32ELi8ELi32ELi8ELi8ELi32ELc67ELc78EKPKfS3_KPfEEvlllT_PT11_llS8_llS6_PT12_llPT13_lli.uses_vcc, 1
	.set _ZN12_GLOBAL__N_135rocblas_gemm_batched_general_kernelIfLi16ELi16ELi32ELi32ELi8ELi32ELi8ELi8ELi32ELc67ELc78EKPKfS3_KPfEEvlllT_PT11_llS8_llS6_PT12_llPT13_lli.uses_flat_scratch, 0
	.set _ZN12_GLOBAL__N_135rocblas_gemm_batched_general_kernelIfLi16ELi16ELi32ELi32ELi8ELi32ELi8ELi8ELi32ELc67ELc78EKPKfS3_KPfEEvlllT_PT11_llS8_llS6_PT12_llPT13_lli.has_dyn_sized_stack, 0
	.set _ZN12_GLOBAL__N_135rocblas_gemm_batched_general_kernelIfLi16ELi16ELi32ELi32ELi8ELi32ELi8ELi8ELi32ELc67ELc78EKPKfS3_KPfEEvlllT_PT11_llS8_llS6_PT12_llPT13_lli.has_recursion, 0
	.set _ZN12_GLOBAL__N_135rocblas_gemm_batched_general_kernelIfLi16ELi16ELi32ELi32ELi8ELi32ELi8ELi8ELi32ELc67ELc78EKPKfS3_KPfEEvlllT_PT11_llS8_llS6_PT12_llPT13_lli.has_indirect_call, 0
	.section	.AMDGPU.csdata,"",@progbits
; Kernel info:
; codeLenInByte = 1824
; TotalNumSgprs: 46
; NumVgprs: 56
; ScratchSize: 0
; MemoryBound: 0
; FloatMode: 240
; IeeeMode: 1
; LDSByteSize: 2048 bytes/workgroup (compile time only)
; SGPRBlocks: 0
; VGPRBlocks: 3
; NumSGPRsForWavesPerEU: 46
; NumVGPRsForWavesPerEU: 56
; NamedBarCnt: 0
; Occupancy: 16
; WaveLimiterHint : 1
; COMPUTE_PGM_RSRC2:SCRATCH_EN: 0
; COMPUTE_PGM_RSRC2:USER_SGPR: 2
; COMPUTE_PGM_RSRC2:TRAP_HANDLER: 0
; COMPUTE_PGM_RSRC2:TGID_X_EN: 1
; COMPUTE_PGM_RSRC2:TGID_Y_EN: 1
; COMPUTE_PGM_RSRC2:TGID_Z_EN: 1
; COMPUTE_PGM_RSRC2:TIDIG_COMP_CNT: 1
	.section	.text._ZN12_GLOBAL__N_135rocblas_gemm_batched_general_kernelIfLi16ELi16ELi32ELi32ELi8ELi32ELi8ELi8ELi32ELc67ELc84EKPKfS3_KPfEEvlllT_PT11_llS8_llS6_PT12_llPT13_lli,"axG",@progbits,_ZN12_GLOBAL__N_135rocblas_gemm_batched_general_kernelIfLi16ELi16ELi32ELi32ELi8ELi32ELi8ELi8ELi32ELc67ELc84EKPKfS3_KPfEEvlllT_PT11_llS8_llS6_PT12_llPT13_lli,comdat
	.globl	_ZN12_GLOBAL__N_135rocblas_gemm_batched_general_kernelIfLi16ELi16ELi32ELi32ELi8ELi32ELi8ELi8ELi32ELc67ELc84EKPKfS3_KPfEEvlllT_PT11_llS8_llS6_PT12_llPT13_lli ; -- Begin function _ZN12_GLOBAL__N_135rocblas_gemm_batched_general_kernelIfLi16ELi16ELi32ELi32ELi8ELi32ELi8ELi8ELi32ELc67ELc84EKPKfS3_KPfEEvlllT_PT11_llS8_llS6_PT12_llPT13_lli
	.p2align	8
	.type	_ZN12_GLOBAL__N_135rocblas_gemm_batched_general_kernelIfLi16ELi16ELi32ELi32ELi8ELi32ELi8ELi8ELi32ELc67ELc84EKPKfS3_KPfEEvlllT_PT11_llS8_llS6_PT12_llPT13_lli,@function
_ZN12_GLOBAL__N_135rocblas_gemm_batched_general_kernelIfLi16ELi16ELi32ELi32ELi8ELi32ELi8ELi8ELi32ELc67ELc84EKPKfS3_KPfEEvlllT_PT11_llS8_llS6_PT12_llPT13_lli: ; @_ZN12_GLOBAL__N_135rocblas_gemm_batched_general_kernelIfLi16ELi16ELi32ELi32ELi8ELi32ELi8ELi8ELi32ELc67ELc84EKPKfS3_KPfEEvlllT_PT11_llS8_llS6_PT12_llPT13_lli
; %bb.0:
	s_load_b32 s33, s[0:1], 0x88
	s_bfe_u32 s2, ttmp6, 0x40014
	s_lshr_b32 s3, ttmp7, 16
	s_add_co_i32 s2, s2, 1
	s_bfe_u32 s5, ttmp6, 0x40008
	s_mul_i32 s4, s3, s2
	s_getreg_b32 s2, hwreg(HW_REG_IB_STS2, 6, 4)
	s_add_co_i32 s5, s5, s4
	s_cmp_eq_u32 s2, 0
	s_mov_b32 s35, 0
	s_cselect_b32 s34, s3, s5
	s_wait_kmcnt 0x0
	s_cmp_ge_i32 s34, s33
	s_cbranch_scc1 .LBB53_34
; %bb.1:
	v_bfe_u32 v10, v0, 10, 10
	v_and_b32_e32 v12, 0x3ff, v0
	s_clause 0x6
	s_load_b128 s[4:7], s[0:1], 0x0
	s_load_b96 s[36:38], s[0:1], 0x10
	s_load_b256 s[8:15], s[0:1], 0x20
	s_load_b128 s[24:27], s[0:1], 0x40
	s_load_b32 s41, s[0:1], 0x50
	s_load_b128 s[28:31], s[0:1], 0x78
	s_load_b256 s[16:23], s[0:1], 0x58
	s_wait_xcnt 0x0
	s_bfe_u32 s0, ttmp6, 0x4000c
	s_bfe_u32 s3, ttmp6, 0x40010
	s_add_co_i32 s0, s0, 1
	s_and_b32 s39, ttmp7, 0xffff
	s_add_co_i32 s3, s3, 1
	s_and_b32 s1, ttmp6, 15
	s_mul_i32 s0, ttmp9, s0
	s_mul_i32 s3, s39, s3
	s_bfe_u32 s40, ttmp6, 0x40004
	v_lshl_add_u32 v6, v10, 4, v12
	s_add_co_i32 s1, s1, s0
	s_add_co_i32 s40, s40, s3
	s_cmp_eq_u32 s2, 0
	s_delay_alu instid0(VALU_DEP_1) | instskip(SKIP_3) | instid1(VALU_DEP_1)
	v_dual_mov_b32 v1, 0 :: v_dual_bitop2_b32 v8, 31, v6 bitop3:0x40
	s_cselect_b32 s0, ttmp9, s1
	s_cselect_b32 s40, s39, s40
	s_ashr_i32 s1, s0, 31
	v_dual_mov_b32 v11, v1 :: v_dual_bitop2_b32 v2, 7, v0 bitop3:0x40
	s_lshl_b64 s[2:3], s[0:1], 5
	v_dual_mov_b32 v3, v1 :: v_dual_lshrrev_b32 v14, 3, v6
	v_dual_mov_b32 v15, v1 :: v_dual_bitop2_b32 v4, s2, v8 bitop3:0x54
	s_delay_alu instid0(VALU_DEP_3) | instskip(SKIP_1) | instid1(VALU_DEP_3)
	v_dual_mov_b32 v5, s3 :: v_dual_lshlrev_b32 v9, 2, v2
	s_wait_kmcnt 0x0
	v_mul_u64_e32 v[16:17], s[24:25], v[2:3]
	s_lshl_b32 s0, s40, 5
	s_mov_b32 s1, s35
	v_mul_u64_e32 v[18:19], s[10:11], v[4:5]
	v_dual_lshrrev_b32 v0, 5, v6 :: v_dual_lshlrev_b32 v8, 2, v8
	v_add_nc_u64_e32 v[6:7], s[0:1], v[14:15]
	v_add_nc_u64_e32 v[20:21], s[0:1], v[10:11]
	v_lshl_or_b32 v9, v14, 5, v9
	v_dual_mov_b32 v13, v1 :: v_dual_lshlrev_b32 v30, 2, v12
	v_lshl_or_b32 v28, v0, 7, v8
	v_cmp_gt_i64_e64 s0, s[4:5], v[4:5]
	v_cmp_gt_i64_e64 s1, s[6:7], v[6:7]
	v_add_nc_u32_e32 v29, 0x400, v9
	v_mul_u64_e32 v[6:7], s[28:29], v[20:21]
	v_mul_u64_e32 v[8:9], s[18:19], v[20:21]
	v_add_nc_u64_e32 v[4:5], s[2:3], v[12:13]
	v_lshl_add_u32 v31, v10, 5, 0x400
	v_add_nc_u64_e32 v[12:13], 16, v[20:21]
	s_cmp_eq_f32 s41, 0
	s_mov_b32 s11, s35
	v_cmp_gt_i64_e64 s2, s[6:7], v[20:21]
	s_delay_alu instid0(VALU_DEP_4)
	v_add_nc_u64_e32 v[10:11], 16, v[4:5]
	s_cselect_b32 s39, -1, 0
	s_lshl_b32 s10, s40, 7
	s_lshl_b64 s[26:27], s[26:27], 2
	v_cmp_gt_i64_e64 s3, s[4:5], v[4:5]
	s_add_nc_u64 s[10:11], s[26:27], s[10:11]
	v_cmp_gt_i64_e64 s26, s[36:37], 0
	v_cmp_gt_i64_e64 s4, s[4:5], v[10:11]
	;; [unrolled: 1-line block ×3, first 2 shown]
	s_lshl_b64 s[6:7], s[12:13], 2
	v_lshl_add_u64 v[10:11], v[16:17], 2, s[10:11]
	v_dual_mov_b32 v13, v1 :: v_dual_lshlrev_b32 v12, 2, v14
	v_lshl_add_u64 v[14:15], v[18:19], 2, s[6:7]
	v_dual_mov_b32 v17, v1 :: v_dual_lshlrev_b32 v16, 2, v0
	s_lshl_b64 s[6:7], s[28:29], 4
	s_delay_alu instid0(VALU_DEP_3)
	v_add_nc_u64_e32 v[10:11], v[10:11], v[12:13]
	s_mov_b32 s40, s38
	s_lshl_b64 s[10:11], s[18:19], 4
	v_add_nc_u64_e32 v[12:13], v[14:15], v[16:17]
	s_lshl_b64 s[12:13], s[24:25], 5
	s_lshl_b64 s[18:19], s[30:31], 2
	;; [unrolled: 1-line block ×3, first 2 shown]
	s_branch .LBB53_4
.LBB53_2:                               ;   in Loop: Header=BB53_4 Depth=1
	s_wait_xcnt 0x0
	s_or_b32 exec_lo, exec_lo, s24
.LBB53_3:                               ;   in Loop: Header=BB53_4 Depth=1
	s_add_co_i32 s34, s34, 0x10000
	s_delay_alu instid0(SALU_CYCLE_1)
	s_cmp_lt_i32 s34, s33
	s_cbranch_scc0 .LBB53_34
.LBB53_4:                               ; =>This Loop Header: Depth=1
                                        ;     Child Loop BB53_7 Depth 2
	v_dual_mov_b32 v14, s34 :: v_dual_mov_b32 v19, 0
	v_dual_mov_b32 v18, 0 :: v_dual_mov_b32 v15, 0
	s_and_not1_b32 vcc_lo, exec_lo, s26
	s_clause 0x1
	global_load_b64 v[16:17], v14, s[16:17] scale_offset
	global_load_b64 v[20:21], v14, s[22:23] scale_offset
	s_wait_xcnt 0x0
	v_mov_b32_e32 v14, 0
	s_cbranch_vccnz .LBB53_11
; %bb.5:                                ;   in Loop: Header=BB53_4 Depth=1
	s_lshl_b64 s[24:25], s[34:35], 3
	v_mov_b32_e32 v18, 0
	s_add_nc_u64 s[28:29], s[14:15], s[24:25]
	s_add_nc_u64 s[24:25], s[8:9], s[24:25]
	s_clause 0x1
	global_load_b64 v[14:15], v1, s[28:29]
	global_load_b64 v[24:25], v1, s[24:25]
	s_wait_xcnt 0x0
	s_mov_b64 s[24:25], 0
	v_mov_b32_e32 v19, v18
	s_wait_loadcnt 0x1
	v_add_nc_u64_e32 v[22:23], v[14:15], v[10:11]
	s_wait_loadcnt 0x0
	v_add_nc_u64_e32 v[24:25], v[24:25], v[12:13]
	v_dual_mov_b32 v14, v18 :: v_dual_mov_b32 v15, v18
	s_branch .LBB53_7
.LBB53_6:                               ;   in Loop: Header=BB53_7 Depth=2
	s_wait_xcnt 0x0
	s_or_b32 exec_lo, exec_lo, s27
	s_wait_loadcnt_dscnt 0x0
	ds_store_b32 v29, v27
	s_wait_dscnt 0x0
	s_barrier_signal -1
	s_barrier_wait -1
	ds_load_b128 v[32:35], v31
	ds_load_2addr_b32 v[26:27], v30 offset1:16
	ds_load_b128 v[36:39], v31 offset:512
	ds_load_2addr_b32 v[48:49], v30 offset0:32 offset1:48
	ds_load_2addr_b32 v[50:51], v30 offset0:64 offset1:80
	;; [unrolled: 1-line block ×3, first 2 shown]
	ds_load_b128 v[40:43], v31 offset:16
	ds_load_2addr_b32 v[54:55], v30 offset0:128 offset1:144
	ds_load_b128 v[44:47], v31 offset:528
	s_add_nc_u64 s[24:25], s[24:25], 8
	v_add_nc_u64_e32 v[22:23], s[12:13], v[22:23]
	v_cmp_lt_i64_e64 s27, s[24:25], s[36:37]
	v_add_nc_u64_e32 v[24:25], 32, v[24:25]
	s_and_b32 vcc_lo, exec_lo, s27
	s_wait_dscnt 0x7
	v_pk_fma_f32 v[18:19], v[26:27], v[32:33], v[18:19] op_sel_hi:[1,0,1]
	s_wait_dscnt 0x6
	v_pk_fma_f32 v[14:15], v[26:27], v[36:37], v[14:15] op_sel_hi:[1,0,1]
	ds_load_2addr_b32 v[26:27], v30 offset0:160 offset1:176
	s_wait_dscnt 0x6
	v_pk_fma_f32 v[18:19], v[48:49], v[32:33], v[18:19] op_sel:[0,1,0]
	v_pk_fma_f32 v[14:15], v[48:49], v[36:37], v[14:15] op_sel:[0,1,0]
	ds_load_2addr_b32 v[32:33], v30 offset0:192 offset1:208
	v_dual_mov_b32 v36, v35 :: v_dual_mov_b32 v48, v39
	s_wait_dscnt 0x6
	v_pk_fma_f32 v[18:19], v[50:51], v[34:35], v[18:19] op_sel_hi:[1,0,1]
	v_pk_fma_f32 v[14:15], v[50:51], v[38:39], v[14:15] op_sel_hi:[1,0,1]
	ds_load_2addr_b32 v[34:35], v30 offset0:224 offset1:240
	s_wait_dscnt 0x0
	s_barrier_signal -1
	v_pk_fma_f32 v[18:19], v[52:53], v[36:37], v[18:19] op_sel_hi:[1,0,1]
	v_pk_fma_f32 v[14:15], v[52:53], v[48:49], v[14:15] op_sel_hi:[1,0,1]
	s_barrier_wait -1
	v_mov_b32_e32 v36, v47
	s_delay_alu instid0(VALU_DEP_3) | instskip(NEXT) | instid1(VALU_DEP_3)
	v_pk_fma_f32 v[18:19], v[54:55], v[40:41], v[18:19] op_sel_hi:[1,0,1]
	v_pk_fma_f32 v[14:15], v[54:55], v[44:45], v[14:15] op_sel_hi:[1,0,1]
	s_delay_alu instid0(VALU_DEP_2) | instskip(NEXT) | instid1(VALU_DEP_2)
	v_pk_fma_f32 v[18:19], v[26:27], v[40:41], v[18:19] op_sel:[0,1,0]
	v_pk_fma_f32 v[14:15], v[26:27], v[44:45], v[14:15] op_sel:[0,1,0]
	v_mov_b32_e32 v26, v43
	s_delay_alu instid0(VALU_DEP_3) | instskip(NEXT) | instid1(VALU_DEP_3)
	v_pk_fma_f32 v[18:19], v[32:33], v[42:43], v[18:19] op_sel_hi:[1,0,1]
	v_pk_fma_f32 v[14:15], v[32:33], v[46:47], v[14:15] op_sel_hi:[1,0,1]
	s_delay_alu instid0(VALU_DEP_2) | instskip(NEXT) | instid1(VALU_DEP_2)
	v_pk_fma_f32 v[18:19], v[34:35], v[26:27], v[18:19] op_sel_hi:[1,0,1]
	v_pk_fma_f32 v[14:15], v[34:35], v[36:37], v[14:15] op_sel_hi:[1,0,1]
	s_cbranch_vccz .LBB53_11
.LBB53_7:                               ;   Parent Loop BB53_4 Depth=1
                                        ; =>  This Inner Loop Header: Depth=2
	v_add_nc_u64_e32 v[26:27], s[24:25], v[0:1]
	s_delay_alu instid0(VALU_DEP_1) | instskip(SKIP_2) | instid1(SALU_CYCLE_1)
	v_cmp_gt_i64_e32 vcc_lo, s[36:37], v[26:27]
	v_mov_b32_e32 v26, 0
	s_and_b32 s28, s0, vcc_lo
	s_and_saveexec_b32 s27, s28
	s_cbranch_execz .LBB53_9
; %bb.8:                                ;   in Loop: Header=BB53_7 Depth=2
	flat_load_b32 v26, v[24:25]
.LBB53_9:                               ;   in Loop: Header=BB53_7 Depth=2
	s_wait_xcnt 0x0
	s_or_b32 exec_lo, exec_lo, s27
	v_add_nc_u64_e32 v[32:33], s[24:25], v[2:3]
	v_mov_b32_e32 v27, 0
	s_wait_loadcnt_dscnt 0x0
	ds_store_b32 v28, v26
	v_cmp_gt_i64_e32 vcc_lo, s[36:37], v[32:33]
	s_and_b32 s28, vcc_lo, s1
	s_delay_alu instid0(SALU_CYCLE_1)
	s_and_saveexec_b32 s27, s28
	s_cbranch_execz .LBB53_6
; %bb.10:                               ;   in Loop: Header=BB53_7 Depth=2
	flat_load_b32 v27, v[22:23]
	s_branch .LBB53_6
.LBB53_11:                              ;   in Loop: Header=BB53_4 Depth=1
	s_wait_loadcnt 0x0
	v_add_nc_u64_e32 v[20:21], s[18:19], v[20:21]
	s_and_not1_b32 vcc_lo, exec_lo, s39
	s_cbranch_vccnz .LBB53_16
; %bb.12:                               ;   in Loop: Header=BB53_4 Depth=1
	s_and_saveexec_b32 s24, s2
	s_cbranch_execz .LBB53_23
; %bb.13:                               ;   in Loop: Header=BB53_4 Depth=1
	s_delay_alu instid0(VALU_DEP_1) | instskip(NEXT) | instid1(VALU_DEP_1)
	v_lshl_add_u64 v[22:23], v[6:7], 2, v[20:21]
	v_lshl_add_u64 v[24:25], v[4:5], 2, v[22:23]
	s_and_saveexec_b32 s25, s3
	s_cbranch_execnz .LBB53_17
; %bb.14:                               ;   in Loop: Header=BB53_4 Depth=1
	s_or_b32 exec_lo, exec_lo, s25
	s_and_saveexec_b32 s25, s4
	s_cbranch_execnz .LBB53_18
.LBB53_15:                              ;   in Loop: Header=BB53_4 Depth=1
	s_or_b32 exec_lo, exec_lo, s25
	s_delay_alu instid0(SALU_CYCLE_1)
	s_and_b32 exec_lo, exec_lo, s5
	s_cbranch_execnz .LBB53_19
	s_branch .LBB53_23
.LBB53_16:                              ;   in Loop: Header=BB53_4 Depth=1
	s_branch .LBB53_24
.LBB53_17:                              ;   in Loop: Header=BB53_4 Depth=1
	v_mul_f32_e32 v26, s38, v18
	flat_store_b32 v[24:25], v26
	s_wait_xcnt 0x0
	s_or_b32 exec_lo, exec_lo, s25
	s_and_saveexec_b32 s25, s4
	s_cbranch_execz .LBB53_15
.LBB53_18:                              ;   in Loop: Header=BB53_4 Depth=1
	v_mul_f32_e32 v26, s38, v19
	flat_store_b32 v[24:25], v26 offset:64
	s_wait_xcnt 0x0
	s_or_b32 exec_lo, exec_lo, s25
	s_delay_alu instid0(SALU_CYCLE_1)
	s_and_b32 exec_lo, exec_lo, s5
	s_cbranch_execz .LBB53_23
.LBB53_19:                              ;   in Loop: Header=BB53_4 Depth=1
	v_lshl_add_u64 v[22:23], s[6:7], 2, v[22:23]
	s_delay_alu instid0(VALU_DEP_1)
	v_lshl_add_u64 v[22:23], v[4:5], 2, v[22:23]
	s_and_saveexec_b32 s25, s3
	s_cbranch_execz .LBB53_21
; %bb.20:                               ;   in Loop: Header=BB53_4 Depth=1
	v_mul_f32_e32 v24, s38, v14
	flat_store_b32 v[22:23], v24
.LBB53_21:                              ;   in Loop: Header=BB53_4 Depth=1
	s_wait_xcnt 0x0
	s_or_b32 exec_lo, exec_lo, s25
	s_delay_alu instid0(SALU_CYCLE_1)
	s_and_b32 exec_lo, exec_lo, s4
	s_cbranch_execz .LBB53_23
; %bb.22:                               ;   in Loop: Header=BB53_4 Depth=1
	v_mul_f32_e32 v24, s38, v15
	flat_store_b32 v[22:23], v24 offset:64
.LBB53_23:                              ;   in Loop: Header=BB53_4 Depth=1
	s_wait_xcnt 0x0
	s_or_b32 exec_lo, exec_lo, s24
	s_cbranch_execnz .LBB53_3
.LBB53_24:                              ;   in Loop: Header=BB53_4 Depth=1
	s_and_saveexec_b32 s24, s2
	s_cbranch_execz .LBB53_2
; %bb.25:                               ;   in Loop: Header=BB53_4 Depth=1
	v_add_nc_u64_e32 v[22:23], s[20:21], v[16:17]
	v_lshlrev_b64_e32 v[16:17], 2, v[4:5]
	v_lshl_add_u64 v[20:21], v[6:7], 2, v[20:21]
	s_delay_alu instid0(VALU_DEP_3) | instskip(NEXT) | instid1(VALU_DEP_2)
	v_lshl_add_u64 v[22:23], v[8:9], 2, v[22:23]
	v_add_nc_u64_e32 v[24:25], v[20:21], v[16:17]
	s_delay_alu instid0(VALU_DEP_2)
	v_add_nc_u64_e32 v[26:27], v[22:23], v[16:17]
	s_and_saveexec_b32 s25, s3
	s_cbranch_execnz .LBB53_28
; %bb.26:                               ;   in Loop: Header=BB53_4 Depth=1
	s_or_b32 exec_lo, exec_lo, s25
	s_and_saveexec_b32 s25, s4
	s_cbranch_execnz .LBB53_29
.LBB53_27:                              ;   in Loop: Header=BB53_4 Depth=1
	s_or_b32 exec_lo, exec_lo, s25
	s_delay_alu instid0(SALU_CYCLE_1)
	s_and_b32 exec_lo, exec_lo, s5
	s_cbranch_execz .LBB53_2
	s_branch .LBB53_30
.LBB53_28:                              ;   in Loop: Header=BB53_4 Depth=1
	flat_load_b32 v33, v[26:27]
	v_mov_b64_e32 v[34:35], s[40:41]
	v_mov_b32_e32 v32, v18
	s_wait_loadcnt_dscnt 0x0
	s_delay_alu instid0(VALU_DEP_1) | instskip(NEXT) | instid1(VALU_DEP_1)
	v_pk_mul_f32 v[32:33], v[34:35], v[32:33]
	v_add_f32_e32 v18, v32, v33
	flat_store_b32 v[24:25], v18
	s_wait_xcnt 0x0
	s_or_b32 exec_lo, exec_lo, s25
	s_and_saveexec_b32 s25, s4
	s_cbranch_execz .LBB53_27
.LBB53_29:                              ;   in Loop: Header=BB53_4 Depth=1
	flat_load_b32 v27, v[26:27] offset:64
	s_wait_xcnt 0x0
	v_mov_b32_e32 v26, v19
	v_mov_b64_e32 v[18:19], s[40:41]
	s_wait_loadcnt_dscnt 0x0
	s_delay_alu instid0(VALU_DEP_1) | instskip(NEXT) | instid1(VALU_DEP_1)
	v_pk_mul_f32 v[18:19], v[18:19], v[26:27]
	v_add_f32_e32 v18, v18, v19
	flat_store_b32 v[24:25], v18 offset:64
	s_wait_xcnt 0x0
	s_or_b32 exec_lo, exec_lo, s25
	s_delay_alu instid0(SALU_CYCLE_1)
	s_and_b32 exec_lo, exec_lo, s5
	s_cbranch_execz .LBB53_2
.LBB53_30:                              ;   in Loop: Header=BB53_4 Depth=1
	v_lshl_add_u64 v[18:19], s[10:11], 2, v[22:23]
	v_lshl_add_u64 v[20:21], s[6:7], 2, v[20:21]
	s_delay_alu instid0(VALU_DEP_2) | instskip(NEXT) | instid1(VALU_DEP_2)
	v_add_nc_u64_e32 v[18:19], v[18:19], v[16:17]
	v_add_nc_u64_e32 v[16:17], v[20:21], v[16:17]
	s_and_saveexec_b32 s25, s3
	s_cbranch_execz .LBB53_32
; %bb.31:                               ;   in Loop: Header=BB53_4 Depth=1
	flat_load_b32 v21, v[18:19]
	v_mov_b64_e32 v[22:23], s[40:41]
	v_mov_b32_e32 v20, v14
	s_wait_loadcnt_dscnt 0x0
	s_delay_alu instid0(VALU_DEP_1) | instskip(NEXT) | instid1(VALU_DEP_1)
	v_pk_mul_f32 v[20:21], v[22:23], v[20:21]
	v_add_f32_e32 v14, v20, v21
	flat_store_b32 v[16:17], v14
.LBB53_32:                              ;   in Loop: Header=BB53_4 Depth=1
	s_wait_xcnt 0x0
	s_or_b32 exec_lo, exec_lo, s25
	s_delay_alu instid0(SALU_CYCLE_1)
	s_and_b32 exec_lo, exec_lo, s4
	s_cbranch_execz .LBB53_2
; %bb.33:                               ;   in Loop: Header=BB53_4 Depth=1
	flat_load_b32 v19, v[18:19] offset:64
	s_wait_xcnt 0x0
	v_mov_b32_e32 v18, v15
	v_mov_b64_e32 v[14:15], s[40:41]
	s_wait_loadcnt_dscnt 0x0
	s_delay_alu instid0(VALU_DEP_1) | instskip(NEXT) | instid1(VALU_DEP_1)
	v_pk_mul_f32 v[14:15], v[14:15], v[18:19]
	v_add_f32_e32 v14, v14, v15
	flat_store_b32 v[16:17], v14 offset:64
	s_branch .LBB53_2
.LBB53_34:
	s_endpgm
	.section	.rodata,"a",@progbits
	.p2align	6, 0x0
	.amdhsa_kernel _ZN12_GLOBAL__N_135rocblas_gemm_batched_general_kernelIfLi16ELi16ELi32ELi32ELi8ELi32ELi8ELi8ELi32ELc67ELc84EKPKfS3_KPfEEvlllT_PT11_llS8_llS6_PT12_llPT13_lli
		.amdhsa_group_segment_fixed_size 2048
		.amdhsa_private_segment_fixed_size 0
		.amdhsa_kernarg_size 140
		.amdhsa_user_sgpr_count 2
		.amdhsa_user_sgpr_dispatch_ptr 0
		.amdhsa_user_sgpr_queue_ptr 0
		.amdhsa_user_sgpr_kernarg_segment_ptr 1
		.amdhsa_user_sgpr_dispatch_id 0
		.amdhsa_user_sgpr_kernarg_preload_length 0
		.amdhsa_user_sgpr_kernarg_preload_offset 0
		.amdhsa_user_sgpr_private_segment_size 0
		.amdhsa_wavefront_size32 1
		.amdhsa_uses_dynamic_stack 0
		.amdhsa_enable_private_segment 0
		.amdhsa_system_sgpr_workgroup_id_x 1
		.amdhsa_system_sgpr_workgroup_id_y 1
		.amdhsa_system_sgpr_workgroup_id_z 1
		.amdhsa_system_sgpr_workgroup_info 0
		.amdhsa_system_vgpr_workitem_id 1
		.amdhsa_next_free_vgpr 56
		.amdhsa_next_free_sgpr 42
		.amdhsa_named_barrier_count 0
		.amdhsa_reserve_vcc 1
		.amdhsa_float_round_mode_32 0
		.amdhsa_float_round_mode_16_64 0
		.amdhsa_float_denorm_mode_32 3
		.amdhsa_float_denorm_mode_16_64 3
		.amdhsa_fp16_overflow 0
		.amdhsa_memory_ordered 1
		.amdhsa_forward_progress 1
		.amdhsa_inst_pref_size 15
		.amdhsa_round_robin_scheduling 0
		.amdhsa_exception_fp_ieee_invalid_op 0
		.amdhsa_exception_fp_denorm_src 0
		.amdhsa_exception_fp_ieee_div_zero 0
		.amdhsa_exception_fp_ieee_overflow 0
		.amdhsa_exception_fp_ieee_underflow 0
		.amdhsa_exception_fp_ieee_inexact 0
		.amdhsa_exception_int_div_zero 0
	.end_amdhsa_kernel
	.section	.text._ZN12_GLOBAL__N_135rocblas_gemm_batched_general_kernelIfLi16ELi16ELi32ELi32ELi8ELi32ELi8ELi8ELi32ELc67ELc84EKPKfS3_KPfEEvlllT_PT11_llS8_llS6_PT12_llPT13_lli,"axG",@progbits,_ZN12_GLOBAL__N_135rocblas_gemm_batched_general_kernelIfLi16ELi16ELi32ELi32ELi8ELi32ELi8ELi8ELi32ELc67ELc84EKPKfS3_KPfEEvlllT_PT11_llS8_llS6_PT12_llPT13_lli,comdat
.Lfunc_end53:
	.size	_ZN12_GLOBAL__N_135rocblas_gemm_batched_general_kernelIfLi16ELi16ELi32ELi32ELi8ELi32ELi8ELi8ELi32ELc67ELc84EKPKfS3_KPfEEvlllT_PT11_llS8_llS6_PT12_llPT13_lli, .Lfunc_end53-_ZN12_GLOBAL__N_135rocblas_gemm_batched_general_kernelIfLi16ELi16ELi32ELi32ELi8ELi32ELi8ELi8ELi32ELc67ELc84EKPKfS3_KPfEEvlllT_PT11_llS8_llS6_PT12_llPT13_lli
                                        ; -- End function
	.set _ZN12_GLOBAL__N_135rocblas_gemm_batched_general_kernelIfLi16ELi16ELi32ELi32ELi8ELi32ELi8ELi8ELi32ELc67ELc84EKPKfS3_KPfEEvlllT_PT11_llS8_llS6_PT12_llPT13_lli.num_vgpr, 56
	.set _ZN12_GLOBAL__N_135rocblas_gemm_batched_general_kernelIfLi16ELi16ELi32ELi32ELi8ELi32ELi8ELi8ELi32ELc67ELc84EKPKfS3_KPfEEvlllT_PT11_llS8_llS6_PT12_llPT13_lli.num_agpr, 0
	.set _ZN12_GLOBAL__N_135rocblas_gemm_batched_general_kernelIfLi16ELi16ELi32ELi32ELi8ELi32ELi8ELi8ELi32ELc67ELc84EKPKfS3_KPfEEvlllT_PT11_llS8_llS6_PT12_llPT13_lli.numbered_sgpr, 42
	.set _ZN12_GLOBAL__N_135rocblas_gemm_batched_general_kernelIfLi16ELi16ELi32ELi32ELi8ELi32ELi8ELi8ELi32ELc67ELc84EKPKfS3_KPfEEvlllT_PT11_llS8_llS6_PT12_llPT13_lli.num_named_barrier, 0
	.set _ZN12_GLOBAL__N_135rocblas_gemm_batched_general_kernelIfLi16ELi16ELi32ELi32ELi8ELi32ELi8ELi8ELi32ELc67ELc84EKPKfS3_KPfEEvlllT_PT11_llS8_llS6_PT12_llPT13_lli.private_seg_size, 0
	.set _ZN12_GLOBAL__N_135rocblas_gemm_batched_general_kernelIfLi16ELi16ELi32ELi32ELi8ELi32ELi8ELi8ELi32ELc67ELc84EKPKfS3_KPfEEvlllT_PT11_llS8_llS6_PT12_llPT13_lli.uses_vcc, 1
	.set _ZN12_GLOBAL__N_135rocblas_gemm_batched_general_kernelIfLi16ELi16ELi32ELi32ELi8ELi32ELi8ELi8ELi32ELc67ELc84EKPKfS3_KPfEEvlllT_PT11_llS8_llS6_PT12_llPT13_lli.uses_flat_scratch, 0
	.set _ZN12_GLOBAL__N_135rocblas_gemm_batched_general_kernelIfLi16ELi16ELi32ELi32ELi8ELi32ELi8ELi8ELi32ELc67ELc84EKPKfS3_KPfEEvlllT_PT11_llS8_llS6_PT12_llPT13_lli.has_dyn_sized_stack, 0
	.set _ZN12_GLOBAL__N_135rocblas_gemm_batched_general_kernelIfLi16ELi16ELi32ELi32ELi8ELi32ELi8ELi8ELi32ELc67ELc84EKPKfS3_KPfEEvlllT_PT11_llS8_llS6_PT12_llPT13_lli.has_recursion, 0
	.set _ZN12_GLOBAL__N_135rocblas_gemm_batched_general_kernelIfLi16ELi16ELi32ELi32ELi8ELi32ELi8ELi8ELi32ELc67ELc84EKPKfS3_KPfEEvlllT_PT11_llS8_llS6_PT12_llPT13_lli.has_indirect_call, 0
	.section	.AMDGPU.csdata,"",@progbits
; Kernel info:
; codeLenInByte = 1840
; TotalNumSgprs: 44
; NumVgprs: 56
; ScratchSize: 0
; MemoryBound: 0
; FloatMode: 240
; IeeeMode: 1
; LDSByteSize: 2048 bytes/workgroup (compile time only)
; SGPRBlocks: 0
; VGPRBlocks: 3
; NumSGPRsForWavesPerEU: 44
; NumVGPRsForWavesPerEU: 56
; NamedBarCnt: 0
; Occupancy: 16
; WaveLimiterHint : 1
; COMPUTE_PGM_RSRC2:SCRATCH_EN: 0
; COMPUTE_PGM_RSRC2:USER_SGPR: 2
; COMPUTE_PGM_RSRC2:TRAP_HANDLER: 0
; COMPUTE_PGM_RSRC2:TGID_X_EN: 1
; COMPUTE_PGM_RSRC2:TGID_Y_EN: 1
; COMPUTE_PGM_RSRC2:TGID_Z_EN: 1
; COMPUTE_PGM_RSRC2:TIDIG_COMP_CNT: 1
	.section	.text._ZN12_GLOBAL__N_135rocblas_gemm_batched_general_kernelIfLi16ELi16ELi32ELi32ELi8ELi32ELi8ELi8ELi32ELc78ELc67EKPKfS3_KPfEEvlllT_PT11_llS8_llS6_PT12_llPT13_lli,"axG",@progbits,_ZN12_GLOBAL__N_135rocblas_gemm_batched_general_kernelIfLi16ELi16ELi32ELi32ELi8ELi32ELi8ELi8ELi32ELc78ELc67EKPKfS3_KPfEEvlllT_PT11_llS8_llS6_PT12_llPT13_lli,comdat
	.globl	_ZN12_GLOBAL__N_135rocblas_gemm_batched_general_kernelIfLi16ELi16ELi32ELi32ELi8ELi32ELi8ELi8ELi32ELc78ELc67EKPKfS3_KPfEEvlllT_PT11_llS8_llS6_PT12_llPT13_lli ; -- Begin function _ZN12_GLOBAL__N_135rocblas_gemm_batched_general_kernelIfLi16ELi16ELi32ELi32ELi8ELi32ELi8ELi8ELi32ELc78ELc67EKPKfS3_KPfEEvlllT_PT11_llS8_llS6_PT12_llPT13_lli
	.p2align	8
	.type	_ZN12_GLOBAL__N_135rocblas_gemm_batched_general_kernelIfLi16ELi16ELi32ELi32ELi8ELi32ELi8ELi8ELi32ELc78ELc67EKPKfS3_KPfEEvlllT_PT11_llS8_llS6_PT12_llPT13_lli,@function
_ZN12_GLOBAL__N_135rocblas_gemm_batched_general_kernelIfLi16ELi16ELi32ELi32ELi8ELi32ELi8ELi8ELi32ELc78ELc67EKPKfS3_KPfEEvlllT_PT11_llS8_llS6_PT12_llPT13_lli: ; @_ZN12_GLOBAL__N_135rocblas_gemm_batched_general_kernelIfLi16ELi16ELi32ELi32ELi8ELi32ELi8ELi8ELi32ELc78ELc67EKPKfS3_KPfEEvlllT_PT11_llS8_llS6_PT12_llPT13_lli
; %bb.0:
	s_load_b32 s33, s[0:1], 0x88
	s_bfe_u32 s2, ttmp6, 0x40014
	s_lshr_b32 s3, ttmp7, 16
	s_add_co_i32 s2, s2, 1
	s_bfe_u32 s5, ttmp6, 0x40008
	s_mul_i32 s4, s3, s2
	s_getreg_b32 s2, hwreg(HW_REG_IB_STS2, 6, 4)
	s_add_co_i32 s5, s5, s4
	s_cmp_eq_u32 s2, 0
	s_mov_b32 s35, 0
	s_cselect_b32 s34, s3, s5
	s_wait_kmcnt 0x0
	s_cmp_ge_i32 s34, s33
	s_cbranch_scc1 .LBB54_34
; %bb.1:
	s_clause 0x4
	s_load_b256 s[8:15], s[0:1], 0x20
	s_load_b128 s[4:7], s[0:1], 0x0
	s_load_b96 s[36:38], s[0:1], 0x10
	s_load_b128 s[28:31], s[0:1], 0x40
	s_load_b32 s41, s[0:1], 0x50
	v_bfe_u32 v10, v0, 10, 10
	v_and_b32_e32 v6, 0x3ff, v0
	s_clause 0x1
	s_load_b128 s[24:27], s[0:1], 0x78
	s_load_b256 s[16:23], s[0:1], 0x58
	s_wait_xcnt 0x0
	s_bfe_u32 s0, ttmp6, 0x4000c
	s_bfe_u32 s3, ttmp6, 0x40010
	s_add_co_i32 s0, s0, 1
	s_and_b32 s39, ttmp7, 0xffff
	s_add_co_i32 s3, s3, 1
	v_lshl_add_u32 v4, v10, 4, v6
	v_mov_b32_e32 v3, 0
	s_and_b32 s1, ttmp6, 15
	s_mul_i32 s0, ttmp9, s0
	s_mul_i32 s3, s39, s3
	s_bfe_u32 s40, ttmp6, 0x40004
	s_add_co_i32 s1, s1, s0
	s_add_co_i32 s40, s40, s3
	s_cmp_eq_u32 s2, 0
	v_dual_lshrrev_b32 v2, 5, v4 :: v_dual_bitop2_b32 v18, 31, v4 bitop3:0x40
	v_dual_mov_b32 v1, v3 :: v_dual_bitop2_b32 v0, 7, v0 bitop3:0x40
	v_mov_b32_e32 v13, v3
	s_cselect_b32 s42, ttmp9, s1
	s_cselect_b32 s40, s39, s40
	s_ashr_i32 s43, s42, 31
	v_dual_mov_b32 v11, v3 :: v_dual_mov_b32 v7, v3
	s_lshl_b64 s[2:3], s[42:43], 5
	s_delay_alu instid0(SALU_CYCLE_1)
	v_dual_lshrrev_b32 v12, 3, v4 :: v_dual_bitop2_b32 v4, s2, v18 bitop3:0x54
	s_wait_kmcnt 0x0
	v_mul_u64_e32 v[14:15], s[28:29], v[0:1]
	v_mul_u64_e32 v[16:17], s[10:11], v[2:3]
	s_lshl_b32 s44, s40, 5
	s_mov_b32 s45, s35
	v_dual_mov_b32 v5, s3 :: v_dual_lshlrev_b32 v19, 2, v0
	v_add_nc_u64_e32 v[8:9], s[44:45], v[12:13]
	v_add_nc_u64_e32 v[20:21], s[44:45], v[10:11]
	v_lshlrev_b32_e32 v30, 2, v6
	s_delay_alu instid0(VALU_DEP_4)
	v_cmp_gt_i64_e64 s0, s[4:5], v[4:5]
	v_add_nc_u64_e32 v[4:5], s[2:3], v[6:7]
	v_lshl_add_u32 v31, v10, 5, 0x400
	s_cmp_eq_f32 s41, 0
	v_cmp_gt_i64_e64 s1, s[6:7], v[8:9]
	v_mul_u64_e32 v[6:7], s[24:25], v[20:21]
	v_mul_u64_e32 v[8:9], s[18:19], v[20:21]
	v_add_nc_u64_e32 v[10:11], 16, v[20:21]
	v_add_nc_u64_e32 v[22:23], 16, v[4:5]
	v_lshl_or_b32 v13, v12, 5, v19
	s_cselect_b32 s39, -1, 0
	v_cmp_gt_i64_e64 s2, s[6:7], v[20:21]
	v_cmp_gt_i64_e64 s3, s[4:5], v[4:5]
	s_lshl_b32 s44, s40, 7
	s_lshl_b64 s[30:31], s[30:31], 2
	v_cmp_gt_i64_e64 s4, s[4:5], v[22:23]
	v_cmp_gt_i64_e64 s5, s[6:7], v[10:11]
	s_lshl_b64 s[6:7], s[24:25], 4
	s_lshl_b64 s[24:25], s[42:43], 7
	;; [unrolled: 1-line block ×3, first 2 shown]
	s_add_nc_u64 s[30:31], s[30:31], s[44:45]
	s_add_nc_u64 s[12:13], s[12:13], s[24:25]
	v_dual_lshlrev_b32 v18, 2, v18 :: v_dual_lshlrev_b32 v12, 2, v12
	v_add_nc_u32_e32 v29, 0x400, v13
	v_lshl_add_u64 v[10:11], v[14:15], 2, s[30:31]
	v_mov_b32_e32 v13, v3
	v_lshl_add_u64 v[14:15], v[16:17], 2, s[12:13]
	v_mov_b32_e32 v19, v3
	s_lshl_b64 s[12:13], s[18:19], 4
	s_lshl_b64 s[18:19], s[28:29], 5
	v_add_nc_u64_e32 v[10:11], v[10:11], v[12:13]
	v_cmp_gt_i64_e64 s28, s[36:37], 0
	v_add_nc_u64_e32 v[12:13], v[14:15], v[18:19]
	v_lshl_or_b32 v28, v2, 7, v18
	s_mov_b32 s40, s38
	s_lshl_b64 s[10:11], s[10:11], 5
	s_lshl_b64 s[24:25], s[26:27], 2
	;; [unrolled: 1-line block ×3, first 2 shown]
	s_branch .LBB54_4
.LBB54_2:                               ;   in Loop: Header=BB54_4 Depth=1
	s_wait_xcnt 0x0
	s_or_b32 exec_lo, exec_lo, s26
.LBB54_3:                               ;   in Loop: Header=BB54_4 Depth=1
	s_add_co_i32 s34, s34, 0x10000
	s_delay_alu instid0(SALU_CYCLE_1)
	s_cmp_lt_i32 s34, s33
	s_cbranch_scc0 .LBB54_34
.LBB54_4:                               ; =>This Loop Header: Depth=1
                                        ;     Child Loop BB54_7 Depth 2
	v_dual_mov_b32 v14, s34 :: v_dual_mov_b32 v19, 0
	v_dual_mov_b32 v18, 0 :: v_dual_mov_b32 v15, 0
	s_and_not1_b32 vcc_lo, exec_lo, s28
	s_clause 0x1
	global_load_b64 v[16:17], v14, s[16:17] scale_offset
	global_load_b64 v[20:21], v14, s[22:23] scale_offset
	s_wait_xcnt 0x0
	v_mov_b32_e32 v14, 0
	s_cbranch_vccnz .LBB54_11
; %bb.5:                                ;   in Loop: Header=BB54_4 Depth=1
	s_lshl_b64 s[26:27], s[34:35], 3
	v_mov_b32_e32 v18, 0
	s_add_nc_u64 s[30:31], s[14:15], s[26:27]
	s_add_nc_u64 s[26:27], s[8:9], s[26:27]
	s_clause 0x1
	global_load_b64 v[14:15], v3, s[30:31]
	global_load_b64 v[24:25], v3, s[26:27]
	s_wait_xcnt 0x0
	s_mov_b64 s[26:27], 0
	v_mov_b32_e32 v19, v18
	s_wait_loadcnt 0x1
	v_add_nc_u64_e32 v[22:23], v[14:15], v[10:11]
	s_wait_loadcnt 0x0
	v_add_nc_u64_e32 v[24:25], v[24:25], v[12:13]
	v_dual_mov_b32 v14, v18 :: v_dual_mov_b32 v15, v18
	s_branch .LBB54_7
.LBB54_6:                               ;   in Loop: Header=BB54_7 Depth=2
	s_wait_xcnt 0x0
	s_or_b32 exec_lo, exec_lo, s29
	s_wait_loadcnt_dscnt 0x0
	ds_store_b32 v29, v27
	s_wait_dscnt 0x0
	s_barrier_signal -1
	s_barrier_wait -1
	ds_load_b128 v[32:35], v31
	ds_load_2addr_b32 v[26:27], v30 offset1:16
	ds_load_b128 v[36:39], v31 offset:512
	ds_load_2addr_b32 v[48:49], v30 offset0:32 offset1:48
	ds_load_2addr_b32 v[50:51], v30 offset0:64 offset1:80
	;; [unrolled: 1-line block ×3, first 2 shown]
	ds_load_b128 v[40:43], v31 offset:16
	ds_load_2addr_b32 v[54:55], v30 offset0:128 offset1:144
	ds_load_b128 v[44:47], v31 offset:528
	s_add_nc_u64 s[26:27], s[26:27], 8
	v_add_nc_u64_e32 v[22:23], s[18:19], v[22:23]
	v_cmp_lt_i64_e64 s29, s[26:27], s[36:37]
	v_add_nc_u64_e32 v[24:25], s[10:11], v[24:25]
	s_and_b32 vcc_lo, exec_lo, s29
	s_wait_dscnt 0x7
	v_pk_fma_f32 v[18:19], v[26:27], v[32:33], v[18:19] op_sel_hi:[1,0,1]
	s_wait_dscnt 0x6
	v_pk_fma_f32 v[14:15], v[26:27], v[36:37], v[14:15] op_sel_hi:[1,0,1]
	ds_load_2addr_b32 v[26:27], v30 offset0:160 offset1:176
	s_wait_dscnt 0x6
	v_pk_fma_f32 v[18:19], v[48:49], v[32:33], v[18:19] op_sel:[0,1,0]
	v_pk_fma_f32 v[14:15], v[48:49], v[36:37], v[14:15] op_sel:[0,1,0]
	ds_load_2addr_b32 v[32:33], v30 offset0:192 offset1:208
	v_dual_mov_b32 v36, v35 :: v_dual_mov_b32 v48, v39
	s_wait_dscnt 0x6
	v_pk_fma_f32 v[18:19], v[50:51], v[34:35], v[18:19] op_sel_hi:[1,0,1]
	v_pk_fma_f32 v[14:15], v[50:51], v[38:39], v[14:15] op_sel_hi:[1,0,1]
	ds_load_2addr_b32 v[34:35], v30 offset0:224 offset1:240
	s_wait_dscnt 0x0
	s_barrier_signal -1
	v_pk_fma_f32 v[18:19], v[52:53], v[36:37], v[18:19] op_sel_hi:[1,0,1]
	v_pk_fma_f32 v[14:15], v[52:53], v[48:49], v[14:15] op_sel_hi:[1,0,1]
	s_barrier_wait -1
	v_mov_b32_e32 v36, v47
	s_delay_alu instid0(VALU_DEP_3) | instskip(NEXT) | instid1(VALU_DEP_3)
	v_pk_fma_f32 v[18:19], v[54:55], v[40:41], v[18:19] op_sel_hi:[1,0,1]
	v_pk_fma_f32 v[14:15], v[54:55], v[44:45], v[14:15] op_sel_hi:[1,0,1]
	s_delay_alu instid0(VALU_DEP_2) | instskip(NEXT) | instid1(VALU_DEP_2)
	v_pk_fma_f32 v[18:19], v[26:27], v[40:41], v[18:19] op_sel:[0,1,0]
	v_pk_fma_f32 v[14:15], v[26:27], v[44:45], v[14:15] op_sel:[0,1,0]
	v_mov_b32_e32 v26, v43
	s_delay_alu instid0(VALU_DEP_3) | instskip(NEXT) | instid1(VALU_DEP_3)
	v_pk_fma_f32 v[18:19], v[32:33], v[42:43], v[18:19] op_sel_hi:[1,0,1]
	v_pk_fma_f32 v[14:15], v[32:33], v[46:47], v[14:15] op_sel_hi:[1,0,1]
	s_delay_alu instid0(VALU_DEP_2) | instskip(NEXT) | instid1(VALU_DEP_2)
	v_pk_fma_f32 v[18:19], v[34:35], v[26:27], v[18:19] op_sel_hi:[1,0,1]
	v_pk_fma_f32 v[14:15], v[34:35], v[36:37], v[14:15] op_sel_hi:[1,0,1]
	s_cbranch_vccz .LBB54_11
.LBB54_7:                               ;   Parent Loop BB54_4 Depth=1
                                        ; =>  This Inner Loop Header: Depth=2
	v_add_nc_u64_e32 v[26:27], s[26:27], v[2:3]
	s_delay_alu instid0(VALU_DEP_1) | instskip(SKIP_2) | instid1(SALU_CYCLE_1)
	v_cmp_gt_i64_e32 vcc_lo, s[36:37], v[26:27]
	v_mov_b32_e32 v26, 0
	s_and_b32 s30, s0, vcc_lo
	s_and_saveexec_b32 s29, s30
	s_cbranch_execz .LBB54_9
; %bb.8:                                ;   in Loop: Header=BB54_7 Depth=2
	flat_load_b32 v26, v[24:25]
.LBB54_9:                               ;   in Loop: Header=BB54_7 Depth=2
	s_wait_xcnt 0x0
	s_or_b32 exec_lo, exec_lo, s29
	v_add_nc_u64_e32 v[32:33], s[26:27], v[0:1]
	v_mov_b32_e32 v27, 0
	s_wait_loadcnt_dscnt 0x0
	ds_store_b32 v28, v26
	v_cmp_gt_i64_e32 vcc_lo, s[36:37], v[32:33]
	s_and_b32 s30, vcc_lo, s1
	s_delay_alu instid0(SALU_CYCLE_1)
	s_and_saveexec_b32 s29, s30
	s_cbranch_execz .LBB54_6
; %bb.10:                               ;   in Loop: Header=BB54_7 Depth=2
	flat_load_b32 v27, v[22:23]
	s_branch .LBB54_6
.LBB54_11:                              ;   in Loop: Header=BB54_4 Depth=1
	s_wait_loadcnt 0x0
	v_add_nc_u64_e32 v[20:21], s[24:25], v[20:21]
	s_and_not1_b32 vcc_lo, exec_lo, s39
	s_cbranch_vccnz .LBB54_16
; %bb.12:                               ;   in Loop: Header=BB54_4 Depth=1
	s_and_saveexec_b32 s26, s2
	s_cbranch_execz .LBB54_23
; %bb.13:                               ;   in Loop: Header=BB54_4 Depth=1
	s_delay_alu instid0(VALU_DEP_1) | instskip(NEXT) | instid1(VALU_DEP_1)
	v_lshl_add_u64 v[22:23], v[6:7], 2, v[20:21]
	v_lshl_add_u64 v[24:25], v[4:5], 2, v[22:23]
	s_and_saveexec_b32 s27, s3
	s_cbranch_execnz .LBB54_17
; %bb.14:                               ;   in Loop: Header=BB54_4 Depth=1
	s_or_b32 exec_lo, exec_lo, s27
	s_and_saveexec_b32 s27, s4
	s_cbranch_execnz .LBB54_18
.LBB54_15:                              ;   in Loop: Header=BB54_4 Depth=1
	s_or_b32 exec_lo, exec_lo, s27
	s_delay_alu instid0(SALU_CYCLE_1)
	s_and_b32 exec_lo, exec_lo, s5
	s_cbranch_execnz .LBB54_19
	s_branch .LBB54_23
.LBB54_16:                              ;   in Loop: Header=BB54_4 Depth=1
	s_branch .LBB54_24
.LBB54_17:                              ;   in Loop: Header=BB54_4 Depth=1
	v_mul_f32_e32 v26, s38, v18
	flat_store_b32 v[24:25], v26
	s_wait_xcnt 0x0
	s_or_b32 exec_lo, exec_lo, s27
	s_and_saveexec_b32 s27, s4
	s_cbranch_execz .LBB54_15
.LBB54_18:                              ;   in Loop: Header=BB54_4 Depth=1
	v_mul_f32_e32 v26, s38, v19
	flat_store_b32 v[24:25], v26 offset:64
	s_wait_xcnt 0x0
	s_or_b32 exec_lo, exec_lo, s27
	s_delay_alu instid0(SALU_CYCLE_1)
	s_and_b32 exec_lo, exec_lo, s5
	s_cbranch_execz .LBB54_23
.LBB54_19:                              ;   in Loop: Header=BB54_4 Depth=1
	v_lshl_add_u64 v[22:23], s[6:7], 2, v[22:23]
	s_delay_alu instid0(VALU_DEP_1)
	v_lshl_add_u64 v[22:23], v[4:5], 2, v[22:23]
	s_and_saveexec_b32 s27, s3
	s_cbranch_execz .LBB54_21
; %bb.20:                               ;   in Loop: Header=BB54_4 Depth=1
	v_mul_f32_e32 v24, s38, v14
	flat_store_b32 v[22:23], v24
.LBB54_21:                              ;   in Loop: Header=BB54_4 Depth=1
	s_wait_xcnt 0x0
	s_or_b32 exec_lo, exec_lo, s27
	s_delay_alu instid0(SALU_CYCLE_1)
	s_and_b32 exec_lo, exec_lo, s4
	s_cbranch_execz .LBB54_23
; %bb.22:                               ;   in Loop: Header=BB54_4 Depth=1
	v_mul_f32_e32 v24, s38, v15
	flat_store_b32 v[22:23], v24 offset:64
.LBB54_23:                              ;   in Loop: Header=BB54_4 Depth=1
	s_wait_xcnt 0x0
	s_or_b32 exec_lo, exec_lo, s26
	s_cbranch_execnz .LBB54_3
.LBB54_24:                              ;   in Loop: Header=BB54_4 Depth=1
	s_and_saveexec_b32 s26, s2
	s_cbranch_execz .LBB54_2
; %bb.25:                               ;   in Loop: Header=BB54_4 Depth=1
	v_add_nc_u64_e32 v[22:23], s[20:21], v[16:17]
	v_lshlrev_b64_e32 v[16:17], 2, v[4:5]
	v_lshl_add_u64 v[20:21], v[6:7], 2, v[20:21]
	s_delay_alu instid0(VALU_DEP_3) | instskip(NEXT) | instid1(VALU_DEP_2)
	v_lshl_add_u64 v[22:23], v[8:9], 2, v[22:23]
	v_add_nc_u64_e32 v[24:25], v[20:21], v[16:17]
	s_delay_alu instid0(VALU_DEP_2)
	v_add_nc_u64_e32 v[26:27], v[22:23], v[16:17]
	s_and_saveexec_b32 s27, s3
	s_cbranch_execnz .LBB54_28
; %bb.26:                               ;   in Loop: Header=BB54_4 Depth=1
	s_or_b32 exec_lo, exec_lo, s27
	s_and_saveexec_b32 s27, s4
	s_cbranch_execnz .LBB54_29
.LBB54_27:                              ;   in Loop: Header=BB54_4 Depth=1
	s_or_b32 exec_lo, exec_lo, s27
	s_delay_alu instid0(SALU_CYCLE_1)
	s_and_b32 exec_lo, exec_lo, s5
	s_cbranch_execz .LBB54_2
	s_branch .LBB54_30
.LBB54_28:                              ;   in Loop: Header=BB54_4 Depth=1
	flat_load_b32 v33, v[26:27]
	v_mov_b64_e32 v[34:35], s[40:41]
	v_mov_b32_e32 v32, v18
	s_wait_loadcnt_dscnt 0x0
	s_delay_alu instid0(VALU_DEP_1) | instskip(NEXT) | instid1(VALU_DEP_1)
	v_pk_mul_f32 v[32:33], v[34:35], v[32:33]
	v_add_f32_e32 v18, v32, v33
	flat_store_b32 v[24:25], v18
	s_wait_xcnt 0x0
	s_or_b32 exec_lo, exec_lo, s27
	s_and_saveexec_b32 s27, s4
	s_cbranch_execz .LBB54_27
.LBB54_29:                              ;   in Loop: Header=BB54_4 Depth=1
	flat_load_b32 v27, v[26:27] offset:64
	s_wait_xcnt 0x0
	v_mov_b32_e32 v26, v19
	v_mov_b64_e32 v[18:19], s[40:41]
	s_wait_loadcnt_dscnt 0x0
	s_delay_alu instid0(VALU_DEP_1) | instskip(NEXT) | instid1(VALU_DEP_1)
	v_pk_mul_f32 v[18:19], v[18:19], v[26:27]
	v_add_f32_e32 v18, v18, v19
	flat_store_b32 v[24:25], v18 offset:64
	s_wait_xcnt 0x0
	s_or_b32 exec_lo, exec_lo, s27
	s_delay_alu instid0(SALU_CYCLE_1)
	s_and_b32 exec_lo, exec_lo, s5
	s_cbranch_execz .LBB54_2
.LBB54_30:                              ;   in Loop: Header=BB54_4 Depth=1
	v_lshl_add_u64 v[18:19], s[12:13], 2, v[22:23]
	v_lshl_add_u64 v[20:21], s[6:7], 2, v[20:21]
	s_delay_alu instid0(VALU_DEP_2) | instskip(NEXT) | instid1(VALU_DEP_2)
	v_add_nc_u64_e32 v[18:19], v[18:19], v[16:17]
	v_add_nc_u64_e32 v[16:17], v[20:21], v[16:17]
	s_and_saveexec_b32 s27, s3
	s_cbranch_execz .LBB54_32
; %bb.31:                               ;   in Loop: Header=BB54_4 Depth=1
	flat_load_b32 v21, v[18:19]
	v_mov_b64_e32 v[22:23], s[40:41]
	v_mov_b32_e32 v20, v14
	s_wait_loadcnt_dscnt 0x0
	s_delay_alu instid0(VALU_DEP_1) | instskip(NEXT) | instid1(VALU_DEP_1)
	v_pk_mul_f32 v[20:21], v[22:23], v[20:21]
	v_add_f32_e32 v14, v20, v21
	flat_store_b32 v[16:17], v14
.LBB54_32:                              ;   in Loop: Header=BB54_4 Depth=1
	s_wait_xcnt 0x0
	s_or_b32 exec_lo, exec_lo, s27
	s_delay_alu instid0(SALU_CYCLE_1)
	s_and_b32 exec_lo, exec_lo, s4
	s_cbranch_execz .LBB54_2
; %bb.33:                               ;   in Loop: Header=BB54_4 Depth=1
	flat_load_b32 v19, v[18:19] offset:64
	s_wait_xcnt 0x0
	v_mov_b32_e32 v18, v15
	v_mov_b64_e32 v[14:15], s[40:41]
	s_wait_loadcnt_dscnt 0x0
	s_delay_alu instid0(VALU_DEP_1) | instskip(NEXT) | instid1(VALU_DEP_1)
	v_pk_mul_f32 v[14:15], v[14:15], v[18:19]
	v_add_f32_e32 v14, v14, v15
	flat_store_b32 v[16:17], v14 offset:64
	s_branch .LBB54_2
.LBB54_34:
	s_endpgm
	.section	.rodata,"a",@progbits
	.p2align	6, 0x0
	.amdhsa_kernel _ZN12_GLOBAL__N_135rocblas_gemm_batched_general_kernelIfLi16ELi16ELi32ELi32ELi8ELi32ELi8ELi8ELi32ELc78ELc67EKPKfS3_KPfEEvlllT_PT11_llS8_llS6_PT12_llPT13_lli
		.amdhsa_group_segment_fixed_size 2048
		.amdhsa_private_segment_fixed_size 0
		.amdhsa_kernarg_size 140
		.amdhsa_user_sgpr_count 2
		.amdhsa_user_sgpr_dispatch_ptr 0
		.amdhsa_user_sgpr_queue_ptr 0
		.amdhsa_user_sgpr_kernarg_segment_ptr 1
		.amdhsa_user_sgpr_dispatch_id 0
		.amdhsa_user_sgpr_kernarg_preload_length 0
		.amdhsa_user_sgpr_kernarg_preload_offset 0
		.amdhsa_user_sgpr_private_segment_size 0
		.amdhsa_wavefront_size32 1
		.amdhsa_uses_dynamic_stack 0
		.amdhsa_enable_private_segment 0
		.amdhsa_system_sgpr_workgroup_id_x 1
		.amdhsa_system_sgpr_workgroup_id_y 1
		.amdhsa_system_sgpr_workgroup_id_z 1
		.amdhsa_system_sgpr_workgroup_info 0
		.amdhsa_system_vgpr_workitem_id 1
		.amdhsa_next_free_vgpr 56
		.amdhsa_next_free_sgpr 46
		.amdhsa_named_barrier_count 0
		.amdhsa_reserve_vcc 1
		.amdhsa_float_round_mode_32 0
		.amdhsa_float_round_mode_16_64 0
		.amdhsa_float_denorm_mode_32 3
		.amdhsa_float_denorm_mode_16_64 3
		.amdhsa_fp16_overflow 0
		.amdhsa_memory_ordered 1
		.amdhsa_forward_progress 1
		.amdhsa_inst_pref_size 15
		.amdhsa_round_robin_scheduling 0
		.amdhsa_exception_fp_ieee_invalid_op 0
		.amdhsa_exception_fp_denorm_src 0
		.amdhsa_exception_fp_ieee_div_zero 0
		.amdhsa_exception_fp_ieee_overflow 0
		.amdhsa_exception_fp_ieee_underflow 0
		.amdhsa_exception_fp_ieee_inexact 0
		.amdhsa_exception_int_div_zero 0
	.end_amdhsa_kernel
	.section	.text._ZN12_GLOBAL__N_135rocblas_gemm_batched_general_kernelIfLi16ELi16ELi32ELi32ELi8ELi32ELi8ELi8ELi32ELc78ELc67EKPKfS3_KPfEEvlllT_PT11_llS8_llS6_PT12_llPT13_lli,"axG",@progbits,_ZN12_GLOBAL__N_135rocblas_gemm_batched_general_kernelIfLi16ELi16ELi32ELi32ELi8ELi32ELi8ELi8ELi32ELc78ELc67EKPKfS3_KPfEEvlllT_PT11_llS8_llS6_PT12_llPT13_lli,comdat
.Lfunc_end54:
	.size	_ZN12_GLOBAL__N_135rocblas_gemm_batched_general_kernelIfLi16ELi16ELi32ELi32ELi8ELi32ELi8ELi8ELi32ELc78ELc67EKPKfS3_KPfEEvlllT_PT11_llS8_llS6_PT12_llPT13_lli, .Lfunc_end54-_ZN12_GLOBAL__N_135rocblas_gemm_batched_general_kernelIfLi16ELi16ELi32ELi32ELi8ELi32ELi8ELi8ELi32ELc78ELc67EKPKfS3_KPfEEvlllT_PT11_llS8_llS6_PT12_llPT13_lli
                                        ; -- End function
	.set _ZN12_GLOBAL__N_135rocblas_gemm_batched_general_kernelIfLi16ELi16ELi32ELi32ELi8ELi32ELi8ELi8ELi32ELc78ELc67EKPKfS3_KPfEEvlllT_PT11_llS8_llS6_PT12_llPT13_lli.num_vgpr, 56
	.set _ZN12_GLOBAL__N_135rocblas_gemm_batched_general_kernelIfLi16ELi16ELi32ELi32ELi8ELi32ELi8ELi8ELi32ELc78ELc67EKPKfS3_KPfEEvlllT_PT11_llS8_llS6_PT12_llPT13_lli.num_agpr, 0
	.set _ZN12_GLOBAL__N_135rocblas_gemm_batched_general_kernelIfLi16ELi16ELi32ELi32ELi8ELi32ELi8ELi8ELi32ELc78ELc67EKPKfS3_KPfEEvlllT_PT11_llS8_llS6_PT12_llPT13_lli.numbered_sgpr, 46
	.set _ZN12_GLOBAL__N_135rocblas_gemm_batched_general_kernelIfLi16ELi16ELi32ELi32ELi8ELi32ELi8ELi8ELi32ELc78ELc67EKPKfS3_KPfEEvlllT_PT11_llS8_llS6_PT12_llPT13_lli.num_named_barrier, 0
	.set _ZN12_GLOBAL__N_135rocblas_gemm_batched_general_kernelIfLi16ELi16ELi32ELi32ELi8ELi32ELi8ELi8ELi32ELc78ELc67EKPKfS3_KPfEEvlllT_PT11_llS8_llS6_PT12_llPT13_lli.private_seg_size, 0
	.set _ZN12_GLOBAL__N_135rocblas_gemm_batched_general_kernelIfLi16ELi16ELi32ELi32ELi8ELi32ELi8ELi8ELi32ELc78ELc67EKPKfS3_KPfEEvlllT_PT11_llS8_llS6_PT12_llPT13_lli.uses_vcc, 1
	.set _ZN12_GLOBAL__N_135rocblas_gemm_batched_general_kernelIfLi16ELi16ELi32ELi32ELi8ELi32ELi8ELi8ELi32ELc78ELc67EKPKfS3_KPfEEvlllT_PT11_llS8_llS6_PT12_llPT13_lli.uses_flat_scratch, 0
	.set _ZN12_GLOBAL__N_135rocblas_gemm_batched_general_kernelIfLi16ELi16ELi32ELi32ELi8ELi32ELi8ELi8ELi32ELc78ELc67EKPKfS3_KPfEEvlllT_PT11_llS8_llS6_PT12_llPT13_lli.has_dyn_sized_stack, 0
	.set _ZN12_GLOBAL__N_135rocblas_gemm_batched_general_kernelIfLi16ELi16ELi32ELi32ELi8ELi32ELi8ELi8ELi32ELc78ELc67EKPKfS3_KPfEEvlllT_PT11_llS8_llS6_PT12_llPT13_lli.has_recursion, 0
	.set _ZN12_GLOBAL__N_135rocblas_gemm_batched_general_kernelIfLi16ELi16ELi32ELi32ELi8ELi32ELi8ELi8ELi32ELc78ELc67EKPKfS3_KPfEEvlllT_PT11_llS8_llS6_PT12_llPT13_lli.has_indirect_call, 0
	.section	.AMDGPU.csdata,"",@progbits
; Kernel info:
; codeLenInByte = 1844
; TotalNumSgprs: 48
; NumVgprs: 56
; ScratchSize: 0
; MemoryBound: 0
; FloatMode: 240
; IeeeMode: 1
; LDSByteSize: 2048 bytes/workgroup (compile time only)
; SGPRBlocks: 0
; VGPRBlocks: 3
; NumSGPRsForWavesPerEU: 48
; NumVGPRsForWavesPerEU: 56
; NamedBarCnt: 0
; Occupancy: 16
; WaveLimiterHint : 1
; COMPUTE_PGM_RSRC2:SCRATCH_EN: 0
; COMPUTE_PGM_RSRC2:USER_SGPR: 2
; COMPUTE_PGM_RSRC2:TRAP_HANDLER: 0
; COMPUTE_PGM_RSRC2:TGID_X_EN: 1
; COMPUTE_PGM_RSRC2:TGID_Y_EN: 1
; COMPUTE_PGM_RSRC2:TGID_Z_EN: 1
; COMPUTE_PGM_RSRC2:TIDIG_COMP_CNT: 1
	.section	.text._ZN12_GLOBAL__N_135rocblas_gemm_batched_general_kernelIfLi16ELi16ELi32ELi32ELi8ELi32ELi8ELi8ELi32ELc84ELc67EKPKfS3_KPfEEvlllT_PT11_llS8_llS6_PT12_llPT13_lli,"axG",@progbits,_ZN12_GLOBAL__N_135rocblas_gemm_batched_general_kernelIfLi16ELi16ELi32ELi32ELi8ELi32ELi8ELi8ELi32ELc84ELc67EKPKfS3_KPfEEvlllT_PT11_llS8_llS6_PT12_llPT13_lli,comdat
	.globl	_ZN12_GLOBAL__N_135rocblas_gemm_batched_general_kernelIfLi16ELi16ELi32ELi32ELi8ELi32ELi8ELi8ELi32ELc84ELc67EKPKfS3_KPfEEvlllT_PT11_llS8_llS6_PT12_llPT13_lli ; -- Begin function _ZN12_GLOBAL__N_135rocblas_gemm_batched_general_kernelIfLi16ELi16ELi32ELi32ELi8ELi32ELi8ELi8ELi32ELc84ELc67EKPKfS3_KPfEEvlllT_PT11_llS8_llS6_PT12_llPT13_lli
	.p2align	8
	.type	_ZN12_GLOBAL__N_135rocblas_gemm_batched_general_kernelIfLi16ELi16ELi32ELi32ELi8ELi32ELi8ELi8ELi32ELc84ELc67EKPKfS3_KPfEEvlllT_PT11_llS8_llS6_PT12_llPT13_lli,@function
_ZN12_GLOBAL__N_135rocblas_gemm_batched_general_kernelIfLi16ELi16ELi32ELi32ELi8ELi32ELi8ELi8ELi32ELc84ELc67EKPKfS3_KPfEEvlllT_PT11_llS8_llS6_PT12_llPT13_lli: ; @_ZN12_GLOBAL__N_135rocblas_gemm_batched_general_kernelIfLi16ELi16ELi32ELi32ELi8ELi32ELi8ELi8ELi32ELc84ELc67EKPKfS3_KPfEEvlllT_PT11_llS8_llS6_PT12_llPT13_lli
; %bb.0:
	s_load_b32 s33, s[0:1], 0x88
	s_bfe_u32 s2, ttmp6, 0x40014
	s_lshr_b32 s3, ttmp7, 16
	s_add_co_i32 s2, s2, 1
	s_bfe_u32 s5, ttmp6, 0x40008
	s_mul_i32 s4, s3, s2
	s_getreg_b32 s2, hwreg(HW_REG_IB_STS2, 6, 4)
	s_add_co_i32 s5, s5, s4
	s_cmp_eq_u32 s2, 0
	s_mov_b32 s35, 0
	s_cselect_b32 s34, s3, s5
	s_wait_kmcnt 0x0
	s_cmp_ge_i32 s34, s33
	s_cbranch_scc1 .LBB55_34
; %bb.1:
	v_bfe_u32 v10, v0, 10, 10
	v_and_b32_e32 v12, 0x3ff, v0
	s_clause 0x6
	s_load_b128 s[4:7], s[0:1], 0x0
	s_load_b96 s[36:38], s[0:1], 0x10
	s_load_b256 s[8:15], s[0:1], 0x20
	s_load_b128 s[24:27], s[0:1], 0x40
	s_load_b32 s41, s[0:1], 0x50
	s_load_b128 s[28:31], s[0:1], 0x78
	s_load_b256 s[16:23], s[0:1], 0x58
	s_wait_xcnt 0x0
	s_bfe_u32 s0, ttmp6, 0x4000c
	s_bfe_u32 s3, ttmp6, 0x40010
	s_add_co_i32 s0, s0, 1
	s_and_b32 s39, ttmp7, 0xffff
	s_add_co_i32 s3, s3, 1
	s_and_b32 s1, ttmp6, 15
	s_mul_i32 s0, ttmp9, s0
	s_mul_i32 s3, s39, s3
	s_bfe_u32 s40, ttmp6, 0x40004
	v_lshl_add_u32 v6, v10, 4, v12
	s_add_co_i32 s1, s1, s0
	s_add_co_i32 s40, s40, s3
	s_cmp_eq_u32 s2, 0
	s_delay_alu instid0(VALU_DEP_1) | instskip(SKIP_3) | instid1(VALU_DEP_1)
	v_dual_mov_b32 v1, 0 :: v_dual_bitop2_b32 v8, 31, v6 bitop3:0x40
	s_cselect_b32 s0, ttmp9, s1
	s_cselect_b32 s40, s39, s40
	s_ashr_i32 s1, s0, 31
	v_dual_mov_b32 v11, v1 :: v_dual_bitop2_b32 v2, 7, v0 bitop3:0x40
	s_lshl_b64 s[2:3], s[0:1], 5
	v_dual_mov_b32 v3, v1 :: v_dual_lshrrev_b32 v14, 3, v6
	v_dual_mov_b32 v15, v1 :: v_dual_bitop2_b32 v4, s2, v8 bitop3:0x54
	s_delay_alu instid0(VALU_DEP_3) | instskip(SKIP_1) | instid1(VALU_DEP_3)
	v_dual_mov_b32 v5, s3 :: v_dual_lshlrev_b32 v9, 2, v2
	s_wait_kmcnt 0x0
	v_mul_u64_e32 v[16:17], s[24:25], v[2:3]
	s_lshl_b32 s0, s40, 5
	s_mov_b32 s1, s35
	v_mul_u64_e32 v[18:19], s[10:11], v[4:5]
	v_dual_lshrrev_b32 v0, 5, v6 :: v_dual_lshlrev_b32 v8, 2, v8
	v_add_nc_u64_e32 v[6:7], s[0:1], v[14:15]
	v_add_nc_u64_e32 v[20:21], s[0:1], v[10:11]
	v_lshl_or_b32 v9, v14, 5, v9
	v_dual_mov_b32 v13, v1 :: v_dual_lshlrev_b32 v30, 2, v12
	v_lshl_or_b32 v28, v0, 7, v8
	v_cmp_gt_i64_e64 s0, s[4:5], v[4:5]
	v_cmp_gt_i64_e64 s1, s[6:7], v[6:7]
	v_add_nc_u32_e32 v29, 0x400, v9
	v_mul_u64_e32 v[6:7], s[28:29], v[20:21]
	v_mul_u64_e32 v[8:9], s[18:19], v[20:21]
	v_add_nc_u64_e32 v[4:5], s[2:3], v[12:13]
	v_lshl_add_u32 v31, v10, 5, 0x400
	v_add_nc_u64_e32 v[12:13], 16, v[20:21]
	s_cmp_eq_f32 s41, 0
	s_mov_b32 s11, s35
	v_cmp_gt_i64_e64 s2, s[6:7], v[20:21]
	s_delay_alu instid0(VALU_DEP_4)
	v_add_nc_u64_e32 v[10:11], 16, v[4:5]
	s_cselect_b32 s39, -1, 0
	s_lshl_b32 s10, s40, 7
	s_lshl_b64 s[26:27], s[26:27], 2
	v_cmp_gt_i64_e64 s3, s[4:5], v[4:5]
	s_add_nc_u64 s[10:11], s[26:27], s[10:11]
	v_cmp_gt_i64_e64 s26, s[36:37], 0
	v_cmp_gt_i64_e64 s4, s[4:5], v[10:11]
	;; [unrolled: 1-line block ×3, first 2 shown]
	s_lshl_b64 s[6:7], s[12:13], 2
	v_lshl_add_u64 v[10:11], v[16:17], 2, s[10:11]
	v_dual_mov_b32 v13, v1 :: v_dual_lshlrev_b32 v12, 2, v14
	v_lshl_add_u64 v[14:15], v[18:19], 2, s[6:7]
	v_dual_mov_b32 v17, v1 :: v_dual_lshlrev_b32 v16, 2, v0
	s_lshl_b64 s[6:7], s[28:29], 4
	s_delay_alu instid0(VALU_DEP_3)
	v_add_nc_u64_e32 v[10:11], v[10:11], v[12:13]
	s_mov_b32 s40, s38
	s_lshl_b64 s[10:11], s[18:19], 4
	v_add_nc_u64_e32 v[12:13], v[14:15], v[16:17]
	s_lshl_b64 s[12:13], s[24:25], 5
	s_lshl_b64 s[18:19], s[30:31], 2
	;; [unrolled: 1-line block ×3, first 2 shown]
	s_branch .LBB55_4
.LBB55_2:                               ;   in Loop: Header=BB55_4 Depth=1
	s_wait_xcnt 0x0
	s_or_b32 exec_lo, exec_lo, s24
.LBB55_3:                               ;   in Loop: Header=BB55_4 Depth=1
	s_add_co_i32 s34, s34, 0x10000
	s_delay_alu instid0(SALU_CYCLE_1)
	s_cmp_lt_i32 s34, s33
	s_cbranch_scc0 .LBB55_34
.LBB55_4:                               ; =>This Loop Header: Depth=1
                                        ;     Child Loop BB55_7 Depth 2
	v_dual_mov_b32 v14, s34 :: v_dual_mov_b32 v19, 0
	v_dual_mov_b32 v18, 0 :: v_dual_mov_b32 v15, 0
	s_and_not1_b32 vcc_lo, exec_lo, s26
	s_clause 0x1
	global_load_b64 v[16:17], v14, s[16:17] scale_offset
	global_load_b64 v[20:21], v14, s[22:23] scale_offset
	s_wait_xcnt 0x0
	v_mov_b32_e32 v14, 0
	s_cbranch_vccnz .LBB55_11
; %bb.5:                                ;   in Loop: Header=BB55_4 Depth=1
	s_lshl_b64 s[24:25], s[34:35], 3
	v_mov_b32_e32 v18, 0
	s_add_nc_u64 s[28:29], s[14:15], s[24:25]
	s_add_nc_u64 s[24:25], s[8:9], s[24:25]
	s_clause 0x1
	global_load_b64 v[14:15], v1, s[28:29]
	global_load_b64 v[24:25], v1, s[24:25]
	s_wait_xcnt 0x0
	s_mov_b64 s[24:25], 0
	v_mov_b32_e32 v19, v18
	s_wait_loadcnt 0x1
	v_add_nc_u64_e32 v[22:23], v[14:15], v[10:11]
	s_wait_loadcnt 0x0
	v_add_nc_u64_e32 v[24:25], v[24:25], v[12:13]
	v_dual_mov_b32 v14, v18 :: v_dual_mov_b32 v15, v18
	s_branch .LBB55_7
.LBB55_6:                               ;   in Loop: Header=BB55_7 Depth=2
	s_wait_xcnt 0x0
	s_or_b32 exec_lo, exec_lo, s27
	s_wait_loadcnt_dscnt 0x0
	ds_store_b32 v29, v27
	s_wait_dscnt 0x0
	s_barrier_signal -1
	s_barrier_wait -1
	ds_load_b128 v[32:35], v31
	ds_load_2addr_b32 v[26:27], v30 offset1:16
	ds_load_b128 v[36:39], v31 offset:512
	ds_load_2addr_b32 v[48:49], v30 offset0:32 offset1:48
	ds_load_2addr_b32 v[50:51], v30 offset0:64 offset1:80
	;; [unrolled: 1-line block ×3, first 2 shown]
	ds_load_b128 v[40:43], v31 offset:16
	ds_load_2addr_b32 v[54:55], v30 offset0:128 offset1:144
	ds_load_b128 v[44:47], v31 offset:528
	s_add_nc_u64 s[24:25], s[24:25], 8
	v_add_nc_u64_e32 v[22:23], s[12:13], v[22:23]
	v_cmp_lt_i64_e64 s27, s[24:25], s[36:37]
	v_add_nc_u64_e32 v[24:25], 32, v[24:25]
	s_and_b32 vcc_lo, exec_lo, s27
	s_wait_dscnt 0x7
	v_pk_fma_f32 v[18:19], v[26:27], v[32:33], v[18:19] op_sel_hi:[1,0,1]
	s_wait_dscnt 0x6
	v_pk_fma_f32 v[14:15], v[26:27], v[36:37], v[14:15] op_sel_hi:[1,0,1]
	ds_load_2addr_b32 v[26:27], v30 offset0:160 offset1:176
	s_wait_dscnt 0x6
	v_pk_fma_f32 v[18:19], v[48:49], v[32:33], v[18:19] op_sel:[0,1,0]
	v_pk_fma_f32 v[14:15], v[48:49], v[36:37], v[14:15] op_sel:[0,1,0]
	ds_load_2addr_b32 v[32:33], v30 offset0:192 offset1:208
	v_dual_mov_b32 v36, v35 :: v_dual_mov_b32 v48, v39
	s_wait_dscnt 0x6
	v_pk_fma_f32 v[18:19], v[50:51], v[34:35], v[18:19] op_sel_hi:[1,0,1]
	v_pk_fma_f32 v[14:15], v[50:51], v[38:39], v[14:15] op_sel_hi:[1,0,1]
	ds_load_2addr_b32 v[34:35], v30 offset0:224 offset1:240
	s_wait_dscnt 0x0
	s_barrier_signal -1
	v_pk_fma_f32 v[18:19], v[52:53], v[36:37], v[18:19] op_sel_hi:[1,0,1]
	v_pk_fma_f32 v[14:15], v[52:53], v[48:49], v[14:15] op_sel_hi:[1,0,1]
	s_barrier_wait -1
	v_mov_b32_e32 v36, v47
	s_delay_alu instid0(VALU_DEP_3) | instskip(NEXT) | instid1(VALU_DEP_3)
	v_pk_fma_f32 v[18:19], v[54:55], v[40:41], v[18:19] op_sel_hi:[1,0,1]
	v_pk_fma_f32 v[14:15], v[54:55], v[44:45], v[14:15] op_sel_hi:[1,0,1]
	s_delay_alu instid0(VALU_DEP_2) | instskip(NEXT) | instid1(VALU_DEP_2)
	v_pk_fma_f32 v[18:19], v[26:27], v[40:41], v[18:19] op_sel:[0,1,0]
	v_pk_fma_f32 v[14:15], v[26:27], v[44:45], v[14:15] op_sel:[0,1,0]
	v_mov_b32_e32 v26, v43
	s_delay_alu instid0(VALU_DEP_3) | instskip(NEXT) | instid1(VALU_DEP_3)
	v_pk_fma_f32 v[18:19], v[32:33], v[42:43], v[18:19] op_sel_hi:[1,0,1]
	v_pk_fma_f32 v[14:15], v[32:33], v[46:47], v[14:15] op_sel_hi:[1,0,1]
	s_delay_alu instid0(VALU_DEP_2) | instskip(NEXT) | instid1(VALU_DEP_2)
	v_pk_fma_f32 v[18:19], v[34:35], v[26:27], v[18:19] op_sel_hi:[1,0,1]
	v_pk_fma_f32 v[14:15], v[34:35], v[36:37], v[14:15] op_sel_hi:[1,0,1]
	s_cbranch_vccz .LBB55_11
.LBB55_7:                               ;   Parent Loop BB55_4 Depth=1
                                        ; =>  This Inner Loop Header: Depth=2
	v_add_nc_u64_e32 v[26:27], s[24:25], v[0:1]
	s_delay_alu instid0(VALU_DEP_1) | instskip(SKIP_2) | instid1(SALU_CYCLE_1)
	v_cmp_gt_i64_e32 vcc_lo, s[36:37], v[26:27]
	v_mov_b32_e32 v26, 0
	s_and_b32 s28, s0, vcc_lo
	s_and_saveexec_b32 s27, s28
	s_cbranch_execz .LBB55_9
; %bb.8:                                ;   in Loop: Header=BB55_7 Depth=2
	flat_load_b32 v26, v[24:25]
.LBB55_9:                               ;   in Loop: Header=BB55_7 Depth=2
	s_wait_xcnt 0x0
	s_or_b32 exec_lo, exec_lo, s27
	v_add_nc_u64_e32 v[32:33], s[24:25], v[2:3]
	v_mov_b32_e32 v27, 0
	s_wait_loadcnt_dscnt 0x0
	ds_store_b32 v28, v26
	v_cmp_gt_i64_e32 vcc_lo, s[36:37], v[32:33]
	s_and_b32 s28, vcc_lo, s1
	s_delay_alu instid0(SALU_CYCLE_1)
	s_and_saveexec_b32 s27, s28
	s_cbranch_execz .LBB55_6
; %bb.10:                               ;   in Loop: Header=BB55_7 Depth=2
	flat_load_b32 v27, v[22:23]
	s_branch .LBB55_6
.LBB55_11:                              ;   in Loop: Header=BB55_4 Depth=1
	s_wait_loadcnt 0x0
	v_add_nc_u64_e32 v[20:21], s[18:19], v[20:21]
	s_and_not1_b32 vcc_lo, exec_lo, s39
	s_cbranch_vccnz .LBB55_16
; %bb.12:                               ;   in Loop: Header=BB55_4 Depth=1
	s_and_saveexec_b32 s24, s2
	s_cbranch_execz .LBB55_23
; %bb.13:                               ;   in Loop: Header=BB55_4 Depth=1
	s_delay_alu instid0(VALU_DEP_1) | instskip(NEXT) | instid1(VALU_DEP_1)
	v_lshl_add_u64 v[22:23], v[6:7], 2, v[20:21]
	v_lshl_add_u64 v[24:25], v[4:5], 2, v[22:23]
	s_and_saveexec_b32 s25, s3
	s_cbranch_execnz .LBB55_17
; %bb.14:                               ;   in Loop: Header=BB55_4 Depth=1
	s_or_b32 exec_lo, exec_lo, s25
	s_and_saveexec_b32 s25, s4
	s_cbranch_execnz .LBB55_18
.LBB55_15:                              ;   in Loop: Header=BB55_4 Depth=1
	s_or_b32 exec_lo, exec_lo, s25
	s_delay_alu instid0(SALU_CYCLE_1)
	s_and_b32 exec_lo, exec_lo, s5
	s_cbranch_execnz .LBB55_19
	s_branch .LBB55_23
.LBB55_16:                              ;   in Loop: Header=BB55_4 Depth=1
	s_branch .LBB55_24
.LBB55_17:                              ;   in Loop: Header=BB55_4 Depth=1
	v_mul_f32_e32 v26, s38, v18
	flat_store_b32 v[24:25], v26
	s_wait_xcnt 0x0
	s_or_b32 exec_lo, exec_lo, s25
	s_and_saveexec_b32 s25, s4
	s_cbranch_execz .LBB55_15
.LBB55_18:                              ;   in Loop: Header=BB55_4 Depth=1
	v_mul_f32_e32 v26, s38, v19
	flat_store_b32 v[24:25], v26 offset:64
	s_wait_xcnt 0x0
	s_or_b32 exec_lo, exec_lo, s25
	s_delay_alu instid0(SALU_CYCLE_1)
	s_and_b32 exec_lo, exec_lo, s5
	s_cbranch_execz .LBB55_23
.LBB55_19:                              ;   in Loop: Header=BB55_4 Depth=1
	v_lshl_add_u64 v[22:23], s[6:7], 2, v[22:23]
	s_delay_alu instid0(VALU_DEP_1)
	v_lshl_add_u64 v[22:23], v[4:5], 2, v[22:23]
	s_and_saveexec_b32 s25, s3
	s_cbranch_execz .LBB55_21
; %bb.20:                               ;   in Loop: Header=BB55_4 Depth=1
	v_mul_f32_e32 v24, s38, v14
	flat_store_b32 v[22:23], v24
.LBB55_21:                              ;   in Loop: Header=BB55_4 Depth=1
	s_wait_xcnt 0x0
	s_or_b32 exec_lo, exec_lo, s25
	s_delay_alu instid0(SALU_CYCLE_1)
	s_and_b32 exec_lo, exec_lo, s4
	s_cbranch_execz .LBB55_23
; %bb.22:                               ;   in Loop: Header=BB55_4 Depth=1
	v_mul_f32_e32 v24, s38, v15
	flat_store_b32 v[22:23], v24 offset:64
.LBB55_23:                              ;   in Loop: Header=BB55_4 Depth=1
	s_wait_xcnt 0x0
	s_or_b32 exec_lo, exec_lo, s24
	s_cbranch_execnz .LBB55_3
.LBB55_24:                              ;   in Loop: Header=BB55_4 Depth=1
	s_and_saveexec_b32 s24, s2
	s_cbranch_execz .LBB55_2
; %bb.25:                               ;   in Loop: Header=BB55_4 Depth=1
	v_add_nc_u64_e32 v[22:23], s[20:21], v[16:17]
	v_lshlrev_b64_e32 v[16:17], 2, v[4:5]
	v_lshl_add_u64 v[20:21], v[6:7], 2, v[20:21]
	s_delay_alu instid0(VALU_DEP_3) | instskip(NEXT) | instid1(VALU_DEP_2)
	v_lshl_add_u64 v[22:23], v[8:9], 2, v[22:23]
	v_add_nc_u64_e32 v[24:25], v[20:21], v[16:17]
	s_delay_alu instid0(VALU_DEP_2)
	v_add_nc_u64_e32 v[26:27], v[22:23], v[16:17]
	s_and_saveexec_b32 s25, s3
	s_cbranch_execnz .LBB55_28
; %bb.26:                               ;   in Loop: Header=BB55_4 Depth=1
	s_or_b32 exec_lo, exec_lo, s25
	s_and_saveexec_b32 s25, s4
	s_cbranch_execnz .LBB55_29
.LBB55_27:                              ;   in Loop: Header=BB55_4 Depth=1
	s_or_b32 exec_lo, exec_lo, s25
	s_delay_alu instid0(SALU_CYCLE_1)
	s_and_b32 exec_lo, exec_lo, s5
	s_cbranch_execz .LBB55_2
	s_branch .LBB55_30
.LBB55_28:                              ;   in Loop: Header=BB55_4 Depth=1
	flat_load_b32 v33, v[26:27]
	v_mov_b64_e32 v[34:35], s[40:41]
	v_mov_b32_e32 v32, v18
	s_wait_loadcnt_dscnt 0x0
	s_delay_alu instid0(VALU_DEP_1) | instskip(NEXT) | instid1(VALU_DEP_1)
	v_pk_mul_f32 v[32:33], v[34:35], v[32:33]
	v_add_f32_e32 v18, v32, v33
	flat_store_b32 v[24:25], v18
	s_wait_xcnt 0x0
	s_or_b32 exec_lo, exec_lo, s25
	s_and_saveexec_b32 s25, s4
	s_cbranch_execz .LBB55_27
.LBB55_29:                              ;   in Loop: Header=BB55_4 Depth=1
	flat_load_b32 v27, v[26:27] offset:64
	s_wait_xcnt 0x0
	v_mov_b32_e32 v26, v19
	v_mov_b64_e32 v[18:19], s[40:41]
	s_wait_loadcnt_dscnt 0x0
	s_delay_alu instid0(VALU_DEP_1) | instskip(NEXT) | instid1(VALU_DEP_1)
	v_pk_mul_f32 v[18:19], v[18:19], v[26:27]
	v_add_f32_e32 v18, v18, v19
	flat_store_b32 v[24:25], v18 offset:64
	s_wait_xcnt 0x0
	s_or_b32 exec_lo, exec_lo, s25
	s_delay_alu instid0(SALU_CYCLE_1)
	s_and_b32 exec_lo, exec_lo, s5
	s_cbranch_execz .LBB55_2
.LBB55_30:                              ;   in Loop: Header=BB55_4 Depth=1
	v_lshl_add_u64 v[18:19], s[10:11], 2, v[22:23]
	v_lshl_add_u64 v[20:21], s[6:7], 2, v[20:21]
	s_delay_alu instid0(VALU_DEP_2) | instskip(NEXT) | instid1(VALU_DEP_2)
	v_add_nc_u64_e32 v[18:19], v[18:19], v[16:17]
	v_add_nc_u64_e32 v[16:17], v[20:21], v[16:17]
	s_and_saveexec_b32 s25, s3
	s_cbranch_execz .LBB55_32
; %bb.31:                               ;   in Loop: Header=BB55_4 Depth=1
	flat_load_b32 v21, v[18:19]
	v_mov_b64_e32 v[22:23], s[40:41]
	v_mov_b32_e32 v20, v14
	s_wait_loadcnt_dscnt 0x0
	s_delay_alu instid0(VALU_DEP_1) | instskip(NEXT) | instid1(VALU_DEP_1)
	v_pk_mul_f32 v[20:21], v[22:23], v[20:21]
	v_add_f32_e32 v14, v20, v21
	flat_store_b32 v[16:17], v14
.LBB55_32:                              ;   in Loop: Header=BB55_4 Depth=1
	s_wait_xcnt 0x0
	s_or_b32 exec_lo, exec_lo, s25
	s_delay_alu instid0(SALU_CYCLE_1)
	s_and_b32 exec_lo, exec_lo, s4
	s_cbranch_execz .LBB55_2
; %bb.33:                               ;   in Loop: Header=BB55_4 Depth=1
	flat_load_b32 v19, v[18:19] offset:64
	s_wait_xcnt 0x0
	v_mov_b32_e32 v18, v15
	v_mov_b64_e32 v[14:15], s[40:41]
	s_wait_loadcnt_dscnt 0x0
	s_delay_alu instid0(VALU_DEP_1) | instskip(NEXT) | instid1(VALU_DEP_1)
	v_pk_mul_f32 v[14:15], v[14:15], v[18:19]
	v_add_f32_e32 v14, v14, v15
	flat_store_b32 v[16:17], v14 offset:64
	s_branch .LBB55_2
.LBB55_34:
	s_endpgm
	.section	.rodata,"a",@progbits
	.p2align	6, 0x0
	.amdhsa_kernel _ZN12_GLOBAL__N_135rocblas_gemm_batched_general_kernelIfLi16ELi16ELi32ELi32ELi8ELi32ELi8ELi8ELi32ELc84ELc67EKPKfS3_KPfEEvlllT_PT11_llS8_llS6_PT12_llPT13_lli
		.amdhsa_group_segment_fixed_size 2048
		.amdhsa_private_segment_fixed_size 0
		.amdhsa_kernarg_size 140
		.amdhsa_user_sgpr_count 2
		.amdhsa_user_sgpr_dispatch_ptr 0
		.amdhsa_user_sgpr_queue_ptr 0
		.amdhsa_user_sgpr_kernarg_segment_ptr 1
		.amdhsa_user_sgpr_dispatch_id 0
		.amdhsa_user_sgpr_kernarg_preload_length 0
		.amdhsa_user_sgpr_kernarg_preload_offset 0
		.amdhsa_user_sgpr_private_segment_size 0
		.amdhsa_wavefront_size32 1
		.amdhsa_uses_dynamic_stack 0
		.amdhsa_enable_private_segment 0
		.amdhsa_system_sgpr_workgroup_id_x 1
		.amdhsa_system_sgpr_workgroup_id_y 1
		.amdhsa_system_sgpr_workgroup_id_z 1
		.amdhsa_system_sgpr_workgroup_info 0
		.amdhsa_system_vgpr_workitem_id 1
		.amdhsa_next_free_vgpr 56
		.amdhsa_next_free_sgpr 42
		.amdhsa_named_barrier_count 0
		.amdhsa_reserve_vcc 1
		.amdhsa_float_round_mode_32 0
		.amdhsa_float_round_mode_16_64 0
		.amdhsa_float_denorm_mode_32 3
		.amdhsa_float_denorm_mode_16_64 3
		.amdhsa_fp16_overflow 0
		.amdhsa_memory_ordered 1
		.amdhsa_forward_progress 1
		.amdhsa_inst_pref_size 15
		.amdhsa_round_robin_scheduling 0
		.amdhsa_exception_fp_ieee_invalid_op 0
		.amdhsa_exception_fp_denorm_src 0
		.amdhsa_exception_fp_ieee_div_zero 0
		.amdhsa_exception_fp_ieee_overflow 0
		.amdhsa_exception_fp_ieee_underflow 0
		.amdhsa_exception_fp_ieee_inexact 0
		.amdhsa_exception_int_div_zero 0
	.end_amdhsa_kernel
	.section	.text._ZN12_GLOBAL__N_135rocblas_gemm_batched_general_kernelIfLi16ELi16ELi32ELi32ELi8ELi32ELi8ELi8ELi32ELc84ELc67EKPKfS3_KPfEEvlllT_PT11_llS8_llS6_PT12_llPT13_lli,"axG",@progbits,_ZN12_GLOBAL__N_135rocblas_gemm_batched_general_kernelIfLi16ELi16ELi32ELi32ELi8ELi32ELi8ELi8ELi32ELc84ELc67EKPKfS3_KPfEEvlllT_PT11_llS8_llS6_PT12_llPT13_lli,comdat
.Lfunc_end55:
	.size	_ZN12_GLOBAL__N_135rocblas_gemm_batched_general_kernelIfLi16ELi16ELi32ELi32ELi8ELi32ELi8ELi8ELi32ELc84ELc67EKPKfS3_KPfEEvlllT_PT11_llS8_llS6_PT12_llPT13_lli, .Lfunc_end55-_ZN12_GLOBAL__N_135rocblas_gemm_batched_general_kernelIfLi16ELi16ELi32ELi32ELi8ELi32ELi8ELi8ELi32ELc84ELc67EKPKfS3_KPfEEvlllT_PT11_llS8_llS6_PT12_llPT13_lli
                                        ; -- End function
	.set _ZN12_GLOBAL__N_135rocblas_gemm_batched_general_kernelIfLi16ELi16ELi32ELi32ELi8ELi32ELi8ELi8ELi32ELc84ELc67EKPKfS3_KPfEEvlllT_PT11_llS8_llS6_PT12_llPT13_lli.num_vgpr, 56
	.set _ZN12_GLOBAL__N_135rocblas_gemm_batched_general_kernelIfLi16ELi16ELi32ELi32ELi8ELi32ELi8ELi8ELi32ELc84ELc67EKPKfS3_KPfEEvlllT_PT11_llS8_llS6_PT12_llPT13_lli.num_agpr, 0
	.set _ZN12_GLOBAL__N_135rocblas_gemm_batched_general_kernelIfLi16ELi16ELi32ELi32ELi8ELi32ELi8ELi8ELi32ELc84ELc67EKPKfS3_KPfEEvlllT_PT11_llS8_llS6_PT12_llPT13_lli.numbered_sgpr, 42
	.set _ZN12_GLOBAL__N_135rocblas_gemm_batched_general_kernelIfLi16ELi16ELi32ELi32ELi8ELi32ELi8ELi8ELi32ELc84ELc67EKPKfS3_KPfEEvlllT_PT11_llS8_llS6_PT12_llPT13_lli.num_named_barrier, 0
	.set _ZN12_GLOBAL__N_135rocblas_gemm_batched_general_kernelIfLi16ELi16ELi32ELi32ELi8ELi32ELi8ELi8ELi32ELc84ELc67EKPKfS3_KPfEEvlllT_PT11_llS8_llS6_PT12_llPT13_lli.private_seg_size, 0
	.set _ZN12_GLOBAL__N_135rocblas_gemm_batched_general_kernelIfLi16ELi16ELi32ELi32ELi8ELi32ELi8ELi8ELi32ELc84ELc67EKPKfS3_KPfEEvlllT_PT11_llS8_llS6_PT12_llPT13_lli.uses_vcc, 1
	.set _ZN12_GLOBAL__N_135rocblas_gemm_batched_general_kernelIfLi16ELi16ELi32ELi32ELi8ELi32ELi8ELi8ELi32ELc84ELc67EKPKfS3_KPfEEvlllT_PT11_llS8_llS6_PT12_llPT13_lli.uses_flat_scratch, 0
	.set _ZN12_GLOBAL__N_135rocblas_gemm_batched_general_kernelIfLi16ELi16ELi32ELi32ELi8ELi32ELi8ELi8ELi32ELc84ELc67EKPKfS3_KPfEEvlllT_PT11_llS8_llS6_PT12_llPT13_lli.has_dyn_sized_stack, 0
	.set _ZN12_GLOBAL__N_135rocblas_gemm_batched_general_kernelIfLi16ELi16ELi32ELi32ELi8ELi32ELi8ELi8ELi32ELc84ELc67EKPKfS3_KPfEEvlllT_PT11_llS8_llS6_PT12_llPT13_lli.has_recursion, 0
	.set _ZN12_GLOBAL__N_135rocblas_gemm_batched_general_kernelIfLi16ELi16ELi32ELi32ELi8ELi32ELi8ELi8ELi32ELc84ELc67EKPKfS3_KPfEEvlllT_PT11_llS8_llS6_PT12_llPT13_lli.has_indirect_call, 0
	.section	.AMDGPU.csdata,"",@progbits
; Kernel info:
; codeLenInByte = 1840
; TotalNumSgprs: 44
; NumVgprs: 56
; ScratchSize: 0
; MemoryBound: 0
; FloatMode: 240
; IeeeMode: 1
; LDSByteSize: 2048 bytes/workgroup (compile time only)
; SGPRBlocks: 0
; VGPRBlocks: 3
; NumSGPRsForWavesPerEU: 44
; NumVGPRsForWavesPerEU: 56
; NamedBarCnt: 0
; Occupancy: 16
; WaveLimiterHint : 1
; COMPUTE_PGM_RSRC2:SCRATCH_EN: 0
; COMPUTE_PGM_RSRC2:USER_SGPR: 2
; COMPUTE_PGM_RSRC2:TRAP_HANDLER: 0
; COMPUTE_PGM_RSRC2:TGID_X_EN: 1
; COMPUTE_PGM_RSRC2:TGID_Y_EN: 1
; COMPUTE_PGM_RSRC2:TGID_Z_EN: 1
; COMPUTE_PGM_RSRC2:TIDIG_COMP_CNT: 1
	.section	.text._ZN12_GLOBAL__N_120gemm_ex_scale_kernelILi32ELi32EDF16_PKPKDF16_PKPDF16_EEviiT1_T2_lllT3_llli,"axG",@progbits,_ZN12_GLOBAL__N_120gemm_ex_scale_kernelILi32ELi32EDF16_PKPKDF16_PKPDF16_EEviiT1_T2_lllT3_llli,comdat
	.globl	_ZN12_GLOBAL__N_120gemm_ex_scale_kernelILi32ELi32EDF16_PKPKDF16_PKPDF16_EEviiT1_T2_lllT3_llli ; -- Begin function _ZN12_GLOBAL__N_120gemm_ex_scale_kernelILi32ELi32EDF16_PKPKDF16_PKPDF16_EEviiT1_T2_lllT3_llli
	.p2align	8
	.type	_ZN12_GLOBAL__N_120gemm_ex_scale_kernelILi32ELi32EDF16_PKPKDF16_PKPDF16_EEviiT1_T2_lllT3_llli,@function
_ZN12_GLOBAL__N_120gemm_ex_scale_kernelILi32ELi32EDF16_PKPKDF16_PKPDF16_EEviiT1_T2_lllT3_llli: ; @_ZN12_GLOBAL__N_120gemm_ex_scale_kernelILi32ELi32EDF16_PKPKDF16_PKPDF16_EEviiT1_T2_lllT3_llli
; %bb.0:
	s_load_b32 s15, s[0:1], 0x50
	s_bfe_u32 s2, ttmp6, 0x40014
	s_lshr_b32 s3, ttmp7, 16
	s_add_co_i32 s2, s2, 1
	s_bfe_u32 s4, ttmp6, 0x40008
	s_mul_i32 s2, s3, s2
	s_getreg_b32 s8, hwreg(HW_REG_IB_STS2, 6, 4)
	s_add_co_i32 s4, s4, s2
	s_cmp_eq_u32 s8, 0
	s_cselect_b32 s2, s3, s4
	s_mov_b32 s3, 0
	s_wait_kmcnt 0x0
	s_cmp_ge_u32 s2, s15
	s_cbranch_scc1 .LBB56_10
; %bb.1:
	s_clause 0x3
	s_load_b96 s[12:14], s[0:1], 0x0
	s_load_b128 s[4:7], s[0:1], 0x10
	s_load_b64 s[18:19], s[0:1], 0x20
	s_load_b64 s[20:21], s[0:1], 0x40
	v_bfe_u32 v1, v0, 10, 10
	v_mov_b32_e32 v7, 0
	v_and_b32_e32 v0, 0x3ff, v0
	s_wait_kmcnt 0x0
	s_cmp_neq_f16 s14, 0
	s_cselect_b32 s16, -1, 0
	s_bfe_u32 s10, ttmp6, 0x40010
	s_bfe_u32 s22, ttmp6, 0x4000c
	s_and_b32 s9, ttmp7, 0xffff
	s_add_co_i32 s10, s10, 1
	s_add_co_i32 s22, s22, 1
	s_bfe_u32 s11, ttmp6, 0x40004
	s_and_b32 s17, ttmp6, 15
	s_mul_i32 s10, s9, s10
	s_mul_i32 s22, ttmp9, s22
	s_add_co_i32 s11, s11, s10
	s_add_co_i32 s17, s17, s22
	s_cmp_eq_u32 s8, 0
	s_cselect_b32 s8, s9, s11
	s_delay_alu instid0(SALU_CYCLE_1)
	v_lshl_add_u32 v6, s8, 5, v1
	s_load_b128 s[8:11], s[0:1], 0x30
	s_wait_xcnt 0x0
	s_cselect_b32 s0, ttmp9, s17
	v_mov_b32_e32 v1, v7
	v_lshl_add_u32 v0, s0, 5, v0
	v_mul_u64_e32 v[2:3], s[18:19], v[6:7]
	v_mul_u64_e32 v[4:5], s[20:21], v[6:7]
	v_cmp_gt_u32_e64 s0, s13, v6
	s_delay_alu instid0(VALU_DEP_4)
	v_cmp_gt_u32_e32 vcc_lo, s12, v0
	s_and_b32 s12, vcc_lo, s0
	s_lshl_b64 s[0:1], s[6:7], 1
	s_wait_kmcnt 0x0
	s_lshl_b64 s[6:7], s[10:11], 1
	s_branch .LBB56_5
.LBB56_2:                               ;   in Loop: Header=BB56_5 Depth=1
	v_lshl_add_u64 v[6:7], v[2:3], 1, s[10:11]
	s_delay_alu instid0(VALU_DEP_1)
	v_lshl_add_u64 v[6:7], v[0:1], 1, v[6:7]
	flat_load_u16 v6, v[6:7]
	s_wait_loadcnt_dscnt 0x0
	s_wait_xcnt 0x0
	v_mul_f16_e32 v6, s14, v6
.LBB56_3:                               ;   in Loop: Header=BB56_5 Depth=1
	s_lshl_b64 s[10:11], s[2:3], 3
	s_delay_alu instid0(SALU_CYCLE_1) | instskip(SKIP_4) | instid1(SALU_CYCLE_1)
	s_add_nc_u64 s[10:11], s[8:9], s[10:11]
	s_load_b64 s[10:11], s[10:11], 0x0
	s_wait_kmcnt 0x0
	s_wait_xcnt 0x0
	s_add_nc_u64 s[10:11], s[10:11], s[6:7]
	v_lshl_add_u64 v[8:9], v[4:5], 1, s[10:11]
	s_delay_alu instid0(VALU_DEP_1)
	v_lshl_add_u64 v[8:9], v[0:1], 1, v[8:9]
	flat_store_b16 v[8:9], v6
.LBB56_4:                               ;   in Loop: Header=BB56_5 Depth=1
	s_wait_xcnt 0x0
	s_or_b32 exec_lo, exec_lo, s13
	s_add_co_i32 s2, s2, 0x10000
	s_delay_alu instid0(SALU_CYCLE_1)
	s_cmp_lt_u32 s2, s15
	s_cbranch_scc0 .LBB56_10
.LBB56_5:                               ; =>This Inner Loop Header: Depth=1
	s_and_not1_b32 vcc_lo, exec_lo, s16
	s_cbranch_vccnz .LBB56_7
; %bb.6:                                ;   in Loop: Header=BB56_5 Depth=1
	s_lshl_b64 s[10:11], s[2:3], 3
	s_delay_alu instid0(SALU_CYCLE_1)
	s_add_nc_u64 s[10:11], s[4:5], s[10:11]
	s_load_b64 s[10:11], s[10:11], 0x0
	s_wait_kmcnt 0x0
	s_wait_xcnt 0x0
	s_add_nc_u64 s[10:11], s[10:11], s[0:1]
	s_and_saveexec_b32 s13, s12
	s_cbranch_execz .LBB56_4
	s_branch .LBB56_8
.LBB56_7:                               ;   in Loop: Header=BB56_5 Depth=1
	s_mov_b64 s[10:11], 0
	s_and_saveexec_b32 s13, s12
	s_cbranch_execz .LBB56_4
.LBB56_8:                               ;   in Loop: Header=BB56_5 Depth=1
	s_and_not1_b32 vcc_lo, exec_lo, s16
	s_cbranch_vccz .LBB56_2
; %bb.9:                                ;   in Loop: Header=BB56_5 Depth=1
	v_mov_b32_e32 v6, 0
	s_branch .LBB56_3
.LBB56_10:
	s_endpgm
	.section	.rodata,"a",@progbits
	.p2align	6, 0x0
	.amdhsa_kernel _ZN12_GLOBAL__N_120gemm_ex_scale_kernelILi32ELi32EDF16_PKPKDF16_PKPDF16_EEviiT1_T2_lllT3_llli
		.amdhsa_group_segment_fixed_size 0
		.amdhsa_private_segment_fixed_size 0
		.amdhsa_kernarg_size 84
		.amdhsa_user_sgpr_count 2
		.amdhsa_user_sgpr_dispatch_ptr 0
		.amdhsa_user_sgpr_queue_ptr 0
		.amdhsa_user_sgpr_kernarg_segment_ptr 1
		.amdhsa_user_sgpr_dispatch_id 0
		.amdhsa_user_sgpr_kernarg_preload_length 0
		.amdhsa_user_sgpr_kernarg_preload_offset 0
		.amdhsa_user_sgpr_private_segment_size 0
		.amdhsa_wavefront_size32 1
		.amdhsa_uses_dynamic_stack 0
		.amdhsa_enable_private_segment 0
		.amdhsa_system_sgpr_workgroup_id_x 1
		.amdhsa_system_sgpr_workgroup_id_y 1
		.amdhsa_system_sgpr_workgroup_id_z 1
		.amdhsa_system_sgpr_workgroup_info 0
		.amdhsa_system_vgpr_workitem_id 1
		.amdhsa_next_free_vgpr 10
		.amdhsa_next_free_sgpr 23
		.amdhsa_named_barrier_count 0
		.amdhsa_reserve_vcc 1
		.amdhsa_float_round_mode_32 0
		.amdhsa_float_round_mode_16_64 0
		.amdhsa_float_denorm_mode_32 3
		.amdhsa_float_denorm_mode_16_64 3
		.amdhsa_fp16_overflow 0
		.amdhsa_memory_ordered 1
		.amdhsa_forward_progress 1
		.amdhsa_inst_pref_size 4
		.amdhsa_round_robin_scheduling 0
		.amdhsa_exception_fp_ieee_invalid_op 0
		.amdhsa_exception_fp_denorm_src 0
		.amdhsa_exception_fp_ieee_div_zero 0
		.amdhsa_exception_fp_ieee_overflow 0
		.amdhsa_exception_fp_ieee_underflow 0
		.amdhsa_exception_fp_ieee_inexact 0
		.amdhsa_exception_int_div_zero 0
	.end_amdhsa_kernel
	.section	.text._ZN12_GLOBAL__N_120gemm_ex_scale_kernelILi32ELi32EDF16_PKPKDF16_PKPDF16_EEviiT1_T2_lllT3_llli,"axG",@progbits,_ZN12_GLOBAL__N_120gemm_ex_scale_kernelILi32ELi32EDF16_PKPKDF16_PKPDF16_EEviiT1_T2_lllT3_llli,comdat
.Lfunc_end56:
	.size	_ZN12_GLOBAL__N_120gemm_ex_scale_kernelILi32ELi32EDF16_PKPKDF16_PKPDF16_EEviiT1_T2_lllT3_llli, .Lfunc_end56-_ZN12_GLOBAL__N_120gemm_ex_scale_kernelILi32ELi32EDF16_PKPKDF16_PKPDF16_EEviiT1_T2_lllT3_llli
                                        ; -- End function
	.set _ZN12_GLOBAL__N_120gemm_ex_scale_kernelILi32ELi32EDF16_PKPKDF16_PKPDF16_EEviiT1_T2_lllT3_llli.num_vgpr, 10
	.set _ZN12_GLOBAL__N_120gemm_ex_scale_kernelILi32ELi32EDF16_PKPKDF16_PKPDF16_EEviiT1_T2_lllT3_llli.num_agpr, 0
	.set _ZN12_GLOBAL__N_120gemm_ex_scale_kernelILi32ELi32EDF16_PKPKDF16_PKPDF16_EEviiT1_T2_lllT3_llli.numbered_sgpr, 23
	.set _ZN12_GLOBAL__N_120gemm_ex_scale_kernelILi32ELi32EDF16_PKPKDF16_PKPDF16_EEviiT1_T2_lllT3_llli.num_named_barrier, 0
	.set _ZN12_GLOBAL__N_120gemm_ex_scale_kernelILi32ELi32EDF16_PKPKDF16_PKPDF16_EEviiT1_T2_lllT3_llli.private_seg_size, 0
	.set _ZN12_GLOBAL__N_120gemm_ex_scale_kernelILi32ELi32EDF16_PKPKDF16_PKPDF16_EEviiT1_T2_lllT3_llli.uses_vcc, 1
	.set _ZN12_GLOBAL__N_120gemm_ex_scale_kernelILi32ELi32EDF16_PKPKDF16_PKPDF16_EEviiT1_T2_lllT3_llli.uses_flat_scratch, 0
	.set _ZN12_GLOBAL__N_120gemm_ex_scale_kernelILi32ELi32EDF16_PKPKDF16_PKPDF16_EEviiT1_T2_lllT3_llli.has_dyn_sized_stack, 0
	.set _ZN12_GLOBAL__N_120gemm_ex_scale_kernelILi32ELi32EDF16_PKPKDF16_PKPDF16_EEviiT1_T2_lllT3_llli.has_recursion, 0
	.set _ZN12_GLOBAL__N_120gemm_ex_scale_kernelILi32ELi32EDF16_PKPKDF16_PKPDF16_EEviiT1_T2_lllT3_llli.has_indirect_call, 0
	.section	.AMDGPU.csdata,"",@progbits
; Kernel info:
; codeLenInByte = 508
; TotalNumSgprs: 25
; NumVgprs: 10
; ScratchSize: 0
; MemoryBound: 0
; FloatMode: 240
; IeeeMode: 1
; LDSByteSize: 0 bytes/workgroup (compile time only)
; SGPRBlocks: 0
; VGPRBlocks: 0
; NumSGPRsForWavesPerEU: 25
; NumVGPRsForWavesPerEU: 10
; NamedBarCnt: 0
; Occupancy: 16
; WaveLimiterHint : 1
; COMPUTE_PGM_RSRC2:SCRATCH_EN: 0
; COMPUTE_PGM_RSRC2:USER_SGPR: 2
; COMPUTE_PGM_RSRC2:TRAP_HANDLER: 0
; COMPUTE_PGM_RSRC2:TGID_X_EN: 1
; COMPUTE_PGM_RSRC2:TGID_Y_EN: 1
; COMPUTE_PGM_RSRC2:TGID_Z_EN: 1
; COMPUTE_PGM_RSRC2:TIDIG_COMP_CNT: 1
	.section	.text._ZN12_GLOBAL__N_127rocblas_gemm_batched_kernelIDF16_Li16ELi16ELi64ELi64ELi4ELi64ELi4ELi4ELi64ELc78ELc78EKPKDF16_S3_KPDF16_EEvlllT_PT11_llS8_llS6_PT12_llPT13_lli,"axG",@progbits,_ZN12_GLOBAL__N_127rocblas_gemm_batched_kernelIDF16_Li16ELi16ELi64ELi64ELi4ELi64ELi4ELi4ELi64ELc78ELc78EKPKDF16_S3_KPDF16_EEvlllT_PT11_llS8_llS6_PT12_llPT13_lli,comdat
	.globl	_ZN12_GLOBAL__N_127rocblas_gemm_batched_kernelIDF16_Li16ELi16ELi64ELi64ELi4ELi64ELi4ELi4ELi64ELc78ELc78EKPKDF16_S3_KPDF16_EEvlllT_PT11_llS8_llS6_PT12_llPT13_lli ; -- Begin function _ZN12_GLOBAL__N_127rocblas_gemm_batched_kernelIDF16_Li16ELi16ELi64ELi64ELi4ELi64ELi4ELi4ELi64ELc78ELc78EKPKDF16_S3_KPDF16_EEvlllT_PT11_llS8_llS6_PT12_llPT13_lli
	.p2align	8
	.type	_ZN12_GLOBAL__N_127rocblas_gemm_batched_kernelIDF16_Li16ELi16ELi64ELi64ELi4ELi64ELi4ELi4ELi64ELc78ELc78EKPKDF16_S3_KPDF16_EEvlllT_PT11_llS8_llS6_PT12_llPT13_lli,@function
_ZN12_GLOBAL__N_127rocblas_gemm_batched_kernelIDF16_Li16ELi16ELi64ELi64ELi4ELi64ELi4ELi4ELi64ELc78ELc78EKPKDF16_S3_KPDF16_EEvlllT_PT11_llS8_llS6_PT12_llPT13_lli: ; @_ZN12_GLOBAL__N_127rocblas_gemm_batched_kernelIDF16_Li16ELi16ELi64ELi64ELi4ELi64ELi4ELi4ELi64ELc78ELc78EKPKDF16_S3_KPDF16_EEvlllT_PT11_llS8_llS6_PT12_llPT13_lli
; %bb.0:
	s_load_b32 s31, s[0:1], 0x88
	s_bfe_u32 s2, ttmp6, 0x40014
	s_lshr_b32 s3, ttmp7, 16
	s_add_co_i32 s2, s2, 1
	s_bfe_u32 s4, ttmp6, 0x40008
	s_mul_i32 s2, s3, s2
	s_getreg_b32 s12, hwreg(HW_REG_IB_STS2, 6, 4)
	s_add_co_i32 s4, s4, s2
	s_cmp_eq_u32 s12, 0
	s_cselect_b32 s2, s3, s4
	s_mov_b32 s3, 0
	s_wait_kmcnt 0x0
	s_cmp_ge_i32 s2, s31
	s_cbranch_scc1 .LBB57_11
; %bb.1:
	v_bfe_u32 v2, v0, 10, 10
	v_and_b32_e32 v6, 0x3ff, v0
	s_clause 0x1
	s_load_b256 s[4:11], s[0:1], 0x20
	s_load_b128 s[20:23], s[0:1], 0x40
	s_bfe_u32 s14, ttmp6, 0x4000c
	s_bfe_u32 s15, ttmp6, 0x40010
	s_add_co_i32 s14, s14, 1
	s_and_b32 s16, ttmp7, 0xffff
	s_add_co_i32 s15, s15, 1
	v_lshl_add_u32 v14, v2, 4, v6
	v_mov_b32_e32 v3, 0
	s_and_b32 s13, ttmp6, 15
	s_mul_i32 s14, ttmp9, s14
	s_mul_i32 s15, s16, s15
	s_bfe_u32 s17, ttmp6, 0x40004
	s_add_co_i32 s13, s13, s14
	s_add_co_i32 s17, s17, s15
	s_cmp_eq_u32 s12, 0
	v_dual_mov_b32 v9, v3 :: v_dual_lshrrev_b32 v8, 2, v14
	v_lshrrev_b32_e32 v17, 6, v14
	s_cselect_b32 s12, s16, s17
	s_cselect_b32 s28, ttmp9, s13
	s_lshl_b32 s34, s12, 6
	s_mov_b32 s35, s3
	s_clause 0x2
	s_load_b32 s33, s[0:1], 0x50
	s_load_b128 s[24:27], s[0:1], 0x78
	s_load_b256 s[12:19], s[0:1], 0x58
	v_add_nc_u64_e32 v[4:5], s[34:35], v[8:9]
	s_ashr_i32 s29, s28, 31
	v_dual_lshlrev_b32 v9, 1, v0 :: v_dual_mov_b32 v7, v3
	v_dual_mov_b32 v15, v3 :: v_dual_bitop2_b32 v14, 63, v14 bitop3:0x40
	s_delay_alu instid0(VALU_DEP_2) | instskip(SKIP_1) | instid1(VALU_DEP_4)
	v_dual_lshlrev_b32 v20, 1, v6 :: v_dual_bitop2_b32 v16, 6, v9 bitop3:0x40
	s_wait_kmcnt 0x0
	v_mul_u64_e32 v[10:11], s[20:21], v[4:5]
	s_lshl_b64 s[20:21], s[28:29], 6
	v_add_nc_u64_e32 v[4:5], s[34:35], v[2:3]
	v_mad_nc_u64_u32 v[12:13], s6, v17, s[20:21]
	s_load_b96 s[28:30], s[0:1], 0x10
	v_lshl_or_b32 v19, v8, 3, v16
	v_lshlrev_b32_e32 v18, 1, v14
	v_lshl_add_u32 v2, v2, 3, 0x200
	s_cmp_eq_f16 s33, 0
	v_mul_u64_e32 v[0:1], s[24:25], v[4:5]
	v_mul_u64_e32 v[4:5], s[14:15], v[4:5]
	v_lshl_or_b32 v21, v17, 7, v18
	s_wait_xcnt 0x0
	s_cselect_b32 s1, -1, 0
	v_mad_u32 v13, s7, v17, v13
	v_dual_mov_b32 v17, v3 :: v_dual_add_nc_u32 v22, 0x200, v19
	s_lshl_b64 s[6:7], s[6:7], 3
	s_lshl_b64 s[16:17], s[16:17], 1
	s_wait_kmcnt 0x0
	v_cmp_gt_i64_e64 s0, s[28:29], 0
	s_delay_alu instid0(VALU_DEP_3)
	v_add_nc_u64_e32 v[8:9], v[12:13], v[14:15]
	v_add_nc_u64_e32 v[12:13], s[20:21], v[6:7]
	s_lshl_b64 s[20:21], s[22:23], 1
	s_lshl_b64 s[22:23], s[14:15], 4
	v_cndmask_b32_e64 v14, 0, 1, s0
	v_lshl_add_u64 v[6:7], v[10:11], 1, s[20:21]
	s_delay_alu instid0(VALU_DEP_4) | instskip(NEXT) | instid1(VALU_DEP_4)
	v_lshlrev_b64_e32 v[8:9], 1, v[8:9]
	v_lshlrev_b64_e32 v[10:11], 1, v[12:13]
	s_lshl_b64 s[20:21], s[24:25], 4
	v_cmp_ne_u32_e64 s0, 1, v14
	v_add_nc_u64_e32 v[6:7], v[6:7], v[16:17]
	s_lshl_b64 s[14:15], s[20:21], 1
	s_lshl_b64 s[20:21], s[22:23], 1
	v_lshl_add_u64 v[8:9], s[8:9], 1, v[8:9]
	s_lshl_b64 s[8:9], s[26:27], 1
	s_branch .LBB57_3
.LBB57_2:                               ;   in Loop: Header=BB57_3 Depth=1
	s_add_co_i32 s2, s2, 0x10000
	s_delay_alu instid0(SALU_CYCLE_1)
	s_cmp_lt_i32 s2, s31
	s_cbranch_scc0 .LBB57_11
.LBB57_3:                               ; =>This Loop Header: Depth=1
                                        ;     Child Loop BB57_5 Depth 2
	v_mov_b32_e32 v16, s2
	s_and_b32 vcc_lo, exec_lo, s0
	s_clause 0x1
	global_load_b64 v[12:13], v16, s[12:13] scale_offset
	global_load_b64 v[14:15], v16, s[18:19] scale_offset
	s_cbranch_vccnz .LBB57_6
; %bb.4:                                ;   in Loop: Header=BB57_3 Depth=1
	s_lshl_b64 s[22:23], s[2:3], 3
	v_dual_mov_b32 v23, 0 :: v_dual_mov_b32 v24, 0
	s_add_nc_u64 s[24:25], s[10:11], s[22:23]
	s_add_nc_u64 s[22:23], s[4:5], s[22:23]
	s_clause 0x1
	global_load_b64 v[16:17], v3, s[24:25]
	global_load_b64 v[18:19], v3, s[22:23]
	v_dual_mov_b32 v25, 0 :: v_dual_mov_b32 v26, 0
	v_dual_mov_b32 v27, 0 :: v_dual_mov_b32 v28, 0
	;; [unrolled: 1-line block ×3, first 2 shown]
	s_wait_xcnt 0x0
	s_mov_b64 s[22:23], 0
	s_wait_loadcnt 0x1
	v_add_nc_u64_e32 v[16:17], v[16:17], v[6:7]
	s_wait_loadcnt 0x0
	v_add_nc_u64_e32 v[18:19], v[18:19], v[8:9]
.LBB57_5:                               ;   Parent Loop BB57_3 Depth=1
                                        ; =>  This Inner Loop Header: Depth=2
	flat_load_u16 v31, v[18:19]
	s_add_nc_u64 s[22:23], s[22:23], 4
	s_wait_xcnt 0x0
	v_add_nc_u64_e32 v[18:19], s[6:7], v[18:19]
	v_cmp_lt_i64_e64 s24, s[22:23], s[28:29]
	s_and_b32 vcc_lo, exec_lo, s24
	s_wait_loadcnt_dscnt 0x0
	ds_store_b16 v21, v31
	flat_load_u16 v31, v[16:17]
	s_wait_xcnt 0x0
	v_add_nc_u64_e32 v[16:17], 8, v[16:17]
	s_wait_loadcnt_dscnt 0x0
	ds_store_b16 v22, v31
	s_wait_dscnt 0x0
	s_barrier_signal -1
	s_barrier_wait -1
	ds_load_u16 v31, v20
	ds_load_u16 v40, v20 offset:32
	ds_load_u16 v41, v20 offset:64
	;; [unrolled: 1-line block ×15, first 2 shown]
	ds_load_2addr_b64 v[32:35], v2 offset1:16
	ds_load_2addr_b64 v[36:39], v2 offset0:32 offset1:48
	s_wait_dscnt 0x0
	s_barrier_signal -1
	s_barrier_wait -1
	v_perm_b32 v31, v31, v40, 0x5040100
	v_perm_b32 v41, v41, v42, 0x5040100
	;; [unrolled: 1-line block ×8, first 2 shown]
	v_pk_fma_f16 v30, v31, v32, v30 op_sel_hi:[1,0,1]
	v_pk_fma_f16 v29, v41, v32, v29 op_sel_hi:[1,0,1]
	;; [unrolled: 1-line block ×8, first 2 shown]
	v_pk_fma_f16 v30, v40, v32, v30 op_sel:[0,1,0]
	v_pk_fma_f16 v29, v42, v32, v29 op_sel:[0,1,0]
	;; [unrolled: 1-line block ×8, first 2 shown]
	v_pk_fma_f16 v30, v43, v33, v30 op_sel_hi:[1,0,1]
	v_pk_fma_f16 v29, v45, v33, v29 op_sel_hi:[1,0,1]
	;; [unrolled: 1-line block ×8, first 2 shown]
	v_pk_fma_f16 v30, v44, v33, v30 op_sel:[0,1,0]
	v_pk_fma_f16 v29, v46, v33, v29 op_sel:[0,1,0]
	v_pk_fma_f16 v28, v44, v35, v28 op_sel:[0,1,0]
	v_pk_fma_f16 v27, v46, v35, v27 op_sel:[0,1,0]
	v_pk_fma_f16 v26, v44, v37, v26 op_sel:[0,1,0]
	v_pk_fma_f16 v25, v46, v37, v25 op_sel:[0,1,0]
	v_pk_fma_f16 v24, v44, v39, v24 op_sel:[0,1,0]
	v_pk_fma_f16 v23, v46, v39, v23 op_sel:[0,1,0]
	s_cbranch_vccnz .LBB57_5
	s_branch .LBB57_7
.LBB57_6:                               ;   in Loop: Header=BB57_3 Depth=1
	v_dual_mov_b32 v30, 0 :: v_dual_mov_b32 v29, 0
	v_dual_mov_b32 v28, 0 :: v_dual_mov_b32 v27, 0
	;; [unrolled: 1-line block ×4, first 2 shown]
.LBB57_7:                               ;   in Loop: Header=BB57_3 Depth=1
	s_wait_loadcnt 0x0
	v_add_nc_u64_e32 v[14:15], s[8:9], v[14:15]
	v_dual_lshrrev_b32 v36, 16, v30 :: v_dual_lshrrev_b32 v35, 16, v29
	v_dual_lshrrev_b32 v34, 16, v28 :: v_dual_lshrrev_b32 v33, 16, v27
	;; [unrolled: 1-line block ×3, first 2 shown]
	s_delay_alu instid0(VALU_DEP_4) | instskip(SKIP_3) | instid1(VALU_DEP_2)
	v_lshl_add_u64 v[14:15], v[0:1], 1, v[14:15]
	v_dual_lshrrev_b32 v19, 16, v24 :: v_dual_lshrrev_b32 v18, 16, v23
	s_and_not1_b32 vcc_lo, exec_lo, s1
	s_wait_xcnt 0x0
	v_add_nc_u64_e32 v[16:17], v[14:15], v[10:11]
	v_add_nc_u64_e32 v[14:15], s[14:15], v[14:15]
	s_cbranch_vccnz .LBB57_9
; %bb.8:                                ;   in Loop: Header=BB57_3 Depth=1
	v_mul_f16_e32 v37, s30, v36
	v_mul_f16_e32 v40, s30, v30
	s_delay_alu instid0(VALU_DEP_3)
	v_add_nc_u64_e32 v[38:39], s[14:15], v[14:15]
	v_mul_f16_e32 v41, s30, v35
	v_mul_f16_e32 v42, s30, v29
	s_clause 0x3
	flat_store_b16 v[16:17], v37
	flat_store_b16 v[16:17], v40 offset:32
	flat_store_b16 v[16:17], v41 offset:64
	;; [unrolled: 1-line block ×3, first 2 shown]
	s_wait_xcnt 0x1
	v_add_nc_u64_e32 v[40:41], v[14:15], v[10:11]
	v_mul_f16_e32 v37, s30, v34
	v_mul_f16_e32 v44, s30, v28
	s_wait_xcnt 0x0
	v_add_nc_u64_e32 v[42:43], v[38:39], v[10:11]
	v_add_nc_u64_e32 v[38:39], s[14:15], v[38:39]
	v_mul_f16_e32 v45, s30, v33
	v_mul_f16_e32 v46, s30, v27
	s_clause 0x3
	flat_store_b16 v[40:41], v37
	flat_store_b16 v[40:41], v44 offset:32
	flat_store_b16 v[40:41], v45 offset:64
	;; [unrolled: 1-line block ×3, first 2 shown]
	s_wait_xcnt 0x3
	v_mul_f16_e32 v37, s30, v32
	s_wait_xcnt 0x0
	v_mul_f16_e32 v40, s30, v26
	v_mul_f16_e32 v41, s30, v31
	;; [unrolled: 1-line block ×3, first 2 shown]
	v_add_nc_u64_e32 v[38:39], v[38:39], v[10:11]
	s_clause 0x3
	flat_store_b16 v[42:43], v37
	flat_store_b16 v[42:43], v40 offset:32
	flat_store_b16 v[42:43], v41 offset:64
	;; [unrolled: 1-line block ×3, first 2 shown]
	s_wait_xcnt 0x3
	v_mul_f16_e32 v37, s30, v19
	s_wait_xcnt 0x2
	v_mul_f16_e32 v40, s30, v24
	;; [unrolled: 2-line block ×4, first 2 shown]
	s_clause 0x3
	flat_store_b16 v[38:39], v37
	flat_store_b16 v[38:39], v40 offset:32
	flat_store_b16 v[38:39], v41 offset:64
	;; [unrolled: 1-line block ×3, first 2 shown]
	s_cbranch_execnz .LBB57_2
	s_branch .LBB57_10
.LBB57_9:                               ;   in Loop: Header=BB57_3 Depth=1
.LBB57_10:                              ;   in Loop: Header=BB57_3 Depth=1
	v_add_nc_u64_e32 v[12:13], s[16:17], v[12:13]
	s_delay_alu instid0(VALU_DEP_1) | instskip(SKIP_1) | instid1(VALU_DEP_1)
	v_lshl_add_u64 v[12:13], v[4:5], 1, v[12:13]
	s_wait_xcnt 0x0
	v_add_nc_u64_e32 v[38:39], v[12:13], v[10:11]
	v_add_nc_u64_e32 v[12:13], s[20:21], v[12:13]
	flat_load_u16 v37, v[38:39]
	s_wait_loadcnt_dscnt 0x0
	v_mul_f16_e32 v37, s33, v37
	s_delay_alu instid0(VALU_DEP_1) | instskip(SKIP_4) | instid1(VALU_DEP_1)
	v_fmac_f16_e32 v37, s30, v36
	flat_store_b16 v[16:17], v37
	flat_load_u16 v36, v[38:39] offset:32
	s_wait_loadcnt_dscnt 0x0
	v_mul_f16_e32 v36, s33, v36
	v_fmac_f16_e32 v36, s30, v30
	flat_store_b16 v[16:17], v36 offset:32
	flat_load_u16 v30, v[38:39] offset:64
	s_wait_xcnt 0x1
	v_add_nc_u64_e32 v[36:37], v[12:13], v[10:11]
	v_add_nc_u64_e32 v[12:13], s[20:21], v[12:13]
	s_wait_loadcnt_dscnt 0x0
	v_mul_f16_e32 v30, s33, v30
	s_delay_alu instid0(VALU_DEP_1) | instskip(SKIP_4) | instid1(VALU_DEP_1)
	v_fmac_f16_e32 v30, s30, v35
	flat_store_b16 v[16:17], v30 offset:64
	flat_load_u16 v30, v[38:39] offset:96
	s_wait_loadcnt_dscnt 0x0
	v_mul_f16_e32 v30, s33, v30
	v_fmac_f16_e32 v30, s30, v29
	flat_store_b16 v[16:17], v30 offset:96
	flat_load_u16 v16, v[36:37]
	s_wait_loadcnt_dscnt 0x0
	v_mul_f16_e32 v29, s33, v16
	v_add_nc_u64_e32 v[16:17], v[14:15], v[10:11]
	v_add_nc_u64_e32 v[14:15], s[14:15], v[14:15]
	s_delay_alu instid0(VALU_DEP_3) | instskip(SKIP_4) | instid1(VALU_DEP_1)
	v_fmac_f16_e32 v29, s30, v34
	flat_store_b16 v[16:17], v29
	flat_load_u16 v29, v[36:37] offset:32
	s_wait_loadcnt_dscnt 0x0
	v_mul_f16_e32 v29, s33, v29
	v_fmac_f16_e32 v29, s30, v28
	flat_store_b16 v[16:17], v29 offset:32
	flat_load_u16 v28, v[36:37] offset:64
	s_wait_loadcnt_dscnt 0x0
	v_mul_f16_e32 v28, s33, v28
	s_delay_alu instid0(VALU_DEP_1)
	v_fmac_f16_e32 v28, s30, v33
	flat_store_b16 v[16:17], v28 offset:64
	flat_load_u16 v28, v[36:37] offset:96
	s_wait_loadcnt_dscnt 0x0
	v_mul_f16_e32 v30, s33, v28
	v_add_nc_u64_e32 v[28:29], v[12:13], v[10:11]
	v_add_nc_u64_e32 v[12:13], s[20:21], v[12:13]
	s_delay_alu instid0(VALU_DEP_3) | instskip(NEXT) | instid1(VALU_DEP_2)
	v_fmac_f16_e32 v30, s30, v27
	v_add_nc_u64_e32 v[12:13], v[12:13], v[10:11]
	flat_store_b16 v[16:17], v30 offset:96
	flat_load_u16 v16, v[28:29]
	s_wait_loadcnt_dscnt 0x0
	v_mul_f16_e32 v27, s33, v16
	v_add_nc_u64_e32 v[16:17], v[14:15], v[10:11]
	v_add_nc_u64_e32 v[14:15], s[14:15], v[14:15]
	s_delay_alu instid0(VALU_DEP_3) | instskip(NEXT) | instid1(VALU_DEP_2)
	v_fmac_f16_e32 v27, s30, v32
	v_add_nc_u64_e32 v[14:15], v[14:15], v[10:11]
	flat_store_b16 v[16:17], v27
	flat_load_u16 v27, v[28:29] offset:32
	s_wait_loadcnt_dscnt 0x0
	v_mul_f16_e32 v27, s33, v27
	s_delay_alu instid0(VALU_DEP_1) | instskip(SKIP_4) | instid1(VALU_DEP_1)
	v_fmac_f16_e32 v27, s30, v26
	flat_store_b16 v[16:17], v27 offset:32
	flat_load_u16 v26, v[28:29] offset:64
	s_wait_loadcnt_dscnt 0x0
	v_mul_f16_e32 v26, s33, v26
	v_fmac_f16_e32 v26, s30, v31
	flat_store_b16 v[16:17], v26 offset:64
	flat_load_u16 v26, v[28:29] offset:96
	s_wait_loadcnt_dscnt 0x0
	v_mul_f16_e32 v26, s33, v26
	s_delay_alu instid0(VALU_DEP_1) | instskip(SKIP_4) | instid1(VALU_DEP_1)
	v_fmac_f16_e32 v26, s30, v25
	flat_store_b16 v[16:17], v26 offset:96
	flat_load_u16 v16, v[12:13]
	s_wait_loadcnt_dscnt 0x0
	v_mul_f16_e32 v16, s33, v16
	v_fmac_f16_e32 v16, s30, v19
	flat_store_b16 v[14:15], v16
	flat_load_u16 v16, v[12:13] offset:32
	s_wait_loadcnt_dscnt 0x0
	v_mul_f16_e32 v16, s33, v16
	s_delay_alu instid0(VALU_DEP_1) | instskip(SKIP_4) | instid1(VALU_DEP_1)
	v_fmac_f16_e32 v16, s30, v24
	flat_store_b16 v[14:15], v16 offset:32
	flat_load_u16 v16, v[12:13] offset:64
	s_wait_loadcnt_dscnt 0x0
	v_mul_f16_e32 v16, s33, v16
	v_fmac_f16_e32 v16, s30, v18
	flat_store_b16 v[14:15], v16 offset:64
	flat_load_u16 v12, v[12:13] offset:96
	s_wait_loadcnt_dscnt 0x0
	s_wait_xcnt 0x0
	v_mul_f16_e32 v12, s33, v12
	s_delay_alu instid0(VALU_DEP_1)
	v_fmac_f16_e32 v12, s30, v23
	flat_store_b16 v[14:15], v12 offset:96
	s_branch .LBB57_2
.LBB57_11:
	s_endpgm
	.section	.rodata,"a",@progbits
	.p2align	6, 0x0
	.amdhsa_kernel _ZN12_GLOBAL__N_127rocblas_gemm_batched_kernelIDF16_Li16ELi16ELi64ELi64ELi4ELi64ELi4ELi4ELi64ELc78ELc78EKPKDF16_S3_KPDF16_EEvlllT_PT11_llS8_llS6_PT12_llPT13_lli
		.amdhsa_group_segment_fixed_size 1024
		.amdhsa_private_segment_fixed_size 0
		.amdhsa_kernarg_size 140
		.amdhsa_user_sgpr_count 2
		.amdhsa_user_sgpr_dispatch_ptr 0
		.amdhsa_user_sgpr_queue_ptr 0
		.amdhsa_user_sgpr_kernarg_segment_ptr 1
		.amdhsa_user_sgpr_dispatch_id 0
		.amdhsa_user_sgpr_kernarg_preload_length 0
		.amdhsa_user_sgpr_kernarg_preload_offset 0
		.amdhsa_user_sgpr_private_segment_size 0
		.amdhsa_wavefront_size32 1
		.amdhsa_uses_dynamic_stack 0
		.amdhsa_enable_private_segment 0
		.amdhsa_system_sgpr_workgroup_id_x 1
		.amdhsa_system_sgpr_workgroup_id_y 1
		.amdhsa_system_sgpr_workgroup_id_z 1
		.amdhsa_system_sgpr_workgroup_info 0
		.amdhsa_system_vgpr_workitem_id 1
		.amdhsa_next_free_vgpr 55
		.amdhsa_next_free_sgpr 36
		.amdhsa_named_barrier_count 0
		.amdhsa_reserve_vcc 1
		.amdhsa_float_round_mode_32 0
		.amdhsa_float_round_mode_16_64 0
		.amdhsa_float_denorm_mode_32 3
		.amdhsa_float_denorm_mode_16_64 3
		.amdhsa_fp16_overflow 0
		.amdhsa_memory_ordered 1
		.amdhsa_forward_progress 1
		.amdhsa_inst_pref_size 19
		.amdhsa_round_robin_scheduling 0
		.amdhsa_exception_fp_ieee_invalid_op 0
		.amdhsa_exception_fp_denorm_src 0
		.amdhsa_exception_fp_ieee_div_zero 0
		.amdhsa_exception_fp_ieee_overflow 0
		.amdhsa_exception_fp_ieee_underflow 0
		.amdhsa_exception_fp_ieee_inexact 0
		.amdhsa_exception_int_div_zero 0
	.end_amdhsa_kernel
	.section	.text._ZN12_GLOBAL__N_127rocblas_gemm_batched_kernelIDF16_Li16ELi16ELi64ELi64ELi4ELi64ELi4ELi4ELi64ELc78ELc78EKPKDF16_S3_KPDF16_EEvlllT_PT11_llS8_llS6_PT12_llPT13_lli,"axG",@progbits,_ZN12_GLOBAL__N_127rocblas_gemm_batched_kernelIDF16_Li16ELi16ELi64ELi64ELi4ELi64ELi4ELi4ELi64ELc78ELc78EKPKDF16_S3_KPDF16_EEvlllT_PT11_llS8_llS6_PT12_llPT13_lli,comdat
.Lfunc_end57:
	.size	_ZN12_GLOBAL__N_127rocblas_gemm_batched_kernelIDF16_Li16ELi16ELi64ELi64ELi4ELi64ELi4ELi4ELi64ELc78ELc78EKPKDF16_S3_KPDF16_EEvlllT_PT11_llS8_llS6_PT12_llPT13_lli, .Lfunc_end57-_ZN12_GLOBAL__N_127rocblas_gemm_batched_kernelIDF16_Li16ELi16ELi64ELi64ELi4ELi64ELi4ELi4ELi64ELc78ELc78EKPKDF16_S3_KPDF16_EEvlllT_PT11_llS8_llS6_PT12_llPT13_lli
                                        ; -- End function
	.set _ZN12_GLOBAL__N_127rocblas_gemm_batched_kernelIDF16_Li16ELi16ELi64ELi64ELi4ELi64ELi4ELi4ELi64ELc78ELc78EKPKDF16_S3_KPDF16_EEvlllT_PT11_llS8_llS6_PT12_llPT13_lli.num_vgpr, 55
	.set _ZN12_GLOBAL__N_127rocblas_gemm_batched_kernelIDF16_Li16ELi16ELi64ELi64ELi4ELi64ELi4ELi4ELi64ELc78ELc78EKPKDF16_S3_KPDF16_EEvlllT_PT11_llS8_llS6_PT12_llPT13_lli.num_agpr, 0
	.set _ZN12_GLOBAL__N_127rocblas_gemm_batched_kernelIDF16_Li16ELi16ELi64ELi64ELi4ELi64ELi4ELi4ELi64ELc78ELc78EKPKDF16_S3_KPDF16_EEvlllT_PT11_llS8_llS6_PT12_llPT13_lli.numbered_sgpr, 36
	.set _ZN12_GLOBAL__N_127rocblas_gemm_batched_kernelIDF16_Li16ELi16ELi64ELi64ELi4ELi64ELi4ELi4ELi64ELc78ELc78EKPKDF16_S3_KPDF16_EEvlllT_PT11_llS8_llS6_PT12_llPT13_lli.num_named_barrier, 0
	.set _ZN12_GLOBAL__N_127rocblas_gemm_batched_kernelIDF16_Li16ELi16ELi64ELi64ELi4ELi64ELi4ELi4ELi64ELc78ELc78EKPKDF16_S3_KPDF16_EEvlllT_PT11_llS8_llS6_PT12_llPT13_lli.private_seg_size, 0
	.set _ZN12_GLOBAL__N_127rocblas_gemm_batched_kernelIDF16_Li16ELi16ELi64ELi64ELi4ELi64ELi4ELi4ELi64ELc78ELc78EKPKDF16_S3_KPDF16_EEvlllT_PT11_llS8_llS6_PT12_llPT13_lli.uses_vcc, 1
	.set _ZN12_GLOBAL__N_127rocblas_gemm_batched_kernelIDF16_Li16ELi16ELi64ELi64ELi4ELi64ELi4ELi4ELi64ELc78ELc78EKPKDF16_S3_KPDF16_EEvlllT_PT11_llS8_llS6_PT12_llPT13_lli.uses_flat_scratch, 1
	.set _ZN12_GLOBAL__N_127rocblas_gemm_batched_kernelIDF16_Li16ELi16ELi64ELi64ELi4ELi64ELi4ELi4ELi64ELc78ELc78EKPKDF16_S3_KPDF16_EEvlllT_PT11_llS8_llS6_PT12_llPT13_lli.has_dyn_sized_stack, 0
	.set _ZN12_GLOBAL__N_127rocblas_gemm_batched_kernelIDF16_Li16ELi16ELi64ELi64ELi4ELi64ELi4ELi4ELi64ELc78ELc78EKPKDF16_S3_KPDF16_EEvlllT_PT11_llS8_llS6_PT12_llPT13_lli.has_recursion, 0
	.set _ZN12_GLOBAL__N_127rocblas_gemm_batched_kernelIDF16_Li16ELi16ELi64ELi64ELi4ELi64ELi4ELi4ELi64ELc78ELc78EKPKDF16_S3_KPDF16_EEvlllT_PT11_llS8_llS6_PT12_llPT13_lli.has_indirect_call, 0
	.section	.AMDGPU.csdata,"",@progbits
; Kernel info:
; codeLenInByte = 2416
; TotalNumSgprs: 38
; NumVgprs: 55
; ScratchSize: 0
; MemoryBound: 0
; FloatMode: 240
; IeeeMode: 1
; LDSByteSize: 1024 bytes/workgroup (compile time only)
; SGPRBlocks: 0
; VGPRBlocks: 3
; NumSGPRsForWavesPerEU: 38
; NumVGPRsForWavesPerEU: 55
; NamedBarCnt: 0
; Occupancy: 16
; WaveLimiterHint : 1
; COMPUTE_PGM_RSRC2:SCRATCH_EN: 0
; COMPUTE_PGM_RSRC2:USER_SGPR: 2
; COMPUTE_PGM_RSRC2:TRAP_HANDLER: 0
; COMPUTE_PGM_RSRC2:TGID_X_EN: 1
; COMPUTE_PGM_RSRC2:TGID_Y_EN: 1
; COMPUTE_PGM_RSRC2:TGID_Z_EN: 1
; COMPUTE_PGM_RSRC2:TIDIG_COMP_CNT: 1
	.section	.text._ZN12_GLOBAL__N_127rocblas_gemm_batched_kernelIDF16_Li16ELi16ELi64ELi64ELi4ELi64ELi4ELi4ELi64ELc84ELc78EKPKDF16_S3_KPDF16_EEvlllT_PT11_llS8_llS6_PT12_llPT13_lli,"axG",@progbits,_ZN12_GLOBAL__N_127rocblas_gemm_batched_kernelIDF16_Li16ELi16ELi64ELi64ELi4ELi64ELi4ELi4ELi64ELc84ELc78EKPKDF16_S3_KPDF16_EEvlllT_PT11_llS8_llS6_PT12_llPT13_lli,comdat
	.globl	_ZN12_GLOBAL__N_127rocblas_gemm_batched_kernelIDF16_Li16ELi16ELi64ELi64ELi4ELi64ELi4ELi4ELi64ELc84ELc78EKPKDF16_S3_KPDF16_EEvlllT_PT11_llS8_llS6_PT12_llPT13_lli ; -- Begin function _ZN12_GLOBAL__N_127rocblas_gemm_batched_kernelIDF16_Li16ELi16ELi64ELi64ELi4ELi64ELi4ELi4ELi64ELc84ELc78EKPKDF16_S3_KPDF16_EEvlllT_PT11_llS8_llS6_PT12_llPT13_lli
	.p2align	8
	.type	_ZN12_GLOBAL__N_127rocblas_gemm_batched_kernelIDF16_Li16ELi16ELi64ELi64ELi4ELi64ELi4ELi4ELi64ELc84ELc78EKPKDF16_S3_KPDF16_EEvlllT_PT11_llS8_llS6_PT12_llPT13_lli,@function
_ZN12_GLOBAL__N_127rocblas_gemm_batched_kernelIDF16_Li16ELi16ELi64ELi64ELi4ELi64ELi4ELi4ELi64ELc84ELc78EKPKDF16_S3_KPDF16_EEvlllT_PT11_llS8_llS6_PT12_llPT13_lli: ; @_ZN12_GLOBAL__N_127rocblas_gemm_batched_kernelIDF16_Li16ELi16ELi64ELi64ELi4ELi64ELi4ELi4ELi64ELc84ELc78EKPKDF16_S3_KPDF16_EEvlllT_PT11_llS8_llS6_PT12_llPT13_lli
; %bb.0:
	s_load_b32 s31, s[0:1], 0x88
	s_bfe_u32 s2, ttmp6, 0x40014
	s_lshr_b32 s3, ttmp7, 16
	s_add_co_i32 s2, s2, 1
	s_bfe_u32 s4, ttmp6, 0x40008
	s_mul_i32 s2, s3, s2
	s_getreg_b32 s12, hwreg(HW_REG_IB_STS2, 6, 4)
	s_add_co_i32 s4, s4, s2
	s_cmp_eq_u32 s12, 0
	s_cselect_b32 s2, s3, s4
	s_mov_b32 s3, 0
	s_wait_kmcnt 0x0
	s_cmp_ge_i32 s2, s31
	s_cbranch_scc1 .LBB58_11
; %bb.1:
	v_bfe_u32 v2, v0, 10, 10
	v_and_b32_e32 v6, 0x3ff, v0
	s_clause 0x1
	s_load_b256 s[4:11], s[0:1], 0x20
	s_load_b128 s[20:23], s[0:1], 0x40
	s_bfe_u32 s13, ttmp6, 0x4000c
	s_bfe_u32 s15, ttmp6, 0x40010
	s_add_co_i32 s13, s13, 1
	s_and_b32 s16, ttmp7, 0xffff
	s_add_co_i32 s15, s15, 1
	v_lshl_add_u32 v15, v2, 4, v6
	v_mov_b32_e32 v3, 0
	s_and_b32 s14, ttmp6, 15
	s_mul_i32 s13, ttmp9, s13
	s_mul_i32 s15, s16, s15
	s_bfe_u32 s17, ttmp6, 0x40004
	s_add_co_i32 s14, s14, s13
	s_add_co_i32 s17, s17, s15
	s_cmp_eq_u32 s12, 0
	v_dual_lshrrev_b32 v8, 2, v15 :: v_dual_bitop2_b32 v16, 63, v15 bitop3:0x40
	v_mov_b32_e32 v9, v3
	s_cselect_b32 s13, s16, s17
	s_cselect_b32 s12, ttmp9, s14
	s_lshl_b32 s28, s13, 6
	s_mov_b32 s29, s3
	s_ashr_i32 s13, s12, 31
	v_add_nc_u64_e32 v[4:5], s[28:29], v[8:9]
	s_load_b128 s[24:27], s[0:1], 0x78
	s_lshl_b64 s[34:35], s[12:13], 6
	s_load_b256 s[12:19], s[0:1], 0x58
	v_dual_mov_b32 v11, s35 :: v_dual_bitop2_b32 v10, s34, v16 bitop3:0x54
	s_load_b32 s33, s[0:1], 0x50
	s_wait_kmcnt 0x0
	v_mul_u64_e32 v[12:13], s[20:21], v[4:5]
	v_add_nc_u64_e32 v[4:5], s[28:29], v[2:3]
	s_load_b96 s[28:30], s[0:1], 0x10
	v_mul_u64_e32 v[10:11], s[6:7], v[10:11]
	v_dual_lshlrev_b32 v7, 1, v0 :: v_dual_lshlrev_b32 v20, 1, v6
	v_dual_lshrrev_b32 v18, 6, v15 :: v_dual_lshlrev_b32 v9, 1, v16
	v_lshl_add_u32 v21, v2, 3, 0x200
	s_delay_alu instid0(VALU_DEP_3) | instskip(NEXT) | instid1(VALU_DEP_3)
	v_dual_mov_b32 v7, v3 :: v_dual_bitop2_b32 v14, 6, v7 bitop3:0x40
	v_dual_mov_b32 v15, v3 :: v_dual_lshlrev_b32 v2, 1, v18
	s_delay_alu instid0(VALU_DEP_4) | instskip(SKIP_1) | instid1(VALU_DEP_4)
	v_lshl_or_b32 v22, v18, 7, v9
	v_mul_u64_e32 v[0:1], s[24:25], v[4:5]
	v_lshl_or_b32 v8, v8, 3, v14
	v_mul_u64_e32 v[4:5], s[14:15], v[4:5]
	v_add_nc_u64_e32 v[16:17], s[34:35], v[6:7]
	s_cmp_eq_f16 s33, 0
	s_delay_alu instid0(VALU_DEP_3)
	v_add_nc_u32_e32 v23, 0x200, v8
	s_wait_kmcnt 0x0
	v_cmp_gt_i64_e64 s0, s[28:29], 0
	s_cselect_b32 s1, -1, 0
	s_lshl_b64 s[6:7], s[22:23], 1
	s_lshl_b64 s[20:21], s[24:25], 4
	;; [unrolled: 1-line block ×5, first 2 shown]
	v_lshl_add_u64 v[6:7], v[12:13], 1, s[6:7]
	s_lshl_b64 s[6:7], s[8:9], 1
	v_cndmask_b32_e64 v12, 0, 1, s0
	v_lshl_add_u64 v[8:9], v[10:11], 1, s[6:7]
	v_lshlrev_b64_e32 v[10:11], 1, v[16:17]
	v_add_nc_u64_e32 v[6:7], v[6:7], v[14:15]
	s_lshl_b64 s[6:7], s[26:27], 1
	v_cmp_ne_u32_e64 s0, 1, v12
	v_add_nc_u64_e32 v[8:9], v[8:9], v[2:3]
	s_lshl_b64 s[8:9], s[20:21], 1
	s_branch .LBB58_3
.LBB58_2:                               ;   in Loop: Header=BB58_3 Depth=1
	s_add_co_i32 s2, s2, 0x10000
	s_delay_alu instid0(SALU_CYCLE_1)
	s_cmp_lt_i32 s2, s31
	s_cbranch_scc0 .LBB58_11
.LBB58_3:                               ; =>This Loop Header: Depth=1
                                        ;     Child Loop BB58_5 Depth 2
	v_mov_b32_e32 v2, s2
	s_and_b32 vcc_lo, exec_lo, s0
	s_clause 0x1
	global_load_b64 v[12:13], v2, s[12:13] scale_offset
	global_load_b64 v[14:15], v2, s[18:19] scale_offset
	s_cbranch_vccnz .LBB58_6
; %bb.4:                                ;   in Loop: Header=BB58_3 Depth=1
	s_lshl_b64 s[20:21], s[2:3], 3
	s_wait_xcnt 0x0
	v_dual_mov_b32 v2, 0 :: v_dual_mov_b32 v24, 0
	s_add_nc_u64 s[22:23], s[10:11], s[20:21]
	s_add_nc_u64 s[20:21], s[4:5], s[20:21]
	s_clause 0x1
	global_load_b64 v[16:17], v3, s[22:23]
	global_load_b64 v[18:19], v3, s[20:21]
	v_dual_mov_b32 v25, 0 :: v_dual_mov_b32 v26, 0
	v_dual_mov_b32 v27, 0 :: v_dual_mov_b32 v28, 0
	;; [unrolled: 1-line block ×3, first 2 shown]
	s_wait_xcnt 0x0
	s_mov_b64 s[20:21], 0
	s_wait_loadcnt 0x1
	v_add_nc_u64_e32 v[16:17], v[16:17], v[6:7]
	s_wait_loadcnt 0x0
	v_add_nc_u64_e32 v[18:19], v[18:19], v[8:9]
.LBB58_5:                               ;   Parent Loop BB58_3 Depth=1
                                        ; =>  This Inner Loop Header: Depth=2
	flat_load_u16 v31, v[18:19]
	s_add_nc_u64 s[20:21], s[20:21], 4
	s_wait_xcnt 0x0
	v_add_nc_u64_e32 v[18:19], 8, v[18:19]
	v_cmp_lt_i64_e64 s22, s[20:21], s[28:29]
	s_and_b32 vcc_lo, exec_lo, s22
	s_wait_loadcnt_dscnt 0x0
	ds_store_b16 v22, v31
	flat_load_u16 v31, v[16:17]
	s_wait_xcnt 0x0
	v_add_nc_u64_e32 v[16:17], 8, v[16:17]
	s_wait_loadcnt_dscnt 0x0
	ds_store_b16 v23, v31
	s_wait_dscnt 0x0
	s_barrier_signal -1
	s_barrier_wait -1
	ds_load_u16 v31, v20
	ds_load_u16 v40, v20 offset:32
	ds_load_u16 v41, v20 offset:64
	;; [unrolled: 1-line block ×15, first 2 shown]
	ds_load_2addr_b64 v[32:35], v21 offset1:16
	ds_load_2addr_b64 v[36:39], v21 offset0:32 offset1:48
	s_wait_dscnt 0x0
	s_barrier_signal -1
	s_barrier_wait -1
	v_perm_b32 v31, v31, v40, 0x5040100
	v_perm_b32 v41, v41, v42, 0x5040100
	;; [unrolled: 1-line block ×8, first 2 shown]
	v_pk_fma_f16 v30, v31, v32, v30 op_sel_hi:[1,0,1]
	v_pk_fma_f16 v29, v41, v32, v29 op_sel_hi:[1,0,1]
	;; [unrolled: 1-line block ×8, first 2 shown]
	v_pk_fma_f16 v30, v40, v32, v30 op_sel:[0,1,0]
	v_pk_fma_f16 v29, v42, v32, v29 op_sel:[0,1,0]
	;; [unrolled: 1-line block ×8, first 2 shown]
	v_pk_fma_f16 v30, v43, v33, v30 op_sel_hi:[1,0,1]
	v_pk_fma_f16 v29, v45, v33, v29 op_sel_hi:[1,0,1]
	;; [unrolled: 1-line block ×8, first 2 shown]
	v_pk_fma_f16 v30, v44, v33, v30 op_sel:[0,1,0]
	v_pk_fma_f16 v29, v46, v33, v29 op_sel:[0,1,0]
	;; [unrolled: 1-line block ×8, first 2 shown]
	s_cbranch_vccnz .LBB58_5
	s_branch .LBB58_7
.LBB58_6:                               ;   in Loop: Header=BB58_3 Depth=1
	v_dual_mov_b32 v30, 0 :: v_dual_mov_b32 v29, 0
	v_dual_mov_b32 v28, 0 :: v_dual_mov_b32 v27, 0
	;; [unrolled: 1-line block ×3, first 2 shown]
	s_wait_xcnt 0x0
	v_dual_mov_b32 v24, 0 :: v_dual_mov_b32 v2, 0
.LBB58_7:                               ;   in Loop: Header=BB58_3 Depth=1
	s_wait_loadcnt 0x0
	v_add_nc_u64_e32 v[14:15], s[6:7], v[14:15]
	v_dual_lshrrev_b32 v36, 16, v30 :: v_dual_lshrrev_b32 v35, 16, v29
	v_dual_lshrrev_b32 v34, 16, v28 :: v_dual_lshrrev_b32 v33, 16, v27
	;; [unrolled: 1-line block ×3, first 2 shown]
	s_delay_alu instid0(VALU_DEP_4) | instskip(SKIP_2) | instid1(VALU_DEP_2)
	v_lshl_add_u64 v[14:15], v[0:1], 1, v[14:15]
	v_dual_lshrrev_b32 v19, 16, v24 :: v_dual_lshrrev_b32 v18, 16, v2
	s_and_not1_b32 vcc_lo, exec_lo, s1
	v_add_nc_u64_e32 v[16:17], v[14:15], v[10:11]
	v_add_nc_u64_e32 v[14:15], s[8:9], v[14:15]
	s_cbranch_vccnz .LBB58_9
; %bb.8:                                ;   in Loop: Header=BB58_3 Depth=1
	v_mul_f16_e32 v37, s30, v36
	v_mul_f16_e32 v40, s30, v30
	s_delay_alu instid0(VALU_DEP_3)
	v_add_nc_u64_e32 v[38:39], s[8:9], v[14:15]
	v_mul_f16_e32 v41, s30, v35
	v_mul_f16_e32 v42, s30, v29
	s_clause 0x3
	flat_store_b16 v[16:17], v37
	flat_store_b16 v[16:17], v40 offset:32
	flat_store_b16 v[16:17], v41 offset:64
	;; [unrolled: 1-line block ×3, first 2 shown]
	s_wait_xcnt 0x1
	v_add_nc_u64_e32 v[40:41], v[14:15], v[10:11]
	v_mul_f16_e32 v37, s30, v34
	v_mul_f16_e32 v44, s30, v28
	s_wait_xcnt 0x0
	v_add_nc_u64_e32 v[42:43], v[38:39], v[10:11]
	v_add_nc_u64_e32 v[38:39], s[8:9], v[38:39]
	v_mul_f16_e32 v45, s30, v33
	v_mul_f16_e32 v46, s30, v27
	s_clause 0x3
	flat_store_b16 v[40:41], v37
	flat_store_b16 v[40:41], v44 offset:32
	flat_store_b16 v[40:41], v45 offset:64
	;; [unrolled: 1-line block ×3, first 2 shown]
	s_wait_xcnt 0x3
	v_mul_f16_e32 v37, s30, v32
	s_wait_xcnt 0x0
	v_mul_f16_e32 v40, s30, v26
	v_mul_f16_e32 v41, s30, v31
	;; [unrolled: 1-line block ×3, first 2 shown]
	v_add_nc_u64_e32 v[38:39], v[38:39], v[10:11]
	s_clause 0x3
	flat_store_b16 v[42:43], v37
	flat_store_b16 v[42:43], v40 offset:32
	flat_store_b16 v[42:43], v41 offset:64
	;; [unrolled: 1-line block ×3, first 2 shown]
	s_wait_xcnt 0x3
	v_mul_f16_e32 v37, s30, v19
	s_wait_xcnt 0x2
	v_mul_f16_e32 v40, s30, v24
	;; [unrolled: 2-line block ×4, first 2 shown]
	s_clause 0x3
	flat_store_b16 v[38:39], v37
	flat_store_b16 v[38:39], v40 offset:32
	flat_store_b16 v[38:39], v41 offset:64
	flat_store_b16 v[38:39], v42 offset:96
	s_cbranch_execnz .LBB58_2
	s_branch .LBB58_10
.LBB58_9:                               ;   in Loop: Header=BB58_3 Depth=1
.LBB58_10:                              ;   in Loop: Header=BB58_3 Depth=1
	v_add_nc_u64_e32 v[12:13], s[14:15], v[12:13]
	s_delay_alu instid0(VALU_DEP_1) | instskip(SKIP_1) | instid1(VALU_DEP_1)
	v_lshl_add_u64 v[12:13], v[4:5], 1, v[12:13]
	s_wait_xcnt 0x0
	v_add_nc_u64_e32 v[38:39], v[12:13], v[10:11]
	v_add_nc_u64_e32 v[12:13], s[16:17], v[12:13]
	flat_load_u16 v37, v[38:39]
	s_wait_loadcnt_dscnt 0x0
	v_mul_f16_e32 v37, s33, v37
	s_delay_alu instid0(VALU_DEP_1) | instskip(SKIP_4) | instid1(VALU_DEP_1)
	v_fmac_f16_e32 v37, s30, v36
	flat_store_b16 v[16:17], v37
	flat_load_u16 v36, v[38:39] offset:32
	s_wait_loadcnt_dscnt 0x0
	v_mul_f16_e32 v36, s33, v36
	v_fmac_f16_e32 v36, s30, v30
	flat_store_b16 v[16:17], v36 offset:32
	flat_load_u16 v30, v[38:39] offset:64
	s_wait_xcnt 0x1
	v_add_nc_u64_e32 v[36:37], v[12:13], v[10:11]
	v_add_nc_u64_e32 v[12:13], s[16:17], v[12:13]
	s_wait_loadcnt_dscnt 0x0
	v_mul_f16_e32 v30, s33, v30
	s_delay_alu instid0(VALU_DEP_1) | instskip(SKIP_4) | instid1(VALU_DEP_1)
	v_fmac_f16_e32 v30, s30, v35
	flat_store_b16 v[16:17], v30 offset:64
	flat_load_u16 v30, v[38:39] offset:96
	s_wait_loadcnt_dscnt 0x0
	v_mul_f16_e32 v30, s33, v30
	v_fmac_f16_e32 v30, s30, v29
	flat_store_b16 v[16:17], v30 offset:96
	flat_load_u16 v16, v[36:37]
	s_wait_loadcnt_dscnt 0x0
	v_mul_f16_e32 v29, s33, v16
	v_add_nc_u64_e32 v[16:17], v[14:15], v[10:11]
	v_add_nc_u64_e32 v[14:15], s[8:9], v[14:15]
	s_delay_alu instid0(VALU_DEP_3) | instskip(SKIP_4) | instid1(VALU_DEP_1)
	v_fmac_f16_e32 v29, s30, v34
	flat_store_b16 v[16:17], v29
	flat_load_u16 v29, v[36:37] offset:32
	s_wait_loadcnt_dscnt 0x0
	v_mul_f16_e32 v29, s33, v29
	v_fmac_f16_e32 v29, s30, v28
	flat_store_b16 v[16:17], v29 offset:32
	flat_load_u16 v28, v[36:37] offset:64
	s_wait_loadcnt_dscnt 0x0
	v_mul_f16_e32 v28, s33, v28
	s_delay_alu instid0(VALU_DEP_1)
	v_fmac_f16_e32 v28, s30, v33
	flat_store_b16 v[16:17], v28 offset:64
	flat_load_u16 v28, v[36:37] offset:96
	s_wait_loadcnt_dscnt 0x0
	v_mul_f16_e32 v30, s33, v28
	v_add_nc_u64_e32 v[28:29], v[12:13], v[10:11]
	v_add_nc_u64_e32 v[12:13], s[16:17], v[12:13]
	s_delay_alu instid0(VALU_DEP_3) | instskip(NEXT) | instid1(VALU_DEP_2)
	v_fmac_f16_e32 v30, s30, v27
	v_add_nc_u64_e32 v[12:13], v[12:13], v[10:11]
	flat_store_b16 v[16:17], v30 offset:96
	flat_load_u16 v16, v[28:29]
	s_wait_loadcnt_dscnt 0x0
	v_mul_f16_e32 v27, s33, v16
	v_add_nc_u64_e32 v[16:17], v[14:15], v[10:11]
	v_add_nc_u64_e32 v[14:15], s[8:9], v[14:15]
	s_delay_alu instid0(VALU_DEP_3) | instskip(NEXT) | instid1(VALU_DEP_2)
	v_fmac_f16_e32 v27, s30, v32
	v_add_nc_u64_e32 v[14:15], v[14:15], v[10:11]
	flat_store_b16 v[16:17], v27
	flat_load_u16 v27, v[28:29] offset:32
	s_wait_loadcnt_dscnt 0x0
	v_mul_f16_e32 v27, s33, v27
	s_delay_alu instid0(VALU_DEP_1) | instskip(SKIP_4) | instid1(VALU_DEP_1)
	v_fmac_f16_e32 v27, s30, v26
	flat_store_b16 v[16:17], v27 offset:32
	flat_load_u16 v26, v[28:29] offset:64
	s_wait_loadcnt_dscnt 0x0
	v_mul_f16_e32 v26, s33, v26
	v_fmac_f16_e32 v26, s30, v31
	flat_store_b16 v[16:17], v26 offset:64
	flat_load_u16 v26, v[28:29] offset:96
	s_wait_loadcnt_dscnt 0x0
	v_mul_f16_e32 v26, s33, v26
	s_delay_alu instid0(VALU_DEP_1) | instskip(SKIP_4) | instid1(VALU_DEP_1)
	v_fmac_f16_e32 v26, s30, v25
	flat_store_b16 v[16:17], v26 offset:96
	flat_load_u16 v16, v[12:13]
	s_wait_loadcnt_dscnt 0x0
	v_mul_f16_e32 v16, s33, v16
	v_fmac_f16_e32 v16, s30, v19
	flat_store_b16 v[14:15], v16
	flat_load_u16 v16, v[12:13] offset:32
	s_wait_loadcnt_dscnt 0x0
	v_mul_f16_e32 v16, s33, v16
	s_delay_alu instid0(VALU_DEP_1) | instskip(SKIP_4) | instid1(VALU_DEP_1)
	v_fmac_f16_e32 v16, s30, v24
	flat_store_b16 v[14:15], v16 offset:32
	flat_load_u16 v16, v[12:13] offset:64
	s_wait_loadcnt_dscnt 0x0
	v_mul_f16_e32 v16, s33, v16
	v_fmac_f16_e32 v16, s30, v18
	flat_store_b16 v[14:15], v16 offset:64
	flat_load_u16 v12, v[12:13] offset:96
	s_wait_loadcnt_dscnt 0x0
	s_wait_xcnt 0x0
	v_mul_f16_e32 v12, s33, v12
	s_delay_alu instid0(VALU_DEP_1)
	v_fmac_f16_e32 v12, s30, v2
	flat_store_b16 v[14:15], v12 offset:96
	s_branch .LBB58_2
.LBB58_11:
	s_endpgm
	.section	.rodata,"a",@progbits
	.p2align	6, 0x0
	.amdhsa_kernel _ZN12_GLOBAL__N_127rocblas_gemm_batched_kernelIDF16_Li16ELi16ELi64ELi64ELi4ELi64ELi4ELi4ELi64ELc84ELc78EKPKDF16_S3_KPDF16_EEvlllT_PT11_llS8_llS6_PT12_llPT13_lli
		.amdhsa_group_segment_fixed_size 1024
		.amdhsa_private_segment_fixed_size 0
		.amdhsa_kernarg_size 140
		.amdhsa_user_sgpr_count 2
		.amdhsa_user_sgpr_dispatch_ptr 0
		.amdhsa_user_sgpr_queue_ptr 0
		.amdhsa_user_sgpr_kernarg_segment_ptr 1
		.amdhsa_user_sgpr_dispatch_id 0
		.amdhsa_user_sgpr_kernarg_preload_length 0
		.amdhsa_user_sgpr_kernarg_preload_offset 0
		.amdhsa_user_sgpr_private_segment_size 0
		.amdhsa_wavefront_size32 1
		.amdhsa_uses_dynamic_stack 0
		.amdhsa_enable_private_segment 0
		.amdhsa_system_sgpr_workgroup_id_x 1
		.amdhsa_system_sgpr_workgroup_id_y 1
		.amdhsa_system_sgpr_workgroup_id_z 1
		.amdhsa_system_sgpr_workgroup_info 0
		.amdhsa_system_vgpr_workitem_id 1
		.amdhsa_next_free_vgpr 55
		.amdhsa_next_free_sgpr 36
		.amdhsa_named_barrier_count 0
		.amdhsa_reserve_vcc 1
		.amdhsa_float_round_mode_32 0
		.amdhsa_float_round_mode_16_64 0
		.amdhsa_float_denorm_mode_32 3
		.amdhsa_float_denorm_mode_16_64 3
		.amdhsa_fp16_overflow 0
		.amdhsa_memory_ordered 1
		.amdhsa_forward_progress 1
		.amdhsa_inst_pref_size 19
		.amdhsa_round_robin_scheduling 0
		.amdhsa_exception_fp_ieee_invalid_op 0
		.amdhsa_exception_fp_denorm_src 0
		.amdhsa_exception_fp_ieee_div_zero 0
		.amdhsa_exception_fp_ieee_overflow 0
		.amdhsa_exception_fp_ieee_underflow 0
		.amdhsa_exception_fp_ieee_inexact 0
		.amdhsa_exception_int_div_zero 0
	.end_amdhsa_kernel
	.section	.text._ZN12_GLOBAL__N_127rocblas_gemm_batched_kernelIDF16_Li16ELi16ELi64ELi64ELi4ELi64ELi4ELi4ELi64ELc84ELc78EKPKDF16_S3_KPDF16_EEvlllT_PT11_llS8_llS6_PT12_llPT13_lli,"axG",@progbits,_ZN12_GLOBAL__N_127rocblas_gemm_batched_kernelIDF16_Li16ELi16ELi64ELi64ELi4ELi64ELi4ELi4ELi64ELc84ELc78EKPKDF16_S3_KPDF16_EEvlllT_PT11_llS8_llS6_PT12_llPT13_lli,comdat
.Lfunc_end58:
	.size	_ZN12_GLOBAL__N_127rocblas_gemm_batched_kernelIDF16_Li16ELi16ELi64ELi64ELi4ELi64ELi4ELi4ELi64ELc84ELc78EKPKDF16_S3_KPDF16_EEvlllT_PT11_llS8_llS6_PT12_llPT13_lli, .Lfunc_end58-_ZN12_GLOBAL__N_127rocblas_gemm_batched_kernelIDF16_Li16ELi16ELi64ELi64ELi4ELi64ELi4ELi4ELi64ELc84ELc78EKPKDF16_S3_KPDF16_EEvlllT_PT11_llS8_llS6_PT12_llPT13_lli
                                        ; -- End function
	.set _ZN12_GLOBAL__N_127rocblas_gemm_batched_kernelIDF16_Li16ELi16ELi64ELi64ELi4ELi64ELi4ELi4ELi64ELc84ELc78EKPKDF16_S3_KPDF16_EEvlllT_PT11_llS8_llS6_PT12_llPT13_lli.num_vgpr, 55
	.set _ZN12_GLOBAL__N_127rocblas_gemm_batched_kernelIDF16_Li16ELi16ELi64ELi64ELi4ELi64ELi4ELi4ELi64ELc84ELc78EKPKDF16_S3_KPDF16_EEvlllT_PT11_llS8_llS6_PT12_llPT13_lli.num_agpr, 0
	.set _ZN12_GLOBAL__N_127rocblas_gemm_batched_kernelIDF16_Li16ELi16ELi64ELi64ELi4ELi64ELi4ELi4ELi64ELc84ELc78EKPKDF16_S3_KPDF16_EEvlllT_PT11_llS8_llS6_PT12_llPT13_lli.numbered_sgpr, 36
	.set _ZN12_GLOBAL__N_127rocblas_gemm_batched_kernelIDF16_Li16ELi16ELi64ELi64ELi4ELi64ELi4ELi4ELi64ELc84ELc78EKPKDF16_S3_KPDF16_EEvlllT_PT11_llS8_llS6_PT12_llPT13_lli.num_named_barrier, 0
	.set _ZN12_GLOBAL__N_127rocblas_gemm_batched_kernelIDF16_Li16ELi16ELi64ELi64ELi4ELi64ELi4ELi4ELi64ELc84ELc78EKPKDF16_S3_KPDF16_EEvlllT_PT11_llS8_llS6_PT12_llPT13_lli.private_seg_size, 0
	.set _ZN12_GLOBAL__N_127rocblas_gemm_batched_kernelIDF16_Li16ELi16ELi64ELi64ELi4ELi64ELi4ELi4ELi64ELc84ELc78EKPKDF16_S3_KPDF16_EEvlllT_PT11_llS8_llS6_PT12_llPT13_lli.uses_vcc, 1
	.set _ZN12_GLOBAL__N_127rocblas_gemm_batched_kernelIDF16_Li16ELi16ELi64ELi64ELi4ELi64ELi4ELi4ELi64ELc84ELc78EKPKDF16_S3_KPDF16_EEvlllT_PT11_llS8_llS6_PT12_llPT13_lli.uses_flat_scratch, 1
	.set _ZN12_GLOBAL__N_127rocblas_gemm_batched_kernelIDF16_Li16ELi16ELi64ELi64ELi4ELi64ELi4ELi4ELi64ELc84ELc78EKPKDF16_S3_KPDF16_EEvlllT_PT11_llS8_llS6_PT12_llPT13_lli.has_dyn_sized_stack, 0
	.set _ZN12_GLOBAL__N_127rocblas_gemm_batched_kernelIDF16_Li16ELi16ELi64ELi64ELi4ELi64ELi4ELi4ELi64ELc84ELc78EKPKDF16_S3_KPDF16_EEvlllT_PT11_llS8_llS6_PT12_llPT13_lli.has_recursion, 0
	.set _ZN12_GLOBAL__N_127rocblas_gemm_batched_kernelIDF16_Li16ELi16ELi64ELi64ELi4ELi64ELi4ELi4ELi64ELc84ELc78EKPKDF16_S3_KPDF16_EEvlllT_PT11_llS8_llS6_PT12_llPT13_lli.has_indirect_call, 0
	.section	.AMDGPU.csdata,"",@progbits
; Kernel info:
; codeLenInByte = 2420
; TotalNumSgprs: 38
; NumVgprs: 55
; ScratchSize: 0
; MemoryBound: 0
; FloatMode: 240
; IeeeMode: 1
; LDSByteSize: 1024 bytes/workgroup (compile time only)
; SGPRBlocks: 0
; VGPRBlocks: 3
; NumSGPRsForWavesPerEU: 38
; NumVGPRsForWavesPerEU: 55
; NamedBarCnt: 0
; Occupancy: 16
; WaveLimiterHint : 1
; COMPUTE_PGM_RSRC2:SCRATCH_EN: 0
; COMPUTE_PGM_RSRC2:USER_SGPR: 2
; COMPUTE_PGM_RSRC2:TRAP_HANDLER: 0
; COMPUTE_PGM_RSRC2:TGID_X_EN: 1
; COMPUTE_PGM_RSRC2:TGID_Y_EN: 1
; COMPUTE_PGM_RSRC2:TGID_Z_EN: 1
; COMPUTE_PGM_RSRC2:TIDIG_COMP_CNT: 1
	.section	.text._ZN12_GLOBAL__N_127rocblas_gemm_batched_kernelIDF16_Li16ELi16ELi64ELi64ELi4ELi64ELi4ELi4ELi64ELc78ELc84EKPKDF16_S3_KPDF16_EEvlllT_PT11_llS8_llS6_PT12_llPT13_lli,"axG",@progbits,_ZN12_GLOBAL__N_127rocblas_gemm_batched_kernelIDF16_Li16ELi16ELi64ELi64ELi4ELi64ELi4ELi4ELi64ELc78ELc84EKPKDF16_S3_KPDF16_EEvlllT_PT11_llS8_llS6_PT12_llPT13_lli,comdat
	.globl	_ZN12_GLOBAL__N_127rocblas_gemm_batched_kernelIDF16_Li16ELi16ELi64ELi64ELi4ELi64ELi4ELi4ELi64ELc78ELc84EKPKDF16_S3_KPDF16_EEvlllT_PT11_llS8_llS6_PT12_llPT13_lli ; -- Begin function _ZN12_GLOBAL__N_127rocblas_gemm_batched_kernelIDF16_Li16ELi16ELi64ELi64ELi4ELi64ELi4ELi4ELi64ELc78ELc84EKPKDF16_S3_KPDF16_EEvlllT_PT11_llS8_llS6_PT12_llPT13_lli
	.p2align	8
	.type	_ZN12_GLOBAL__N_127rocblas_gemm_batched_kernelIDF16_Li16ELi16ELi64ELi64ELi4ELi64ELi4ELi4ELi64ELc78ELc84EKPKDF16_S3_KPDF16_EEvlllT_PT11_llS8_llS6_PT12_llPT13_lli,@function
_ZN12_GLOBAL__N_127rocblas_gemm_batched_kernelIDF16_Li16ELi16ELi64ELi64ELi4ELi64ELi4ELi4ELi64ELc78ELc84EKPKDF16_S3_KPDF16_EEvlllT_PT11_llS8_llS6_PT12_llPT13_lli: ; @_ZN12_GLOBAL__N_127rocblas_gemm_batched_kernelIDF16_Li16ELi16ELi64ELi64ELi4ELi64ELi4ELi4ELi64ELc78ELc84EKPKDF16_S3_KPDF16_EEvlllT_PT11_llS8_llS6_PT12_llPT13_lli
; %bb.0:
	s_load_b32 s31, s[0:1], 0x88
	s_bfe_u32 s2, ttmp6, 0x40014
	s_lshr_b32 s3, ttmp7, 16
	s_add_co_i32 s2, s2, 1
	s_bfe_u32 s4, ttmp6, 0x40008
	s_mul_i32 s2, s3, s2
	s_getreg_b32 s28, hwreg(HW_REG_IB_STS2, 6, 4)
	s_add_co_i32 s4, s4, s2
	s_cmp_eq_u32 s28, 0
	s_cselect_b32 s2, s3, s4
	s_mov_b32 s3, 0
	s_wait_kmcnt 0x0
	s_cmp_ge_i32 s2, s31
	s_cbranch_scc1 .LBB59_11
; %bb.1:
	s_clause 0x2
	s_load_b256 s[4:11], s[0:1], 0x20
	s_load_b128 s[24:27], s[0:1], 0x40
	s_load_b32 s33, s[0:1], 0x50
	v_bfe_u32 v2, v0, 10, 10
	v_and_b32_e32 v6, 0x3ff, v0
	s_bfe_u32 s29, ttmp6, 0x4000c
	s_bfe_u32 s34, ttmp6, 0x40010
	s_add_co_i32 s29, s29, 1
	s_and_b32 s35, ttmp7, 0xffff
	s_add_co_i32 s34, s34, 1
	s_and_b32 s30, ttmp6, 15
	s_mul_i32 s29, ttmp9, s29
	s_mul_i32 s34, s35, s34
	s_bfe_u32 s36, ttmp6, 0x40004
	v_lshl_add_u32 v1, v2, 4, v6
	v_dual_mov_b32 v3, 0 :: v_dual_bitop2_b32 v0, 3, v0 bitop3:0x40
	s_clause 0x1
	s_load_b128 s[20:23], s[0:1], 0x78
	s_load_b256 s[12:19], s[0:1], 0x58
	s_add_co_i32 s30, s30, s29
	s_add_co_i32 s36, s36, s34
	s_cmp_eq_u32 s28, 0
	v_dual_mov_b32 v9, v3 :: v_dual_lshrrev_b32 v8, 2, v1
	s_cselect_b32 s28, ttmp9, s30
	v_dual_lshrrev_b32 v16, 6, v1 :: v_dual_bitop2_b32 v14, 63, v1 bitop3:0x40
	s_cselect_b32 s30, s35, s36
	s_ashr_i32 s29, s28, 31
	s_wait_kmcnt 0x0
	v_mad_nc_u64_u32 v[10:11], s24, v0, v[8:9]
	s_lshl_b64 s[34:35], s[28:29], 6
	s_lshl_b32 s36, s30, 6
	v_mad_nc_u64_u32 v[12:13], s6, v16, s[34:35]
	s_mov_b32 s37, s3
	s_load_b96 s[28:30], s[0:1], 0x10
	v_add_nc_u64_e32 v[4:5], s[36:37], v[2:3]
	v_dual_lshlrev_b32 v7, 1, v0 :: v_dual_lshlrev_b32 v17, 1, v14
	v_mov_b32_e32 v15, v3
	s_cmp_eq_f16 s33, 0
	v_mad_u32 v11, s25, v0, v11
	s_delay_alu instid0(VALU_DEP_3)
	v_lshl_or_b32 v18, v8, 3, v7
	v_mul_u64_e32 v[0:1], s[20:21], v[4:5]
	v_mad_u32 v13, s7, v16, v13
	v_mul_u64_e32 v[4:5], s[14:15], v[4:5]
	v_dual_mov_b32 v7, v3 :: v_dual_lshlrev_b32 v22, 1, v6
	v_lshl_or_b32 v20, v16, 7, v17
	v_add_nc_u32_e32 v21, 0x200, v18
	v_lshl_add_u32 v2, v2, 3, 0x200
	s_wait_xcnt 0x0
	s_cselect_b32 s1, -1, 0
	v_add_nc_u64_e32 v[8:9], s[36:37], v[10:11]
	s_lshl_b64 s[20:21], s[20:21], 4
	s_lshl_b64 s[6:7], s[6:7], 3
	v_add_nc_u64_e32 v[10:11], v[12:13], v[14:15]
	s_wait_kmcnt 0x0
	v_cmp_gt_i64_e64 s0, s[28:29], 0
	v_add_nc_u64_e32 v[12:13], s[34:35], v[6:7]
	s_lshl_b64 s[34:35], s[14:15], 4
	v_lshlrev_b64_e32 v[8:9], 1, v[8:9]
	s_lshl_b64 s[14:15], s[24:25], 3
	s_lshl_b64 s[20:21], s[20:21], 1
	v_lshlrev_b64_e32 v[10:11], 1, v[10:11]
	v_cndmask_b32_e64 v14, 0, 1, s0
	s_lshl_b64 s[16:17], s[16:17], 1
	s_delay_alu instid0(VALU_DEP_3) | instskip(NEXT) | instid1(VALU_DEP_2)
	v_lshl_add_u64 v[6:7], s[26:27], 1, v[8:9]
	v_cmp_ne_u32_e64 s0, 1, v14
	s_delay_alu instid0(VALU_DEP_4)
	v_lshl_add_u64 v[8:9], s[8:9], 1, v[10:11]
	v_lshlrev_b64_e32 v[10:11], 1, v[12:13]
	s_lshl_b64 s[8:9], s[22:23], 1
	s_lshl_b64 s[22:23], s[34:35], 1
	s_branch .LBB59_3
.LBB59_2:                               ;   in Loop: Header=BB59_3 Depth=1
	s_add_co_i32 s2, s2, 0x10000
	s_delay_alu instid0(SALU_CYCLE_1)
	s_cmp_lt_i32 s2, s31
	s_cbranch_scc0 .LBB59_11
.LBB59_3:                               ; =>This Loop Header: Depth=1
                                        ;     Child Loop BB59_5 Depth 2
	v_mov_b32_e32 v16, s2
	s_and_b32 vcc_lo, exec_lo, s0
	s_clause 0x1
	global_load_b64 v[12:13], v16, s[12:13] scale_offset
	global_load_b64 v[14:15], v16, s[18:19] scale_offset
	s_cbranch_vccnz .LBB59_6
; %bb.4:                                ;   in Loop: Header=BB59_3 Depth=1
	s_lshl_b64 s[24:25], s[2:3], 3
	v_dual_mov_b32 v23, 0 :: v_dual_mov_b32 v24, 0
	s_add_nc_u64 s[26:27], s[10:11], s[24:25]
	s_add_nc_u64 s[24:25], s[4:5], s[24:25]
	s_clause 0x1
	global_load_b64 v[16:17], v3, s[26:27]
	global_load_b64 v[18:19], v3, s[24:25]
	v_dual_mov_b32 v25, 0 :: v_dual_mov_b32 v26, 0
	v_dual_mov_b32 v27, 0 :: v_dual_mov_b32 v28, 0
	;; [unrolled: 1-line block ×3, first 2 shown]
	s_wait_xcnt 0x0
	s_mov_b64 s[24:25], 0
	s_wait_loadcnt 0x1
	v_add_nc_u64_e32 v[16:17], v[16:17], v[6:7]
	s_wait_loadcnt 0x0
	v_add_nc_u64_e32 v[18:19], v[18:19], v[8:9]
.LBB59_5:                               ;   Parent Loop BB59_3 Depth=1
                                        ; =>  This Inner Loop Header: Depth=2
	flat_load_u16 v31, v[18:19]
	s_add_nc_u64 s[24:25], s[24:25], 4
	s_wait_xcnt 0x0
	v_add_nc_u64_e32 v[18:19], s[6:7], v[18:19]
	v_cmp_lt_i64_e64 s26, s[24:25], s[28:29]
	s_and_b32 vcc_lo, exec_lo, s26
	s_wait_loadcnt_dscnt 0x0
	ds_store_b16 v20, v31
	flat_load_u16 v31, v[16:17]
	s_wait_xcnt 0x0
	v_add_nc_u64_e32 v[16:17], s[14:15], v[16:17]
	s_wait_loadcnt_dscnt 0x0
	ds_store_b16 v21, v31
	s_wait_dscnt 0x0
	s_barrier_signal -1
	s_barrier_wait -1
	ds_load_u16 v31, v22
	ds_load_u16 v40, v22 offset:32
	ds_load_u16 v41, v22 offset:64
	ds_load_u16 v42, v22 offset:96
	ds_load_u16 v43, v22 offset:128
	ds_load_u16 v44, v22 offset:160
	ds_load_u16 v45, v22 offset:192
	ds_load_u16 v46, v22 offset:224
	ds_load_u16 v47, v22 offset:256
	ds_load_u16 v48, v22 offset:288
	ds_load_u16 v49, v22 offset:384
	ds_load_u16 v50, v22 offset:416
	ds_load_u16 v51, v22 offset:320
	ds_load_u16 v52, v22 offset:352
	ds_load_u16 v53, v22 offset:448
	ds_load_u16 v54, v22 offset:480
	ds_load_2addr_b64 v[32:35], v2 offset1:16
	ds_load_2addr_b64 v[36:39], v2 offset0:32 offset1:48
	s_wait_dscnt 0x0
	s_barrier_signal -1
	s_barrier_wait -1
	v_perm_b32 v31, v31, v40, 0x5040100
	v_perm_b32 v41, v41, v42, 0x5040100
	;; [unrolled: 1-line block ×8, first 2 shown]
	v_pk_fma_f16 v30, v31, v32, v30 op_sel_hi:[1,0,1]
	v_pk_fma_f16 v29, v41, v32, v29 op_sel_hi:[1,0,1]
	;; [unrolled: 1-line block ×8, first 2 shown]
	v_pk_fma_f16 v30, v40, v32, v30 op_sel:[0,1,0]
	v_pk_fma_f16 v29, v42, v32, v29 op_sel:[0,1,0]
	;; [unrolled: 1-line block ×8, first 2 shown]
	v_pk_fma_f16 v30, v43, v33, v30 op_sel_hi:[1,0,1]
	v_pk_fma_f16 v29, v45, v33, v29 op_sel_hi:[1,0,1]
	;; [unrolled: 1-line block ×8, first 2 shown]
	v_pk_fma_f16 v30, v44, v33, v30 op_sel:[0,1,0]
	v_pk_fma_f16 v29, v46, v33, v29 op_sel:[0,1,0]
	;; [unrolled: 1-line block ×8, first 2 shown]
	s_cbranch_vccnz .LBB59_5
	s_branch .LBB59_7
.LBB59_6:                               ;   in Loop: Header=BB59_3 Depth=1
	v_dual_mov_b32 v30, 0 :: v_dual_mov_b32 v29, 0
	v_dual_mov_b32 v28, 0 :: v_dual_mov_b32 v27, 0
	;; [unrolled: 1-line block ×4, first 2 shown]
.LBB59_7:                               ;   in Loop: Header=BB59_3 Depth=1
	s_wait_loadcnt 0x0
	v_add_nc_u64_e32 v[14:15], s[8:9], v[14:15]
	v_dual_lshrrev_b32 v36, 16, v30 :: v_dual_lshrrev_b32 v35, 16, v29
	v_dual_lshrrev_b32 v34, 16, v28 :: v_dual_lshrrev_b32 v33, 16, v27
	;; [unrolled: 1-line block ×3, first 2 shown]
	s_delay_alu instid0(VALU_DEP_4) | instskip(SKIP_3) | instid1(VALU_DEP_2)
	v_lshl_add_u64 v[14:15], v[0:1], 1, v[14:15]
	v_dual_lshrrev_b32 v19, 16, v24 :: v_dual_lshrrev_b32 v18, 16, v23
	s_and_not1_b32 vcc_lo, exec_lo, s1
	s_wait_xcnt 0x0
	v_add_nc_u64_e32 v[16:17], v[14:15], v[10:11]
	v_add_nc_u64_e32 v[14:15], s[20:21], v[14:15]
	s_cbranch_vccnz .LBB59_9
; %bb.8:                                ;   in Loop: Header=BB59_3 Depth=1
	v_mul_f16_e32 v37, s30, v36
	v_mul_f16_e32 v40, s30, v30
	s_delay_alu instid0(VALU_DEP_3)
	v_add_nc_u64_e32 v[38:39], s[20:21], v[14:15]
	v_mul_f16_e32 v41, s30, v35
	v_mul_f16_e32 v42, s30, v29
	s_clause 0x3
	flat_store_b16 v[16:17], v37
	flat_store_b16 v[16:17], v40 offset:32
	flat_store_b16 v[16:17], v41 offset:64
	;; [unrolled: 1-line block ×3, first 2 shown]
	s_wait_xcnt 0x1
	v_add_nc_u64_e32 v[40:41], v[14:15], v[10:11]
	v_mul_f16_e32 v37, s30, v34
	v_mul_f16_e32 v44, s30, v28
	s_wait_xcnt 0x0
	v_add_nc_u64_e32 v[42:43], v[38:39], v[10:11]
	v_add_nc_u64_e32 v[38:39], s[20:21], v[38:39]
	v_mul_f16_e32 v45, s30, v33
	v_mul_f16_e32 v46, s30, v27
	s_clause 0x3
	flat_store_b16 v[40:41], v37
	flat_store_b16 v[40:41], v44 offset:32
	flat_store_b16 v[40:41], v45 offset:64
	;; [unrolled: 1-line block ×3, first 2 shown]
	s_wait_xcnt 0x3
	v_mul_f16_e32 v37, s30, v32
	s_wait_xcnt 0x0
	v_mul_f16_e32 v40, s30, v26
	v_mul_f16_e32 v41, s30, v31
	;; [unrolled: 1-line block ×3, first 2 shown]
	v_add_nc_u64_e32 v[38:39], v[38:39], v[10:11]
	s_clause 0x3
	flat_store_b16 v[42:43], v37
	flat_store_b16 v[42:43], v40 offset:32
	flat_store_b16 v[42:43], v41 offset:64
	;; [unrolled: 1-line block ×3, first 2 shown]
	s_wait_xcnt 0x3
	v_mul_f16_e32 v37, s30, v19
	s_wait_xcnt 0x2
	v_mul_f16_e32 v40, s30, v24
	;; [unrolled: 2-line block ×4, first 2 shown]
	s_clause 0x3
	flat_store_b16 v[38:39], v37
	flat_store_b16 v[38:39], v40 offset:32
	flat_store_b16 v[38:39], v41 offset:64
	;; [unrolled: 1-line block ×3, first 2 shown]
	s_cbranch_execnz .LBB59_2
	s_branch .LBB59_10
.LBB59_9:                               ;   in Loop: Header=BB59_3 Depth=1
.LBB59_10:                              ;   in Loop: Header=BB59_3 Depth=1
	v_add_nc_u64_e32 v[12:13], s[16:17], v[12:13]
	s_delay_alu instid0(VALU_DEP_1) | instskip(SKIP_1) | instid1(VALU_DEP_1)
	v_lshl_add_u64 v[12:13], v[4:5], 1, v[12:13]
	s_wait_xcnt 0x0
	v_add_nc_u64_e32 v[38:39], v[12:13], v[10:11]
	v_add_nc_u64_e32 v[12:13], s[22:23], v[12:13]
	flat_load_u16 v37, v[38:39]
	s_wait_loadcnt_dscnt 0x0
	v_mul_f16_e32 v37, s33, v37
	s_delay_alu instid0(VALU_DEP_1) | instskip(SKIP_4) | instid1(VALU_DEP_1)
	v_fmac_f16_e32 v37, s30, v36
	flat_store_b16 v[16:17], v37
	flat_load_u16 v36, v[38:39] offset:32
	s_wait_loadcnt_dscnt 0x0
	v_mul_f16_e32 v36, s33, v36
	v_fmac_f16_e32 v36, s30, v30
	flat_store_b16 v[16:17], v36 offset:32
	flat_load_u16 v30, v[38:39] offset:64
	s_wait_xcnt 0x1
	v_add_nc_u64_e32 v[36:37], v[12:13], v[10:11]
	v_add_nc_u64_e32 v[12:13], s[22:23], v[12:13]
	s_wait_loadcnt_dscnt 0x0
	v_mul_f16_e32 v30, s33, v30
	s_delay_alu instid0(VALU_DEP_1) | instskip(SKIP_4) | instid1(VALU_DEP_1)
	v_fmac_f16_e32 v30, s30, v35
	flat_store_b16 v[16:17], v30 offset:64
	flat_load_u16 v30, v[38:39] offset:96
	s_wait_loadcnt_dscnt 0x0
	v_mul_f16_e32 v30, s33, v30
	v_fmac_f16_e32 v30, s30, v29
	flat_store_b16 v[16:17], v30 offset:96
	flat_load_u16 v16, v[36:37]
	s_wait_loadcnt_dscnt 0x0
	v_mul_f16_e32 v29, s33, v16
	v_add_nc_u64_e32 v[16:17], v[14:15], v[10:11]
	v_add_nc_u64_e32 v[14:15], s[20:21], v[14:15]
	s_delay_alu instid0(VALU_DEP_3) | instskip(SKIP_4) | instid1(VALU_DEP_1)
	v_fmac_f16_e32 v29, s30, v34
	flat_store_b16 v[16:17], v29
	flat_load_u16 v29, v[36:37] offset:32
	s_wait_loadcnt_dscnt 0x0
	v_mul_f16_e32 v29, s33, v29
	v_fmac_f16_e32 v29, s30, v28
	flat_store_b16 v[16:17], v29 offset:32
	flat_load_u16 v28, v[36:37] offset:64
	s_wait_loadcnt_dscnt 0x0
	v_mul_f16_e32 v28, s33, v28
	s_delay_alu instid0(VALU_DEP_1)
	v_fmac_f16_e32 v28, s30, v33
	flat_store_b16 v[16:17], v28 offset:64
	flat_load_u16 v28, v[36:37] offset:96
	s_wait_loadcnt_dscnt 0x0
	v_mul_f16_e32 v30, s33, v28
	v_add_nc_u64_e32 v[28:29], v[12:13], v[10:11]
	v_add_nc_u64_e32 v[12:13], s[22:23], v[12:13]
	s_delay_alu instid0(VALU_DEP_3) | instskip(NEXT) | instid1(VALU_DEP_2)
	v_fmac_f16_e32 v30, s30, v27
	v_add_nc_u64_e32 v[12:13], v[12:13], v[10:11]
	flat_store_b16 v[16:17], v30 offset:96
	flat_load_u16 v16, v[28:29]
	s_wait_loadcnt_dscnt 0x0
	v_mul_f16_e32 v27, s33, v16
	v_add_nc_u64_e32 v[16:17], v[14:15], v[10:11]
	v_add_nc_u64_e32 v[14:15], s[20:21], v[14:15]
	s_delay_alu instid0(VALU_DEP_3) | instskip(NEXT) | instid1(VALU_DEP_2)
	v_fmac_f16_e32 v27, s30, v32
	v_add_nc_u64_e32 v[14:15], v[14:15], v[10:11]
	flat_store_b16 v[16:17], v27
	flat_load_u16 v27, v[28:29] offset:32
	s_wait_loadcnt_dscnt 0x0
	v_mul_f16_e32 v27, s33, v27
	s_delay_alu instid0(VALU_DEP_1) | instskip(SKIP_4) | instid1(VALU_DEP_1)
	v_fmac_f16_e32 v27, s30, v26
	flat_store_b16 v[16:17], v27 offset:32
	flat_load_u16 v26, v[28:29] offset:64
	s_wait_loadcnt_dscnt 0x0
	v_mul_f16_e32 v26, s33, v26
	v_fmac_f16_e32 v26, s30, v31
	flat_store_b16 v[16:17], v26 offset:64
	flat_load_u16 v26, v[28:29] offset:96
	s_wait_loadcnt_dscnt 0x0
	v_mul_f16_e32 v26, s33, v26
	s_delay_alu instid0(VALU_DEP_1) | instskip(SKIP_4) | instid1(VALU_DEP_1)
	v_fmac_f16_e32 v26, s30, v25
	flat_store_b16 v[16:17], v26 offset:96
	flat_load_u16 v16, v[12:13]
	s_wait_loadcnt_dscnt 0x0
	v_mul_f16_e32 v16, s33, v16
	v_fmac_f16_e32 v16, s30, v19
	flat_store_b16 v[14:15], v16
	flat_load_u16 v16, v[12:13] offset:32
	s_wait_loadcnt_dscnt 0x0
	v_mul_f16_e32 v16, s33, v16
	s_delay_alu instid0(VALU_DEP_1) | instskip(SKIP_4) | instid1(VALU_DEP_1)
	v_fmac_f16_e32 v16, s30, v24
	flat_store_b16 v[14:15], v16 offset:32
	flat_load_u16 v16, v[12:13] offset:64
	s_wait_loadcnt_dscnt 0x0
	v_mul_f16_e32 v16, s33, v16
	v_fmac_f16_e32 v16, s30, v18
	flat_store_b16 v[14:15], v16 offset:64
	flat_load_u16 v12, v[12:13] offset:96
	s_wait_loadcnt_dscnt 0x0
	s_wait_xcnt 0x0
	v_mul_f16_e32 v12, s33, v12
	s_delay_alu instid0(VALU_DEP_1)
	v_fmac_f16_e32 v12, s30, v23
	flat_store_b16 v[14:15], v12 offset:96
	s_branch .LBB59_2
.LBB59_11:
	s_endpgm
	.section	.rodata,"a",@progbits
	.p2align	6, 0x0
	.amdhsa_kernel _ZN12_GLOBAL__N_127rocblas_gemm_batched_kernelIDF16_Li16ELi16ELi64ELi64ELi4ELi64ELi4ELi4ELi64ELc78ELc84EKPKDF16_S3_KPDF16_EEvlllT_PT11_llS8_llS6_PT12_llPT13_lli
		.amdhsa_group_segment_fixed_size 1024
		.amdhsa_private_segment_fixed_size 0
		.amdhsa_kernarg_size 140
		.amdhsa_user_sgpr_count 2
		.amdhsa_user_sgpr_dispatch_ptr 0
		.amdhsa_user_sgpr_queue_ptr 0
		.amdhsa_user_sgpr_kernarg_segment_ptr 1
		.amdhsa_user_sgpr_dispatch_id 0
		.amdhsa_user_sgpr_kernarg_preload_length 0
		.amdhsa_user_sgpr_kernarg_preload_offset 0
		.amdhsa_user_sgpr_private_segment_size 0
		.amdhsa_wavefront_size32 1
		.amdhsa_uses_dynamic_stack 0
		.amdhsa_enable_private_segment 0
		.amdhsa_system_sgpr_workgroup_id_x 1
		.amdhsa_system_sgpr_workgroup_id_y 1
		.amdhsa_system_sgpr_workgroup_id_z 1
		.amdhsa_system_sgpr_workgroup_info 0
		.amdhsa_system_vgpr_workitem_id 1
		.amdhsa_next_free_vgpr 55
		.amdhsa_next_free_sgpr 38
		.amdhsa_named_barrier_count 0
		.amdhsa_reserve_vcc 1
		.amdhsa_float_round_mode_32 0
		.amdhsa_float_round_mode_16_64 0
		.amdhsa_float_denorm_mode_32 3
		.amdhsa_float_denorm_mode_16_64 3
		.amdhsa_fp16_overflow 0
		.amdhsa_memory_ordered 1
		.amdhsa_forward_progress 1
		.amdhsa_inst_pref_size 19
		.amdhsa_round_robin_scheduling 0
		.amdhsa_exception_fp_ieee_invalid_op 0
		.amdhsa_exception_fp_denorm_src 0
		.amdhsa_exception_fp_ieee_div_zero 0
		.amdhsa_exception_fp_ieee_overflow 0
		.amdhsa_exception_fp_ieee_underflow 0
		.amdhsa_exception_fp_ieee_inexact 0
		.amdhsa_exception_int_div_zero 0
	.end_amdhsa_kernel
	.section	.text._ZN12_GLOBAL__N_127rocblas_gemm_batched_kernelIDF16_Li16ELi16ELi64ELi64ELi4ELi64ELi4ELi4ELi64ELc78ELc84EKPKDF16_S3_KPDF16_EEvlllT_PT11_llS8_llS6_PT12_llPT13_lli,"axG",@progbits,_ZN12_GLOBAL__N_127rocblas_gemm_batched_kernelIDF16_Li16ELi16ELi64ELi64ELi4ELi64ELi4ELi4ELi64ELc78ELc84EKPKDF16_S3_KPDF16_EEvlllT_PT11_llS8_llS6_PT12_llPT13_lli,comdat
.Lfunc_end59:
	.size	_ZN12_GLOBAL__N_127rocblas_gemm_batched_kernelIDF16_Li16ELi16ELi64ELi64ELi4ELi64ELi4ELi4ELi64ELc78ELc84EKPKDF16_S3_KPDF16_EEvlllT_PT11_llS8_llS6_PT12_llPT13_lli, .Lfunc_end59-_ZN12_GLOBAL__N_127rocblas_gemm_batched_kernelIDF16_Li16ELi16ELi64ELi64ELi4ELi64ELi4ELi4ELi64ELc78ELc84EKPKDF16_S3_KPDF16_EEvlllT_PT11_llS8_llS6_PT12_llPT13_lli
                                        ; -- End function
	.set _ZN12_GLOBAL__N_127rocblas_gemm_batched_kernelIDF16_Li16ELi16ELi64ELi64ELi4ELi64ELi4ELi4ELi64ELc78ELc84EKPKDF16_S3_KPDF16_EEvlllT_PT11_llS8_llS6_PT12_llPT13_lli.num_vgpr, 55
	.set _ZN12_GLOBAL__N_127rocblas_gemm_batched_kernelIDF16_Li16ELi16ELi64ELi64ELi4ELi64ELi4ELi4ELi64ELc78ELc84EKPKDF16_S3_KPDF16_EEvlllT_PT11_llS8_llS6_PT12_llPT13_lli.num_agpr, 0
	.set _ZN12_GLOBAL__N_127rocblas_gemm_batched_kernelIDF16_Li16ELi16ELi64ELi64ELi4ELi64ELi4ELi4ELi64ELc78ELc84EKPKDF16_S3_KPDF16_EEvlllT_PT11_llS8_llS6_PT12_llPT13_lli.numbered_sgpr, 38
	.set _ZN12_GLOBAL__N_127rocblas_gemm_batched_kernelIDF16_Li16ELi16ELi64ELi64ELi4ELi64ELi4ELi4ELi64ELc78ELc84EKPKDF16_S3_KPDF16_EEvlllT_PT11_llS8_llS6_PT12_llPT13_lli.num_named_barrier, 0
	.set _ZN12_GLOBAL__N_127rocblas_gemm_batched_kernelIDF16_Li16ELi16ELi64ELi64ELi4ELi64ELi4ELi4ELi64ELc78ELc84EKPKDF16_S3_KPDF16_EEvlllT_PT11_llS8_llS6_PT12_llPT13_lli.private_seg_size, 0
	.set _ZN12_GLOBAL__N_127rocblas_gemm_batched_kernelIDF16_Li16ELi16ELi64ELi64ELi4ELi64ELi4ELi4ELi64ELc78ELc84EKPKDF16_S3_KPDF16_EEvlllT_PT11_llS8_llS6_PT12_llPT13_lli.uses_vcc, 1
	.set _ZN12_GLOBAL__N_127rocblas_gemm_batched_kernelIDF16_Li16ELi16ELi64ELi64ELi4ELi64ELi4ELi4ELi64ELc78ELc84EKPKDF16_S3_KPDF16_EEvlllT_PT11_llS8_llS6_PT12_llPT13_lli.uses_flat_scratch, 1
	.set _ZN12_GLOBAL__N_127rocblas_gemm_batched_kernelIDF16_Li16ELi16ELi64ELi64ELi4ELi64ELi4ELi4ELi64ELc78ELc84EKPKDF16_S3_KPDF16_EEvlllT_PT11_llS8_llS6_PT12_llPT13_lli.has_dyn_sized_stack, 0
	.set _ZN12_GLOBAL__N_127rocblas_gemm_batched_kernelIDF16_Li16ELi16ELi64ELi64ELi4ELi64ELi4ELi4ELi64ELc78ELc84EKPKDF16_S3_KPDF16_EEvlllT_PT11_llS8_llS6_PT12_llPT13_lli.has_recursion, 0
	.set _ZN12_GLOBAL__N_127rocblas_gemm_batched_kernelIDF16_Li16ELi16ELi64ELi64ELi4ELi64ELi4ELi4ELi64ELc78ELc84EKPKDF16_S3_KPDF16_EEvlllT_PT11_llS8_llS6_PT12_llPT13_lli.has_indirect_call, 0
	.section	.AMDGPU.csdata,"",@progbits
; Kernel info:
; codeLenInByte = 2424
; TotalNumSgprs: 40
; NumVgprs: 55
; ScratchSize: 0
; MemoryBound: 0
; FloatMode: 240
; IeeeMode: 1
; LDSByteSize: 1024 bytes/workgroup (compile time only)
; SGPRBlocks: 0
; VGPRBlocks: 3
; NumSGPRsForWavesPerEU: 40
; NumVGPRsForWavesPerEU: 55
; NamedBarCnt: 0
; Occupancy: 16
; WaveLimiterHint : 1
; COMPUTE_PGM_RSRC2:SCRATCH_EN: 0
; COMPUTE_PGM_RSRC2:USER_SGPR: 2
; COMPUTE_PGM_RSRC2:TRAP_HANDLER: 0
; COMPUTE_PGM_RSRC2:TGID_X_EN: 1
; COMPUTE_PGM_RSRC2:TGID_Y_EN: 1
; COMPUTE_PGM_RSRC2:TGID_Z_EN: 1
; COMPUTE_PGM_RSRC2:TIDIG_COMP_CNT: 1
	.section	.text._ZN12_GLOBAL__N_127rocblas_gemm_batched_kernelIDF16_Li16ELi16ELi64ELi64ELi4ELi64ELi4ELi4ELi64ELc84ELc84EKPKDF16_S3_KPDF16_EEvlllT_PT11_llS8_llS6_PT12_llPT13_lli,"axG",@progbits,_ZN12_GLOBAL__N_127rocblas_gemm_batched_kernelIDF16_Li16ELi16ELi64ELi64ELi4ELi64ELi4ELi4ELi64ELc84ELc84EKPKDF16_S3_KPDF16_EEvlllT_PT11_llS8_llS6_PT12_llPT13_lli,comdat
	.globl	_ZN12_GLOBAL__N_127rocblas_gemm_batched_kernelIDF16_Li16ELi16ELi64ELi64ELi4ELi64ELi4ELi4ELi64ELc84ELc84EKPKDF16_S3_KPDF16_EEvlllT_PT11_llS8_llS6_PT12_llPT13_lli ; -- Begin function _ZN12_GLOBAL__N_127rocblas_gemm_batched_kernelIDF16_Li16ELi16ELi64ELi64ELi4ELi64ELi4ELi4ELi64ELc84ELc84EKPKDF16_S3_KPDF16_EEvlllT_PT11_llS8_llS6_PT12_llPT13_lli
	.p2align	8
	.type	_ZN12_GLOBAL__N_127rocblas_gemm_batched_kernelIDF16_Li16ELi16ELi64ELi64ELi4ELi64ELi4ELi4ELi64ELc84ELc84EKPKDF16_S3_KPDF16_EEvlllT_PT11_llS8_llS6_PT12_llPT13_lli,@function
_ZN12_GLOBAL__N_127rocblas_gemm_batched_kernelIDF16_Li16ELi16ELi64ELi64ELi4ELi64ELi4ELi4ELi64ELc84ELc84EKPKDF16_S3_KPDF16_EEvlllT_PT11_llS8_llS6_PT12_llPT13_lli: ; @_ZN12_GLOBAL__N_127rocblas_gemm_batched_kernelIDF16_Li16ELi16ELi64ELi64ELi4ELi64ELi4ELi4ELi64ELc84ELc84EKPKDF16_S3_KPDF16_EEvlllT_PT11_llS8_llS6_PT12_llPT13_lli
; %bb.0:
	s_load_b32 s31, s[0:1], 0x88
	s_bfe_u32 s2, ttmp6, 0x40014
	s_lshr_b32 s3, ttmp7, 16
	s_add_co_i32 s2, s2, 1
	s_bfe_u32 s4, ttmp6, 0x40008
	s_mul_i32 s2, s3, s2
	s_getreg_b32 s28, hwreg(HW_REG_IB_STS2, 6, 4)
	s_add_co_i32 s4, s4, s2
	s_cmp_eq_u32 s28, 0
	s_cselect_b32 s2, s3, s4
	s_mov_b32 s3, 0
	s_wait_kmcnt 0x0
	s_cmp_ge_i32 s2, s31
	s_cbranch_scc1 .LBB60_11
; %bb.1:
	v_bfe_u32 v2, v0, 10, 10
	v_and_b32_e32 v6, 0x3ff, v0
	s_bfe_u32 s30, ttmp6, 0x4000c
	s_bfe_u32 s33, ttmp6, 0x40010
	s_clause 0x2
	s_load_b256 s[4:11], s[0:1], 0x20
	s_load_b128 s[24:27], s[0:1], 0x40
	s_load_b128 s[20:23], s[0:1], 0x78
	s_add_co_i32 s30, s30, 1
	s_and_b32 s34, ttmp7, 0xffff
	s_add_co_i32 s33, s33, 1
	s_and_b32 s29, ttmp6, 15
	s_mul_i32 s30, ttmp9, s30
	s_mul_i32 s33, s34, s33
	s_bfe_u32 s35, ttmp6, 0x40004
	v_lshl_add_u32 v7, v2, 4, v6
	s_add_co_i32 s29, s29, s30
	s_add_co_i32 s35, s35, s33
	s_cmp_eq_u32 s28, 0
	s_delay_alu instid0(VALU_DEP_1)
	v_dual_mov_b32 v3, 0 :: v_dual_bitop2_b32 v14, 63, v7 bitop3:0x40
	s_cselect_b32 s28, ttmp9, s29
	s_cselect_b32 s30, s34, s35
	s_ashr_i32 s29, s28, 31
	s_load_b256 s[12:19], s[0:1], 0x58
	s_lshl_b64 s[34:35], s[28:29], 6
	v_dual_lshrrev_b32 v8, 2, v7 :: v_dual_bitop2_b32 v15, 3, v0 bitop3:0x40
	v_dual_mov_b32 v9, v3 :: v_dual_bitop2_b32 v0, s34, v14 bitop3:0x54
	v_dual_mov_b32 v1, s35 :: v_dual_lshrrev_b32 v16, 6, v7
	s_load_b32 s33, s[0:1], 0x50
	s_wait_kmcnt 0x0
	s_delay_alu instid0(VALU_DEP_2)
	v_mad_nc_u64_u32 v[10:11], s24, v15, v[8:9]
	v_dual_lshlrev_b32 v7, 1, v15 :: v_dual_lshlrev_b32 v9, 1, v14
	v_mul_u64_e32 v[12:13], s[6:7], v[0:1]
	s_lshl_b32 s6, s30, 6
	s_mov_b32 s7, s3
	s_load_b96 s[28:30], s[0:1], 0x10
	v_add_nc_u64_e32 v[4:5], s[6:7], v[2:3]
	v_lshl_or_b32 v14, v8, 3, v7
	v_dual_mov_b32 v7, v3 :: v_dual_lshlrev_b32 v22, 1, v6
	v_mad_u32 v11, s25, v15, v11
	v_lshl_or_b32 v20, v16, 7, v9
	v_lshl_add_u32 v23, v2, 3, 0x200
	v_mul_u64_e32 v[0:1], s[20:21], v[4:5]
	v_mul_u64_e32 v[4:5], s[14:15], v[4:5]
	v_lshlrev_b32_e32 v2, 1, v16
	v_add_nc_u32_e32 v21, 0x200, v14
	s_cmp_eq_f16 s33, 0
	v_add_nc_u64_e32 v[8:9], s[6:7], v[10:11]
	s_wait_xcnt 0x0
	s_cselect_b32 s1, -1, 0
	v_add_nc_u64_e32 v[10:11], s[34:35], v[6:7]
	s_lshl_b64 s[6:7], s[8:9], 1
	s_wait_kmcnt 0x0
	v_cmp_gt_i64_e64 s0, s[28:29], 0
	s_lshl_b64 s[20:21], s[20:21], 4
	s_lshl_b64 s[34:35], s[14:15], 4
	v_lshlrev_b64_e32 v[6:7], 1, v[8:9]
	s_lshl_b64 s[8:9], s[22:23], 1
	v_lshlrev_b64_e32 v[10:11], 1, v[10:11]
	s_lshl_b64 s[14:15], s[20:21], 1
	s_lshl_b64 s[16:17], s[16:17], 1
	s_lshl_b64 s[20:21], s[34:35], 1
	v_lshl_add_u64 v[8:9], v[12:13], 1, s[6:7]
	v_cndmask_b32_e64 v12, 0, 1, s0
	v_lshl_add_u64 v[6:7], s[26:27], 1, v[6:7]
	s_lshl_b64 s[6:7], s[24:25], 3
	s_delay_alu instid0(VALU_DEP_3) | instskip(NEXT) | instid1(VALU_DEP_3)
	v_add_nc_u64_e32 v[8:9], v[8:9], v[2:3]
	v_cmp_ne_u32_e64 s0, 1, v12
	s_branch .LBB60_3
.LBB60_2:                               ;   in Loop: Header=BB60_3 Depth=1
	s_add_co_i32 s2, s2, 0x10000
	s_delay_alu instid0(SALU_CYCLE_1)
	s_cmp_lt_i32 s2, s31
	s_cbranch_scc0 .LBB60_11
.LBB60_3:                               ; =>This Loop Header: Depth=1
                                        ;     Child Loop BB60_5 Depth 2
	v_mov_b32_e32 v2, s2
	s_delay_alu instid0(VALU_DEP_2)
	s_and_b32 vcc_lo, exec_lo, s0
	s_clause 0x1
	global_load_b64 v[12:13], v2, s[12:13] scale_offset
	global_load_b64 v[14:15], v2, s[18:19] scale_offset
	s_cbranch_vccnz .LBB60_6
; %bb.4:                                ;   in Loop: Header=BB60_3 Depth=1
	s_lshl_b64 s[22:23], s[2:3], 3
	s_wait_xcnt 0x0
	v_dual_mov_b32 v2, 0 :: v_dual_mov_b32 v24, 0
	s_add_nc_u64 s[24:25], s[10:11], s[22:23]
	s_add_nc_u64 s[22:23], s[4:5], s[22:23]
	s_clause 0x1
	global_load_b64 v[16:17], v3, s[24:25]
	global_load_b64 v[18:19], v3, s[22:23]
	v_dual_mov_b32 v25, 0 :: v_dual_mov_b32 v26, 0
	v_dual_mov_b32 v27, 0 :: v_dual_mov_b32 v28, 0
	;; [unrolled: 1-line block ×3, first 2 shown]
	s_wait_xcnt 0x0
	s_mov_b64 s[22:23], 0
	s_wait_loadcnt 0x1
	v_add_nc_u64_e32 v[16:17], v[16:17], v[6:7]
	s_wait_loadcnt 0x0
	v_add_nc_u64_e32 v[18:19], v[18:19], v[8:9]
.LBB60_5:                               ;   Parent Loop BB60_3 Depth=1
                                        ; =>  This Inner Loop Header: Depth=2
	flat_load_u16 v31, v[18:19]
	s_add_nc_u64 s[22:23], s[22:23], 4
	s_wait_xcnt 0x0
	v_add_nc_u64_e32 v[18:19], 8, v[18:19]
	v_cmp_lt_i64_e64 s24, s[22:23], s[28:29]
	s_and_b32 vcc_lo, exec_lo, s24
	s_wait_loadcnt_dscnt 0x0
	ds_store_b16 v20, v31
	flat_load_u16 v31, v[16:17]
	s_wait_xcnt 0x0
	v_add_nc_u64_e32 v[16:17], s[6:7], v[16:17]
	s_wait_loadcnt_dscnt 0x0
	ds_store_b16 v21, v31
	s_wait_dscnt 0x0
	s_barrier_signal -1
	s_barrier_wait -1
	ds_load_u16 v31, v22
	ds_load_u16 v40, v22 offset:32
	ds_load_u16 v41, v22 offset:64
	;; [unrolled: 1-line block ×15, first 2 shown]
	ds_load_2addr_b64 v[32:35], v23 offset1:16
	ds_load_2addr_b64 v[36:39], v23 offset0:32 offset1:48
	s_wait_dscnt 0x0
	s_barrier_signal -1
	s_barrier_wait -1
	v_perm_b32 v31, v31, v40, 0x5040100
	v_perm_b32 v41, v41, v42, 0x5040100
	;; [unrolled: 1-line block ×8, first 2 shown]
	v_pk_fma_f16 v30, v31, v32, v30 op_sel_hi:[1,0,1]
	v_pk_fma_f16 v29, v41, v32, v29 op_sel_hi:[1,0,1]
	;; [unrolled: 1-line block ×8, first 2 shown]
	v_pk_fma_f16 v30, v40, v32, v30 op_sel:[0,1,0]
	v_pk_fma_f16 v29, v42, v32, v29 op_sel:[0,1,0]
	;; [unrolled: 1-line block ×8, first 2 shown]
	v_pk_fma_f16 v30, v43, v33, v30 op_sel_hi:[1,0,1]
	v_pk_fma_f16 v29, v45, v33, v29 op_sel_hi:[1,0,1]
	;; [unrolled: 1-line block ×8, first 2 shown]
	v_pk_fma_f16 v30, v44, v33, v30 op_sel:[0,1,0]
	v_pk_fma_f16 v29, v46, v33, v29 op_sel:[0,1,0]
	;; [unrolled: 1-line block ×8, first 2 shown]
	s_cbranch_vccnz .LBB60_5
	s_branch .LBB60_7
.LBB60_6:                               ;   in Loop: Header=BB60_3 Depth=1
	v_dual_mov_b32 v30, 0 :: v_dual_mov_b32 v29, 0
	v_dual_mov_b32 v28, 0 :: v_dual_mov_b32 v27, 0
	v_dual_mov_b32 v26, 0 :: v_dual_mov_b32 v25, 0
	s_wait_xcnt 0x0
	v_dual_mov_b32 v24, 0 :: v_dual_mov_b32 v2, 0
.LBB60_7:                               ;   in Loop: Header=BB60_3 Depth=1
	s_wait_loadcnt 0x0
	v_add_nc_u64_e32 v[14:15], s[8:9], v[14:15]
	v_dual_lshrrev_b32 v36, 16, v30 :: v_dual_lshrrev_b32 v35, 16, v29
	v_dual_lshrrev_b32 v34, 16, v28 :: v_dual_lshrrev_b32 v33, 16, v27
	v_dual_lshrrev_b32 v32, 16, v26 :: v_dual_lshrrev_b32 v31, 16, v25
	s_delay_alu instid0(VALU_DEP_4) | instskip(SKIP_2) | instid1(VALU_DEP_2)
	v_lshl_add_u64 v[14:15], v[0:1], 1, v[14:15]
	v_dual_lshrrev_b32 v19, 16, v24 :: v_dual_lshrrev_b32 v18, 16, v2
	s_and_not1_b32 vcc_lo, exec_lo, s1
	v_add_nc_u64_e32 v[16:17], v[14:15], v[10:11]
	v_add_nc_u64_e32 v[14:15], s[14:15], v[14:15]
	s_cbranch_vccnz .LBB60_9
; %bb.8:                                ;   in Loop: Header=BB60_3 Depth=1
	v_mul_f16_e32 v37, s30, v36
	v_mul_f16_e32 v40, s30, v30
	s_delay_alu instid0(VALU_DEP_3)
	v_add_nc_u64_e32 v[38:39], s[14:15], v[14:15]
	v_mul_f16_e32 v41, s30, v35
	v_mul_f16_e32 v42, s30, v29
	s_clause 0x3
	flat_store_b16 v[16:17], v37
	flat_store_b16 v[16:17], v40 offset:32
	flat_store_b16 v[16:17], v41 offset:64
	;; [unrolled: 1-line block ×3, first 2 shown]
	s_wait_xcnt 0x1
	v_add_nc_u64_e32 v[40:41], v[14:15], v[10:11]
	v_mul_f16_e32 v37, s30, v34
	v_mul_f16_e32 v44, s30, v28
	s_wait_xcnt 0x0
	v_add_nc_u64_e32 v[42:43], v[38:39], v[10:11]
	v_add_nc_u64_e32 v[38:39], s[14:15], v[38:39]
	v_mul_f16_e32 v45, s30, v33
	v_mul_f16_e32 v46, s30, v27
	s_clause 0x3
	flat_store_b16 v[40:41], v37
	flat_store_b16 v[40:41], v44 offset:32
	flat_store_b16 v[40:41], v45 offset:64
	;; [unrolled: 1-line block ×3, first 2 shown]
	s_wait_xcnt 0x3
	v_mul_f16_e32 v37, s30, v32
	s_wait_xcnt 0x0
	v_mul_f16_e32 v40, s30, v26
	v_mul_f16_e32 v41, s30, v31
	;; [unrolled: 1-line block ×3, first 2 shown]
	v_add_nc_u64_e32 v[38:39], v[38:39], v[10:11]
	s_clause 0x3
	flat_store_b16 v[42:43], v37
	flat_store_b16 v[42:43], v40 offset:32
	flat_store_b16 v[42:43], v41 offset:64
	;; [unrolled: 1-line block ×3, first 2 shown]
	s_wait_xcnt 0x3
	v_mul_f16_e32 v37, s30, v19
	s_wait_xcnt 0x2
	v_mul_f16_e32 v40, s30, v24
	s_wait_xcnt 0x1
	v_mul_f16_e32 v41, s30, v18
	s_wait_xcnt 0x0
	v_mul_f16_e32 v42, s30, v2
	s_clause 0x3
	flat_store_b16 v[38:39], v37
	flat_store_b16 v[38:39], v40 offset:32
	flat_store_b16 v[38:39], v41 offset:64
	;; [unrolled: 1-line block ×3, first 2 shown]
	s_cbranch_execnz .LBB60_2
	s_branch .LBB60_10
.LBB60_9:                               ;   in Loop: Header=BB60_3 Depth=1
.LBB60_10:                              ;   in Loop: Header=BB60_3 Depth=1
	v_add_nc_u64_e32 v[12:13], s[16:17], v[12:13]
	s_delay_alu instid0(VALU_DEP_1) | instskip(SKIP_1) | instid1(VALU_DEP_1)
	v_lshl_add_u64 v[12:13], v[4:5], 1, v[12:13]
	s_wait_xcnt 0x0
	v_add_nc_u64_e32 v[38:39], v[12:13], v[10:11]
	v_add_nc_u64_e32 v[12:13], s[20:21], v[12:13]
	flat_load_u16 v37, v[38:39]
	s_wait_loadcnt_dscnt 0x0
	v_mul_f16_e32 v37, s33, v37
	s_delay_alu instid0(VALU_DEP_1) | instskip(SKIP_4) | instid1(VALU_DEP_1)
	v_fmac_f16_e32 v37, s30, v36
	flat_store_b16 v[16:17], v37
	flat_load_u16 v36, v[38:39] offset:32
	s_wait_loadcnt_dscnt 0x0
	v_mul_f16_e32 v36, s33, v36
	v_fmac_f16_e32 v36, s30, v30
	flat_store_b16 v[16:17], v36 offset:32
	flat_load_u16 v30, v[38:39] offset:64
	s_wait_xcnt 0x1
	v_add_nc_u64_e32 v[36:37], v[12:13], v[10:11]
	v_add_nc_u64_e32 v[12:13], s[20:21], v[12:13]
	s_wait_loadcnt_dscnt 0x0
	v_mul_f16_e32 v30, s33, v30
	s_delay_alu instid0(VALU_DEP_1) | instskip(SKIP_4) | instid1(VALU_DEP_1)
	v_fmac_f16_e32 v30, s30, v35
	flat_store_b16 v[16:17], v30 offset:64
	flat_load_u16 v30, v[38:39] offset:96
	s_wait_loadcnt_dscnt 0x0
	v_mul_f16_e32 v30, s33, v30
	v_fmac_f16_e32 v30, s30, v29
	flat_store_b16 v[16:17], v30 offset:96
	flat_load_u16 v16, v[36:37]
	s_wait_loadcnt_dscnt 0x0
	v_mul_f16_e32 v29, s33, v16
	v_add_nc_u64_e32 v[16:17], v[14:15], v[10:11]
	v_add_nc_u64_e32 v[14:15], s[14:15], v[14:15]
	s_delay_alu instid0(VALU_DEP_3) | instskip(SKIP_4) | instid1(VALU_DEP_1)
	v_fmac_f16_e32 v29, s30, v34
	flat_store_b16 v[16:17], v29
	flat_load_u16 v29, v[36:37] offset:32
	s_wait_loadcnt_dscnt 0x0
	v_mul_f16_e32 v29, s33, v29
	v_fmac_f16_e32 v29, s30, v28
	flat_store_b16 v[16:17], v29 offset:32
	flat_load_u16 v28, v[36:37] offset:64
	s_wait_loadcnt_dscnt 0x0
	v_mul_f16_e32 v28, s33, v28
	s_delay_alu instid0(VALU_DEP_1)
	v_fmac_f16_e32 v28, s30, v33
	flat_store_b16 v[16:17], v28 offset:64
	flat_load_u16 v28, v[36:37] offset:96
	s_wait_loadcnt_dscnt 0x0
	v_mul_f16_e32 v30, s33, v28
	v_add_nc_u64_e32 v[28:29], v[12:13], v[10:11]
	v_add_nc_u64_e32 v[12:13], s[20:21], v[12:13]
	s_delay_alu instid0(VALU_DEP_3) | instskip(NEXT) | instid1(VALU_DEP_2)
	v_fmac_f16_e32 v30, s30, v27
	v_add_nc_u64_e32 v[12:13], v[12:13], v[10:11]
	flat_store_b16 v[16:17], v30 offset:96
	flat_load_u16 v16, v[28:29]
	s_wait_loadcnt_dscnt 0x0
	v_mul_f16_e32 v27, s33, v16
	v_add_nc_u64_e32 v[16:17], v[14:15], v[10:11]
	v_add_nc_u64_e32 v[14:15], s[14:15], v[14:15]
	s_delay_alu instid0(VALU_DEP_3) | instskip(NEXT) | instid1(VALU_DEP_2)
	v_fmac_f16_e32 v27, s30, v32
	v_add_nc_u64_e32 v[14:15], v[14:15], v[10:11]
	flat_store_b16 v[16:17], v27
	flat_load_u16 v27, v[28:29] offset:32
	s_wait_loadcnt_dscnt 0x0
	v_mul_f16_e32 v27, s33, v27
	s_delay_alu instid0(VALU_DEP_1) | instskip(SKIP_4) | instid1(VALU_DEP_1)
	v_fmac_f16_e32 v27, s30, v26
	flat_store_b16 v[16:17], v27 offset:32
	flat_load_u16 v26, v[28:29] offset:64
	s_wait_loadcnt_dscnt 0x0
	v_mul_f16_e32 v26, s33, v26
	v_fmac_f16_e32 v26, s30, v31
	flat_store_b16 v[16:17], v26 offset:64
	flat_load_u16 v26, v[28:29] offset:96
	s_wait_loadcnt_dscnt 0x0
	v_mul_f16_e32 v26, s33, v26
	s_delay_alu instid0(VALU_DEP_1) | instskip(SKIP_4) | instid1(VALU_DEP_1)
	v_fmac_f16_e32 v26, s30, v25
	flat_store_b16 v[16:17], v26 offset:96
	flat_load_u16 v16, v[12:13]
	s_wait_loadcnt_dscnt 0x0
	v_mul_f16_e32 v16, s33, v16
	v_fmac_f16_e32 v16, s30, v19
	flat_store_b16 v[14:15], v16
	flat_load_u16 v16, v[12:13] offset:32
	s_wait_loadcnt_dscnt 0x0
	v_mul_f16_e32 v16, s33, v16
	s_delay_alu instid0(VALU_DEP_1) | instskip(SKIP_4) | instid1(VALU_DEP_1)
	v_fmac_f16_e32 v16, s30, v24
	flat_store_b16 v[14:15], v16 offset:32
	flat_load_u16 v16, v[12:13] offset:64
	s_wait_loadcnt_dscnt 0x0
	v_mul_f16_e32 v16, s33, v16
	v_fmac_f16_e32 v16, s30, v18
	flat_store_b16 v[14:15], v16 offset:64
	flat_load_u16 v12, v[12:13] offset:96
	s_wait_loadcnt_dscnt 0x0
	s_wait_xcnt 0x0
	v_mul_f16_e32 v12, s33, v12
	s_delay_alu instid0(VALU_DEP_1)
	v_fmac_f16_e32 v12, s30, v2
	flat_store_b16 v[14:15], v12 offset:96
	s_branch .LBB60_2
.LBB60_11:
	s_endpgm
	.section	.rodata,"a",@progbits
	.p2align	6, 0x0
	.amdhsa_kernel _ZN12_GLOBAL__N_127rocblas_gemm_batched_kernelIDF16_Li16ELi16ELi64ELi64ELi4ELi64ELi4ELi4ELi64ELc84ELc84EKPKDF16_S3_KPDF16_EEvlllT_PT11_llS8_llS6_PT12_llPT13_lli
		.amdhsa_group_segment_fixed_size 1024
		.amdhsa_private_segment_fixed_size 0
		.amdhsa_kernarg_size 140
		.amdhsa_user_sgpr_count 2
		.amdhsa_user_sgpr_dispatch_ptr 0
		.amdhsa_user_sgpr_queue_ptr 0
		.amdhsa_user_sgpr_kernarg_segment_ptr 1
		.amdhsa_user_sgpr_dispatch_id 0
		.amdhsa_user_sgpr_kernarg_preload_length 0
		.amdhsa_user_sgpr_kernarg_preload_offset 0
		.amdhsa_user_sgpr_private_segment_size 0
		.amdhsa_wavefront_size32 1
		.amdhsa_uses_dynamic_stack 0
		.amdhsa_enable_private_segment 0
		.amdhsa_system_sgpr_workgroup_id_x 1
		.amdhsa_system_sgpr_workgroup_id_y 1
		.amdhsa_system_sgpr_workgroup_id_z 1
		.amdhsa_system_sgpr_workgroup_info 0
		.amdhsa_system_vgpr_workitem_id 1
		.amdhsa_next_free_vgpr 55
		.amdhsa_next_free_sgpr 36
		.amdhsa_named_barrier_count 0
		.amdhsa_reserve_vcc 1
		.amdhsa_float_round_mode_32 0
		.amdhsa_float_round_mode_16_64 0
		.amdhsa_float_denorm_mode_32 3
		.amdhsa_float_denorm_mode_16_64 3
		.amdhsa_fp16_overflow 0
		.amdhsa_memory_ordered 1
		.amdhsa_forward_progress 1
		.amdhsa_inst_pref_size 19
		.amdhsa_round_robin_scheduling 0
		.amdhsa_exception_fp_ieee_invalid_op 0
		.amdhsa_exception_fp_denorm_src 0
		.amdhsa_exception_fp_ieee_div_zero 0
		.amdhsa_exception_fp_ieee_overflow 0
		.amdhsa_exception_fp_ieee_underflow 0
		.amdhsa_exception_fp_ieee_inexact 0
		.amdhsa_exception_int_div_zero 0
	.end_amdhsa_kernel
	.section	.text._ZN12_GLOBAL__N_127rocblas_gemm_batched_kernelIDF16_Li16ELi16ELi64ELi64ELi4ELi64ELi4ELi4ELi64ELc84ELc84EKPKDF16_S3_KPDF16_EEvlllT_PT11_llS8_llS6_PT12_llPT13_lli,"axG",@progbits,_ZN12_GLOBAL__N_127rocblas_gemm_batched_kernelIDF16_Li16ELi16ELi64ELi64ELi4ELi64ELi4ELi4ELi64ELc84ELc84EKPKDF16_S3_KPDF16_EEvlllT_PT11_llS8_llS6_PT12_llPT13_lli,comdat
.Lfunc_end60:
	.size	_ZN12_GLOBAL__N_127rocblas_gemm_batched_kernelIDF16_Li16ELi16ELi64ELi64ELi4ELi64ELi4ELi4ELi64ELc84ELc84EKPKDF16_S3_KPDF16_EEvlllT_PT11_llS8_llS6_PT12_llPT13_lli, .Lfunc_end60-_ZN12_GLOBAL__N_127rocblas_gemm_batched_kernelIDF16_Li16ELi16ELi64ELi64ELi4ELi64ELi4ELi4ELi64ELc84ELc84EKPKDF16_S3_KPDF16_EEvlllT_PT11_llS8_llS6_PT12_llPT13_lli
                                        ; -- End function
	.set _ZN12_GLOBAL__N_127rocblas_gemm_batched_kernelIDF16_Li16ELi16ELi64ELi64ELi4ELi64ELi4ELi4ELi64ELc84ELc84EKPKDF16_S3_KPDF16_EEvlllT_PT11_llS8_llS6_PT12_llPT13_lli.num_vgpr, 55
	.set _ZN12_GLOBAL__N_127rocblas_gemm_batched_kernelIDF16_Li16ELi16ELi64ELi64ELi4ELi64ELi4ELi4ELi64ELc84ELc84EKPKDF16_S3_KPDF16_EEvlllT_PT11_llS8_llS6_PT12_llPT13_lli.num_agpr, 0
	.set _ZN12_GLOBAL__N_127rocblas_gemm_batched_kernelIDF16_Li16ELi16ELi64ELi64ELi4ELi64ELi4ELi4ELi64ELc84ELc84EKPKDF16_S3_KPDF16_EEvlllT_PT11_llS8_llS6_PT12_llPT13_lli.numbered_sgpr, 36
	.set _ZN12_GLOBAL__N_127rocblas_gemm_batched_kernelIDF16_Li16ELi16ELi64ELi64ELi4ELi64ELi4ELi4ELi64ELc84ELc84EKPKDF16_S3_KPDF16_EEvlllT_PT11_llS8_llS6_PT12_llPT13_lli.num_named_barrier, 0
	.set _ZN12_GLOBAL__N_127rocblas_gemm_batched_kernelIDF16_Li16ELi16ELi64ELi64ELi4ELi64ELi4ELi4ELi64ELc84ELc84EKPKDF16_S3_KPDF16_EEvlllT_PT11_llS8_llS6_PT12_llPT13_lli.private_seg_size, 0
	.set _ZN12_GLOBAL__N_127rocblas_gemm_batched_kernelIDF16_Li16ELi16ELi64ELi64ELi4ELi64ELi4ELi4ELi64ELc84ELc84EKPKDF16_S3_KPDF16_EEvlllT_PT11_llS8_llS6_PT12_llPT13_lli.uses_vcc, 1
	.set _ZN12_GLOBAL__N_127rocblas_gemm_batched_kernelIDF16_Li16ELi16ELi64ELi64ELi4ELi64ELi4ELi4ELi64ELc84ELc84EKPKDF16_S3_KPDF16_EEvlllT_PT11_llS8_llS6_PT12_llPT13_lli.uses_flat_scratch, 1
	.set _ZN12_GLOBAL__N_127rocblas_gemm_batched_kernelIDF16_Li16ELi16ELi64ELi64ELi4ELi64ELi4ELi4ELi64ELc84ELc84EKPKDF16_S3_KPDF16_EEvlllT_PT11_llS8_llS6_PT12_llPT13_lli.has_dyn_sized_stack, 0
	.set _ZN12_GLOBAL__N_127rocblas_gemm_batched_kernelIDF16_Li16ELi16ELi64ELi64ELi4ELi64ELi4ELi4ELi64ELc84ELc84EKPKDF16_S3_KPDF16_EEvlllT_PT11_llS8_llS6_PT12_llPT13_lli.has_recursion, 0
	.set _ZN12_GLOBAL__N_127rocblas_gemm_batched_kernelIDF16_Li16ELi16ELi64ELi64ELi4ELi64ELi4ELi4ELi64ELc84ELc84EKPKDF16_S3_KPDF16_EEvlllT_PT11_llS8_llS6_PT12_llPT13_lli.has_indirect_call, 0
	.section	.AMDGPU.csdata,"",@progbits
; Kernel info:
; codeLenInByte = 2432
; TotalNumSgprs: 38
; NumVgprs: 55
; ScratchSize: 0
; MemoryBound: 0
; FloatMode: 240
; IeeeMode: 1
; LDSByteSize: 1024 bytes/workgroup (compile time only)
; SGPRBlocks: 0
; VGPRBlocks: 3
; NumSGPRsForWavesPerEU: 38
; NumVGPRsForWavesPerEU: 55
; NamedBarCnt: 0
; Occupancy: 16
; WaveLimiterHint : 1
; COMPUTE_PGM_RSRC2:SCRATCH_EN: 0
; COMPUTE_PGM_RSRC2:USER_SGPR: 2
; COMPUTE_PGM_RSRC2:TRAP_HANDLER: 0
; COMPUTE_PGM_RSRC2:TGID_X_EN: 1
; COMPUTE_PGM_RSRC2:TGID_Y_EN: 1
; COMPUTE_PGM_RSRC2:TGID_Z_EN: 1
; COMPUTE_PGM_RSRC2:TIDIG_COMP_CNT: 1
	.section	.text._ZN12_GLOBAL__N_127rocblas_gemm_batched_kernelIDF16_Li16ELi16ELi64ELi64ELi4ELi64ELi4ELi4ELi64ELc67ELc67EKPKDF16_S3_KPDF16_EEvlllT_PT11_llS8_llS6_PT12_llPT13_lli,"axG",@progbits,_ZN12_GLOBAL__N_127rocblas_gemm_batched_kernelIDF16_Li16ELi16ELi64ELi64ELi4ELi64ELi4ELi4ELi64ELc67ELc67EKPKDF16_S3_KPDF16_EEvlllT_PT11_llS8_llS6_PT12_llPT13_lli,comdat
	.globl	_ZN12_GLOBAL__N_127rocblas_gemm_batched_kernelIDF16_Li16ELi16ELi64ELi64ELi4ELi64ELi4ELi4ELi64ELc67ELc67EKPKDF16_S3_KPDF16_EEvlllT_PT11_llS8_llS6_PT12_llPT13_lli ; -- Begin function _ZN12_GLOBAL__N_127rocblas_gemm_batched_kernelIDF16_Li16ELi16ELi64ELi64ELi4ELi64ELi4ELi4ELi64ELc67ELc67EKPKDF16_S3_KPDF16_EEvlllT_PT11_llS8_llS6_PT12_llPT13_lli
	.p2align	8
	.type	_ZN12_GLOBAL__N_127rocblas_gemm_batched_kernelIDF16_Li16ELi16ELi64ELi64ELi4ELi64ELi4ELi4ELi64ELc67ELc67EKPKDF16_S3_KPDF16_EEvlllT_PT11_llS8_llS6_PT12_llPT13_lli,@function
_ZN12_GLOBAL__N_127rocblas_gemm_batched_kernelIDF16_Li16ELi16ELi64ELi64ELi4ELi64ELi4ELi4ELi64ELc67ELc67EKPKDF16_S3_KPDF16_EEvlllT_PT11_llS8_llS6_PT12_llPT13_lli: ; @_ZN12_GLOBAL__N_127rocblas_gemm_batched_kernelIDF16_Li16ELi16ELi64ELi64ELi4ELi64ELi4ELi4ELi64ELc67ELc67EKPKDF16_S3_KPDF16_EEvlllT_PT11_llS8_llS6_PT12_llPT13_lli
; %bb.0:
	s_load_b32 s31, s[0:1], 0x88
	s_bfe_u32 s2, ttmp6, 0x40014
	s_lshr_b32 s3, ttmp7, 16
	s_add_co_i32 s2, s2, 1
	s_bfe_u32 s4, ttmp6, 0x40008
	s_mul_i32 s2, s3, s2
	s_getreg_b32 s28, hwreg(HW_REG_IB_STS2, 6, 4)
	s_add_co_i32 s4, s4, s2
	s_cmp_eq_u32 s28, 0
	s_cselect_b32 s2, s3, s4
	s_mov_b32 s3, 0
	s_wait_kmcnt 0x0
	s_cmp_ge_i32 s2, s31
	s_cbranch_scc1 .LBB61_11
; %bb.1:
	v_bfe_u32 v2, v0, 10, 10
	v_and_b32_e32 v6, 0x3ff, v0
	s_bfe_u32 s30, ttmp6, 0x4000c
	s_bfe_u32 s33, ttmp6, 0x40010
	s_clause 0x2
	s_load_b256 s[4:11], s[0:1], 0x20
	s_load_b128 s[24:27], s[0:1], 0x40
	s_load_b128 s[20:23], s[0:1], 0x78
	s_add_co_i32 s30, s30, 1
	s_and_b32 s34, ttmp7, 0xffff
	s_add_co_i32 s33, s33, 1
	s_and_b32 s29, ttmp6, 15
	s_mul_i32 s30, ttmp9, s30
	s_mul_i32 s33, s34, s33
	s_bfe_u32 s35, ttmp6, 0x40004
	v_lshl_add_u32 v7, v2, 4, v6
	s_add_co_i32 s29, s29, s30
	s_add_co_i32 s35, s35, s33
	s_cmp_eq_u32 s28, 0
	s_delay_alu instid0(VALU_DEP_1)
	v_dual_mov_b32 v3, 0 :: v_dual_bitop2_b32 v14, 63, v7 bitop3:0x40
	s_cselect_b32 s28, ttmp9, s29
	s_cselect_b32 s30, s34, s35
	s_ashr_i32 s29, s28, 31
	s_load_b256 s[12:19], s[0:1], 0x58
	s_lshl_b64 s[34:35], s[28:29], 6
	v_dual_lshrrev_b32 v8, 2, v7 :: v_dual_bitop2_b32 v15, 3, v0 bitop3:0x40
	v_dual_mov_b32 v9, v3 :: v_dual_bitop2_b32 v0, s34, v14 bitop3:0x54
	v_dual_mov_b32 v1, s35 :: v_dual_lshrrev_b32 v16, 6, v7
	s_load_b32 s33, s[0:1], 0x50
	s_wait_kmcnt 0x0
	s_delay_alu instid0(VALU_DEP_2)
	v_mad_nc_u64_u32 v[10:11], s24, v15, v[8:9]
	v_dual_lshlrev_b32 v7, 1, v15 :: v_dual_lshlrev_b32 v9, 1, v14
	v_mul_u64_e32 v[12:13], s[6:7], v[0:1]
	s_lshl_b32 s6, s30, 6
	s_mov_b32 s7, s3
	s_load_b96 s[28:30], s[0:1], 0x10
	v_add_nc_u64_e32 v[4:5], s[6:7], v[2:3]
	v_lshl_or_b32 v14, v8, 3, v7
	v_dual_mov_b32 v7, v3 :: v_dual_lshlrev_b32 v22, 1, v6
	v_mad_u32 v11, s25, v15, v11
	v_lshl_or_b32 v20, v16, 7, v9
	v_lshl_add_u32 v23, v2, 3, 0x200
	v_mul_u64_e32 v[0:1], s[20:21], v[4:5]
	v_mul_u64_e32 v[4:5], s[14:15], v[4:5]
	v_lshlrev_b32_e32 v2, 1, v16
	v_add_nc_u32_e32 v21, 0x200, v14
	s_cmp_eq_f16 s33, 0
	v_add_nc_u64_e32 v[8:9], s[6:7], v[10:11]
	s_wait_xcnt 0x0
	s_cselect_b32 s1, -1, 0
	v_add_nc_u64_e32 v[10:11], s[34:35], v[6:7]
	s_lshl_b64 s[6:7], s[8:9], 1
	s_wait_kmcnt 0x0
	v_cmp_gt_i64_e64 s0, s[28:29], 0
	s_lshl_b64 s[20:21], s[20:21], 4
	s_lshl_b64 s[34:35], s[14:15], 4
	v_lshlrev_b64_e32 v[6:7], 1, v[8:9]
	s_lshl_b64 s[8:9], s[22:23], 1
	v_lshlrev_b64_e32 v[10:11], 1, v[10:11]
	s_lshl_b64 s[14:15], s[20:21], 1
	s_lshl_b64 s[16:17], s[16:17], 1
	s_lshl_b64 s[20:21], s[34:35], 1
	v_lshl_add_u64 v[8:9], v[12:13], 1, s[6:7]
	v_cndmask_b32_e64 v12, 0, 1, s0
	v_lshl_add_u64 v[6:7], s[26:27], 1, v[6:7]
	s_lshl_b64 s[6:7], s[24:25], 3
	s_delay_alu instid0(VALU_DEP_3) | instskip(NEXT) | instid1(VALU_DEP_3)
	v_add_nc_u64_e32 v[8:9], v[8:9], v[2:3]
	v_cmp_ne_u32_e64 s0, 1, v12
	s_branch .LBB61_3
.LBB61_2:                               ;   in Loop: Header=BB61_3 Depth=1
	s_add_co_i32 s2, s2, 0x10000
	s_delay_alu instid0(SALU_CYCLE_1)
	s_cmp_lt_i32 s2, s31
	s_cbranch_scc0 .LBB61_11
.LBB61_3:                               ; =>This Loop Header: Depth=1
                                        ;     Child Loop BB61_5 Depth 2
	v_mov_b32_e32 v2, s2
	s_delay_alu instid0(VALU_DEP_2)
	s_and_b32 vcc_lo, exec_lo, s0
	s_clause 0x1
	global_load_b64 v[12:13], v2, s[12:13] scale_offset
	global_load_b64 v[14:15], v2, s[18:19] scale_offset
	s_cbranch_vccnz .LBB61_6
; %bb.4:                                ;   in Loop: Header=BB61_3 Depth=1
	s_lshl_b64 s[22:23], s[2:3], 3
	s_wait_xcnt 0x0
	v_dual_mov_b32 v2, 0 :: v_dual_mov_b32 v24, 0
	s_add_nc_u64 s[24:25], s[10:11], s[22:23]
	s_add_nc_u64 s[22:23], s[4:5], s[22:23]
	s_clause 0x1
	global_load_b64 v[16:17], v3, s[24:25]
	global_load_b64 v[18:19], v3, s[22:23]
	v_dual_mov_b32 v25, 0 :: v_dual_mov_b32 v26, 0
	v_dual_mov_b32 v27, 0 :: v_dual_mov_b32 v28, 0
	;; [unrolled: 1-line block ×3, first 2 shown]
	s_wait_xcnt 0x0
	s_mov_b64 s[22:23], 0
	s_wait_loadcnt 0x1
	v_add_nc_u64_e32 v[16:17], v[16:17], v[6:7]
	s_wait_loadcnt 0x0
	v_add_nc_u64_e32 v[18:19], v[18:19], v[8:9]
.LBB61_5:                               ;   Parent Loop BB61_3 Depth=1
                                        ; =>  This Inner Loop Header: Depth=2
	flat_load_u16 v31, v[18:19]
	s_add_nc_u64 s[22:23], s[22:23], 4
	s_wait_xcnt 0x0
	v_add_nc_u64_e32 v[18:19], 8, v[18:19]
	v_cmp_lt_i64_e64 s24, s[22:23], s[28:29]
	s_and_b32 vcc_lo, exec_lo, s24
	s_wait_loadcnt_dscnt 0x0
	ds_store_b16 v20, v31
	flat_load_u16 v31, v[16:17]
	s_wait_xcnt 0x0
	v_add_nc_u64_e32 v[16:17], s[6:7], v[16:17]
	s_wait_loadcnt_dscnt 0x0
	ds_store_b16 v21, v31
	s_wait_dscnt 0x0
	s_barrier_signal -1
	s_barrier_wait -1
	ds_load_u16 v31, v22
	ds_load_u16 v40, v22 offset:32
	ds_load_u16 v41, v22 offset:64
	;; [unrolled: 1-line block ×15, first 2 shown]
	ds_load_2addr_b64 v[32:35], v23 offset1:16
	ds_load_2addr_b64 v[36:39], v23 offset0:32 offset1:48
	s_wait_dscnt 0x0
	s_barrier_signal -1
	s_barrier_wait -1
	v_perm_b32 v31, v31, v40, 0x5040100
	v_perm_b32 v41, v41, v42, 0x5040100
	;; [unrolled: 1-line block ×8, first 2 shown]
	v_pk_fma_f16 v30, v31, v32, v30 op_sel_hi:[1,0,1]
	v_pk_fma_f16 v29, v41, v32, v29 op_sel_hi:[1,0,1]
	;; [unrolled: 1-line block ×8, first 2 shown]
	v_pk_fma_f16 v30, v40, v32, v30 op_sel:[0,1,0]
	v_pk_fma_f16 v29, v42, v32, v29 op_sel:[0,1,0]
	;; [unrolled: 1-line block ×8, first 2 shown]
	v_pk_fma_f16 v30, v43, v33, v30 op_sel_hi:[1,0,1]
	v_pk_fma_f16 v29, v45, v33, v29 op_sel_hi:[1,0,1]
	;; [unrolled: 1-line block ×8, first 2 shown]
	v_pk_fma_f16 v30, v44, v33, v30 op_sel:[0,1,0]
	v_pk_fma_f16 v29, v46, v33, v29 op_sel:[0,1,0]
	;; [unrolled: 1-line block ×8, first 2 shown]
	s_cbranch_vccnz .LBB61_5
	s_branch .LBB61_7
.LBB61_6:                               ;   in Loop: Header=BB61_3 Depth=1
	v_dual_mov_b32 v30, 0 :: v_dual_mov_b32 v29, 0
	v_dual_mov_b32 v28, 0 :: v_dual_mov_b32 v27, 0
	;; [unrolled: 1-line block ×3, first 2 shown]
	s_wait_xcnt 0x0
	v_dual_mov_b32 v24, 0 :: v_dual_mov_b32 v2, 0
.LBB61_7:                               ;   in Loop: Header=BB61_3 Depth=1
	s_wait_loadcnt 0x0
	v_add_nc_u64_e32 v[14:15], s[8:9], v[14:15]
	v_dual_lshrrev_b32 v36, 16, v30 :: v_dual_lshrrev_b32 v35, 16, v29
	v_dual_lshrrev_b32 v34, 16, v28 :: v_dual_lshrrev_b32 v33, 16, v27
	;; [unrolled: 1-line block ×3, first 2 shown]
	s_delay_alu instid0(VALU_DEP_4) | instskip(SKIP_2) | instid1(VALU_DEP_2)
	v_lshl_add_u64 v[14:15], v[0:1], 1, v[14:15]
	v_dual_lshrrev_b32 v19, 16, v24 :: v_dual_lshrrev_b32 v18, 16, v2
	s_and_not1_b32 vcc_lo, exec_lo, s1
	v_add_nc_u64_e32 v[16:17], v[14:15], v[10:11]
	v_add_nc_u64_e32 v[14:15], s[14:15], v[14:15]
	s_cbranch_vccnz .LBB61_9
; %bb.8:                                ;   in Loop: Header=BB61_3 Depth=1
	v_mul_f16_e32 v37, s30, v36
	v_mul_f16_e32 v40, s30, v30
	s_delay_alu instid0(VALU_DEP_3)
	v_add_nc_u64_e32 v[38:39], s[14:15], v[14:15]
	v_mul_f16_e32 v41, s30, v35
	v_mul_f16_e32 v42, s30, v29
	s_clause 0x3
	flat_store_b16 v[16:17], v37
	flat_store_b16 v[16:17], v40 offset:32
	flat_store_b16 v[16:17], v41 offset:64
	;; [unrolled: 1-line block ×3, first 2 shown]
	s_wait_xcnt 0x1
	v_add_nc_u64_e32 v[40:41], v[14:15], v[10:11]
	v_mul_f16_e32 v37, s30, v34
	v_mul_f16_e32 v44, s30, v28
	s_wait_xcnt 0x0
	v_add_nc_u64_e32 v[42:43], v[38:39], v[10:11]
	v_add_nc_u64_e32 v[38:39], s[14:15], v[38:39]
	v_mul_f16_e32 v45, s30, v33
	v_mul_f16_e32 v46, s30, v27
	s_clause 0x3
	flat_store_b16 v[40:41], v37
	flat_store_b16 v[40:41], v44 offset:32
	flat_store_b16 v[40:41], v45 offset:64
	;; [unrolled: 1-line block ×3, first 2 shown]
	s_wait_xcnt 0x3
	v_mul_f16_e32 v37, s30, v32
	s_wait_xcnt 0x0
	v_mul_f16_e32 v40, s30, v26
	v_mul_f16_e32 v41, s30, v31
	;; [unrolled: 1-line block ×3, first 2 shown]
	v_add_nc_u64_e32 v[38:39], v[38:39], v[10:11]
	s_clause 0x3
	flat_store_b16 v[42:43], v37
	flat_store_b16 v[42:43], v40 offset:32
	flat_store_b16 v[42:43], v41 offset:64
	;; [unrolled: 1-line block ×3, first 2 shown]
	s_wait_xcnt 0x3
	v_mul_f16_e32 v37, s30, v19
	s_wait_xcnt 0x2
	v_mul_f16_e32 v40, s30, v24
	;; [unrolled: 2-line block ×4, first 2 shown]
	s_clause 0x3
	flat_store_b16 v[38:39], v37
	flat_store_b16 v[38:39], v40 offset:32
	flat_store_b16 v[38:39], v41 offset:64
	flat_store_b16 v[38:39], v42 offset:96
	s_cbranch_execnz .LBB61_2
	s_branch .LBB61_10
.LBB61_9:                               ;   in Loop: Header=BB61_3 Depth=1
.LBB61_10:                              ;   in Loop: Header=BB61_3 Depth=1
	v_add_nc_u64_e32 v[12:13], s[16:17], v[12:13]
	s_delay_alu instid0(VALU_DEP_1) | instskip(SKIP_1) | instid1(VALU_DEP_1)
	v_lshl_add_u64 v[12:13], v[4:5], 1, v[12:13]
	s_wait_xcnt 0x0
	v_add_nc_u64_e32 v[38:39], v[12:13], v[10:11]
	v_add_nc_u64_e32 v[12:13], s[20:21], v[12:13]
	flat_load_u16 v37, v[38:39]
	s_wait_loadcnt_dscnt 0x0
	v_mul_f16_e32 v37, s33, v37
	s_delay_alu instid0(VALU_DEP_1) | instskip(SKIP_4) | instid1(VALU_DEP_1)
	v_fmac_f16_e32 v37, s30, v36
	flat_store_b16 v[16:17], v37
	flat_load_u16 v36, v[38:39] offset:32
	s_wait_loadcnt_dscnt 0x0
	v_mul_f16_e32 v36, s33, v36
	v_fmac_f16_e32 v36, s30, v30
	flat_store_b16 v[16:17], v36 offset:32
	flat_load_u16 v30, v[38:39] offset:64
	s_wait_xcnt 0x1
	v_add_nc_u64_e32 v[36:37], v[12:13], v[10:11]
	v_add_nc_u64_e32 v[12:13], s[20:21], v[12:13]
	s_wait_loadcnt_dscnt 0x0
	v_mul_f16_e32 v30, s33, v30
	s_delay_alu instid0(VALU_DEP_1) | instskip(SKIP_4) | instid1(VALU_DEP_1)
	v_fmac_f16_e32 v30, s30, v35
	flat_store_b16 v[16:17], v30 offset:64
	flat_load_u16 v30, v[38:39] offset:96
	s_wait_loadcnt_dscnt 0x0
	v_mul_f16_e32 v30, s33, v30
	v_fmac_f16_e32 v30, s30, v29
	flat_store_b16 v[16:17], v30 offset:96
	flat_load_u16 v16, v[36:37]
	s_wait_loadcnt_dscnt 0x0
	v_mul_f16_e32 v29, s33, v16
	v_add_nc_u64_e32 v[16:17], v[14:15], v[10:11]
	v_add_nc_u64_e32 v[14:15], s[14:15], v[14:15]
	s_delay_alu instid0(VALU_DEP_3) | instskip(SKIP_4) | instid1(VALU_DEP_1)
	v_fmac_f16_e32 v29, s30, v34
	flat_store_b16 v[16:17], v29
	flat_load_u16 v29, v[36:37] offset:32
	s_wait_loadcnt_dscnt 0x0
	v_mul_f16_e32 v29, s33, v29
	v_fmac_f16_e32 v29, s30, v28
	flat_store_b16 v[16:17], v29 offset:32
	flat_load_u16 v28, v[36:37] offset:64
	s_wait_loadcnt_dscnt 0x0
	v_mul_f16_e32 v28, s33, v28
	s_delay_alu instid0(VALU_DEP_1)
	v_fmac_f16_e32 v28, s30, v33
	flat_store_b16 v[16:17], v28 offset:64
	flat_load_u16 v28, v[36:37] offset:96
	s_wait_loadcnt_dscnt 0x0
	v_mul_f16_e32 v30, s33, v28
	v_add_nc_u64_e32 v[28:29], v[12:13], v[10:11]
	v_add_nc_u64_e32 v[12:13], s[20:21], v[12:13]
	s_delay_alu instid0(VALU_DEP_3) | instskip(NEXT) | instid1(VALU_DEP_2)
	v_fmac_f16_e32 v30, s30, v27
	v_add_nc_u64_e32 v[12:13], v[12:13], v[10:11]
	flat_store_b16 v[16:17], v30 offset:96
	flat_load_u16 v16, v[28:29]
	s_wait_loadcnt_dscnt 0x0
	v_mul_f16_e32 v27, s33, v16
	v_add_nc_u64_e32 v[16:17], v[14:15], v[10:11]
	v_add_nc_u64_e32 v[14:15], s[14:15], v[14:15]
	s_delay_alu instid0(VALU_DEP_3) | instskip(NEXT) | instid1(VALU_DEP_2)
	v_fmac_f16_e32 v27, s30, v32
	v_add_nc_u64_e32 v[14:15], v[14:15], v[10:11]
	flat_store_b16 v[16:17], v27
	flat_load_u16 v27, v[28:29] offset:32
	s_wait_loadcnt_dscnt 0x0
	v_mul_f16_e32 v27, s33, v27
	s_delay_alu instid0(VALU_DEP_1) | instskip(SKIP_4) | instid1(VALU_DEP_1)
	v_fmac_f16_e32 v27, s30, v26
	flat_store_b16 v[16:17], v27 offset:32
	flat_load_u16 v26, v[28:29] offset:64
	s_wait_loadcnt_dscnt 0x0
	v_mul_f16_e32 v26, s33, v26
	v_fmac_f16_e32 v26, s30, v31
	flat_store_b16 v[16:17], v26 offset:64
	flat_load_u16 v26, v[28:29] offset:96
	s_wait_loadcnt_dscnt 0x0
	v_mul_f16_e32 v26, s33, v26
	s_delay_alu instid0(VALU_DEP_1) | instskip(SKIP_4) | instid1(VALU_DEP_1)
	v_fmac_f16_e32 v26, s30, v25
	flat_store_b16 v[16:17], v26 offset:96
	flat_load_u16 v16, v[12:13]
	s_wait_loadcnt_dscnt 0x0
	v_mul_f16_e32 v16, s33, v16
	v_fmac_f16_e32 v16, s30, v19
	flat_store_b16 v[14:15], v16
	flat_load_u16 v16, v[12:13] offset:32
	s_wait_loadcnt_dscnt 0x0
	v_mul_f16_e32 v16, s33, v16
	s_delay_alu instid0(VALU_DEP_1) | instskip(SKIP_4) | instid1(VALU_DEP_1)
	v_fmac_f16_e32 v16, s30, v24
	flat_store_b16 v[14:15], v16 offset:32
	flat_load_u16 v16, v[12:13] offset:64
	s_wait_loadcnt_dscnt 0x0
	v_mul_f16_e32 v16, s33, v16
	v_fmac_f16_e32 v16, s30, v18
	flat_store_b16 v[14:15], v16 offset:64
	flat_load_u16 v12, v[12:13] offset:96
	s_wait_loadcnt_dscnt 0x0
	s_wait_xcnt 0x0
	v_mul_f16_e32 v12, s33, v12
	s_delay_alu instid0(VALU_DEP_1)
	v_fmac_f16_e32 v12, s30, v2
	flat_store_b16 v[14:15], v12 offset:96
	s_branch .LBB61_2
.LBB61_11:
	s_endpgm
	.section	.rodata,"a",@progbits
	.p2align	6, 0x0
	.amdhsa_kernel _ZN12_GLOBAL__N_127rocblas_gemm_batched_kernelIDF16_Li16ELi16ELi64ELi64ELi4ELi64ELi4ELi4ELi64ELc67ELc67EKPKDF16_S3_KPDF16_EEvlllT_PT11_llS8_llS6_PT12_llPT13_lli
		.amdhsa_group_segment_fixed_size 1024
		.amdhsa_private_segment_fixed_size 0
		.amdhsa_kernarg_size 140
		.amdhsa_user_sgpr_count 2
		.amdhsa_user_sgpr_dispatch_ptr 0
		.amdhsa_user_sgpr_queue_ptr 0
		.amdhsa_user_sgpr_kernarg_segment_ptr 1
		.amdhsa_user_sgpr_dispatch_id 0
		.amdhsa_user_sgpr_kernarg_preload_length 0
		.amdhsa_user_sgpr_kernarg_preload_offset 0
		.amdhsa_user_sgpr_private_segment_size 0
		.amdhsa_wavefront_size32 1
		.amdhsa_uses_dynamic_stack 0
		.amdhsa_enable_private_segment 0
		.amdhsa_system_sgpr_workgroup_id_x 1
		.amdhsa_system_sgpr_workgroup_id_y 1
		.amdhsa_system_sgpr_workgroup_id_z 1
		.amdhsa_system_sgpr_workgroup_info 0
		.amdhsa_system_vgpr_workitem_id 1
		.amdhsa_next_free_vgpr 55
		.amdhsa_next_free_sgpr 36
		.amdhsa_named_barrier_count 0
		.amdhsa_reserve_vcc 1
		.amdhsa_float_round_mode_32 0
		.amdhsa_float_round_mode_16_64 0
		.amdhsa_float_denorm_mode_32 3
		.amdhsa_float_denorm_mode_16_64 3
		.amdhsa_fp16_overflow 0
		.amdhsa_memory_ordered 1
		.amdhsa_forward_progress 1
		.amdhsa_inst_pref_size 19
		.amdhsa_round_robin_scheduling 0
		.amdhsa_exception_fp_ieee_invalid_op 0
		.amdhsa_exception_fp_denorm_src 0
		.amdhsa_exception_fp_ieee_div_zero 0
		.amdhsa_exception_fp_ieee_overflow 0
		.amdhsa_exception_fp_ieee_underflow 0
		.amdhsa_exception_fp_ieee_inexact 0
		.amdhsa_exception_int_div_zero 0
	.end_amdhsa_kernel
	.section	.text._ZN12_GLOBAL__N_127rocblas_gemm_batched_kernelIDF16_Li16ELi16ELi64ELi64ELi4ELi64ELi4ELi4ELi64ELc67ELc67EKPKDF16_S3_KPDF16_EEvlllT_PT11_llS8_llS6_PT12_llPT13_lli,"axG",@progbits,_ZN12_GLOBAL__N_127rocblas_gemm_batched_kernelIDF16_Li16ELi16ELi64ELi64ELi4ELi64ELi4ELi4ELi64ELc67ELc67EKPKDF16_S3_KPDF16_EEvlllT_PT11_llS8_llS6_PT12_llPT13_lli,comdat
.Lfunc_end61:
	.size	_ZN12_GLOBAL__N_127rocblas_gemm_batched_kernelIDF16_Li16ELi16ELi64ELi64ELi4ELi64ELi4ELi4ELi64ELc67ELc67EKPKDF16_S3_KPDF16_EEvlllT_PT11_llS8_llS6_PT12_llPT13_lli, .Lfunc_end61-_ZN12_GLOBAL__N_127rocblas_gemm_batched_kernelIDF16_Li16ELi16ELi64ELi64ELi4ELi64ELi4ELi4ELi64ELc67ELc67EKPKDF16_S3_KPDF16_EEvlllT_PT11_llS8_llS6_PT12_llPT13_lli
                                        ; -- End function
	.set _ZN12_GLOBAL__N_127rocblas_gemm_batched_kernelIDF16_Li16ELi16ELi64ELi64ELi4ELi64ELi4ELi4ELi64ELc67ELc67EKPKDF16_S3_KPDF16_EEvlllT_PT11_llS8_llS6_PT12_llPT13_lli.num_vgpr, 55
	.set _ZN12_GLOBAL__N_127rocblas_gemm_batched_kernelIDF16_Li16ELi16ELi64ELi64ELi4ELi64ELi4ELi4ELi64ELc67ELc67EKPKDF16_S3_KPDF16_EEvlllT_PT11_llS8_llS6_PT12_llPT13_lli.num_agpr, 0
	.set _ZN12_GLOBAL__N_127rocblas_gemm_batched_kernelIDF16_Li16ELi16ELi64ELi64ELi4ELi64ELi4ELi4ELi64ELc67ELc67EKPKDF16_S3_KPDF16_EEvlllT_PT11_llS8_llS6_PT12_llPT13_lli.numbered_sgpr, 36
	.set _ZN12_GLOBAL__N_127rocblas_gemm_batched_kernelIDF16_Li16ELi16ELi64ELi64ELi4ELi64ELi4ELi4ELi64ELc67ELc67EKPKDF16_S3_KPDF16_EEvlllT_PT11_llS8_llS6_PT12_llPT13_lli.num_named_barrier, 0
	.set _ZN12_GLOBAL__N_127rocblas_gemm_batched_kernelIDF16_Li16ELi16ELi64ELi64ELi4ELi64ELi4ELi4ELi64ELc67ELc67EKPKDF16_S3_KPDF16_EEvlllT_PT11_llS8_llS6_PT12_llPT13_lli.private_seg_size, 0
	.set _ZN12_GLOBAL__N_127rocblas_gemm_batched_kernelIDF16_Li16ELi16ELi64ELi64ELi4ELi64ELi4ELi4ELi64ELc67ELc67EKPKDF16_S3_KPDF16_EEvlllT_PT11_llS8_llS6_PT12_llPT13_lli.uses_vcc, 1
	.set _ZN12_GLOBAL__N_127rocblas_gemm_batched_kernelIDF16_Li16ELi16ELi64ELi64ELi4ELi64ELi4ELi4ELi64ELc67ELc67EKPKDF16_S3_KPDF16_EEvlllT_PT11_llS8_llS6_PT12_llPT13_lli.uses_flat_scratch, 1
	.set _ZN12_GLOBAL__N_127rocblas_gemm_batched_kernelIDF16_Li16ELi16ELi64ELi64ELi4ELi64ELi4ELi4ELi64ELc67ELc67EKPKDF16_S3_KPDF16_EEvlllT_PT11_llS8_llS6_PT12_llPT13_lli.has_dyn_sized_stack, 0
	.set _ZN12_GLOBAL__N_127rocblas_gemm_batched_kernelIDF16_Li16ELi16ELi64ELi64ELi4ELi64ELi4ELi4ELi64ELc67ELc67EKPKDF16_S3_KPDF16_EEvlllT_PT11_llS8_llS6_PT12_llPT13_lli.has_recursion, 0
	.set _ZN12_GLOBAL__N_127rocblas_gemm_batched_kernelIDF16_Li16ELi16ELi64ELi64ELi4ELi64ELi4ELi4ELi64ELc67ELc67EKPKDF16_S3_KPDF16_EEvlllT_PT11_llS8_llS6_PT12_llPT13_lli.has_indirect_call, 0
	.section	.AMDGPU.csdata,"",@progbits
; Kernel info:
; codeLenInByte = 2432
; TotalNumSgprs: 38
; NumVgprs: 55
; ScratchSize: 0
; MemoryBound: 0
; FloatMode: 240
; IeeeMode: 1
; LDSByteSize: 1024 bytes/workgroup (compile time only)
; SGPRBlocks: 0
; VGPRBlocks: 3
; NumSGPRsForWavesPerEU: 38
; NumVGPRsForWavesPerEU: 55
; NamedBarCnt: 0
; Occupancy: 16
; WaveLimiterHint : 1
; COMPUTE_PGM_RSRC2:SCRATCH_EN: 0
; COMPUTE_PGM_RSRC2:USER_SGPR: 2
; COMPUTE_PGM_RSRC2:TRAP_HANDLER: 0
; COMPUTE_PGM_RSRC2:TGID_X_EN: 1
; COMPUTE_PGM_RSRC2:TGID_Y_EN: 1
; COMPUTE_PGM_RSRC2:TGID_Z_EN: 1
; COMPUTE_PGM_RSRC2:TIDIG_COMP_CNT: 1
	.section	.text._ZN12_GLOBAL__N_127rocblas_gemm_batched_kernelIDF16_Li16ELi16ELi64ELi64ELi4ELi64ELi4ELi4ELi64ELc67ELc78EKPKDF16_S3_KPDF16_EEvlllT_PT11_llS8_llS6_PT12_llPT13_lli,"axG",@progbits,_ZN12_GLOBAL__N_127rocblas_gemm_batched_kernelIDF16_Li16ELi16ELi64ELi64ELi4ELi64ELi4ELi4ELi64ELc67ELc78EKPKDF16_S3_KPDF16_EEvlllT_PT11_llS8_llS6_PT12_llPT13_lli,comdat
	.globl	_ZN12_GLOBAL__N_127rocblas_gemm_batched_kernelIDF16_Li16ELi16ELi64ELi64ELi4ELi64ELi4ELi4ELi64ELc67ELc78EKPKDF16_S3_KPDF16_EEvlllT_PT11_llS8_llS6_PT12_llPT13_lli ; -- Begin function _ZN12_GLOBAL__N_127rocblas_gemm_batched_kernelIDF16_Li16ELi16ELi64ELi64ELi4ELi64ELi4ELi4ELi64ELc67ELc78EKPKDF16_S3_KPDF16_EEvlllT_PT11_llS8_llS6_PT12_llPT13_lli
	.p2align	8
	.type	_ZN12_GLOBAL__N_127rocblas_gemm_batched_kernelIDF16_Li16ELi16ELi64ELi64ELi4ELi64ELi4ELi4ELi64ELc67ELc78EKPKDF16_S3_KPDF16_EEvlllT_PT11_llS8_llS6_PT12_llPT13_lli,@function
_ZN12_GLOBAL__N_127rocblas_gemm_batched_kernelIDF16_Li16ELi16ELi64ELi64ELi4ELi64ELi4ELi4ELi64ELc67ELc78EKPKDF16_S3_KPDF16_EEvlllT_PT11_llS8_llS6_PT12_llPT13_lli: ; @_ZN12_GLOBAL__N_127rocblas_gemm_batched_kernelIDF16_Li16ELi16ELi64ELi64ELi4ELi64ELi4ELi4ELi64ELc67ELc78EKPKDF16_S3_KPDF16_EEvlllT_PT11_llS8_llS6_PT12_llPT13_lli
; %bb.0:
	s_load_b32 s31, s[0:1], 0x88
	s_bfe_u32 s2, ttmp6, 0x40014
	s_lshr_b32 s3, ttmp7, 16
	s_add_co_i32 s2, s2, 1
	s_bfe_u32 s4, ttmp6, 0x40008
	s_mul_i32 s2, s3, s2
	s_getreg_b32 s12, hwreg(HW_REG_IB_STS2, 6, 4)
	s_add_co_i32 s4, s4, s2
	s_cmp_eq_u32 s12, 0
	s_cselect_b32 s2, s3, s4
	s_mov_b32 s3, 0
	s_wait_kmcnt 0x0
	s_cmp_ge_i32 s2, s31
	s_cbranch_scc1 .LBB62_11
; %bb.1:
	v_bfe_u32 v2, v0, 10, 10
	v_and_b32_e32 v6, 0x3ff, v0
	s_clause 0x1
	s_load_b256 s[4:11], s[0:1], 0x20
	s_load_b128 s[20:23], s[0:1], 0x40
	s_bfe_u32 s13, ttmp6, 0x4000c
	s_bfe_u32 s15, ttmp6, 0x40010
	s_add_co_i32 s13, s13, 1
	s_and_b32 s16, ttmp7, 0xffff
	s_add_co_i32 s15, s15, 1
	v_lshl_add_u32 v15, v2, 4, v6
	v_mov_b32_e32 v3, 0
	s_and_b32 s14, ttmp6, 15
	s_mul_i32 s13, ttmp9, s13
	s_mul_i32 s15, s16, s15
	s_bfe_u32 s17, ttmp6, 0x40004
	s_add_co_i32 s14, s14, s13
	s_add_co_i32 s17, s17, s15
	s_cmp_eq_u32 s12, 0
	v_dual_lshrrev_b32 v8, 2, v15 :: v_dual_bitop2_b32 v16, 63, v15 bitop3:0x40
	v_mov_b32_e32 v9, v3
	s_cselect_b32 s13, s16, s17
	s_cselect_b32 s12, ttmp9, s14
	s_lshl_b32 s28, s13, 6
	s_mov_b32 s29, s3
	s_ashr_i32 s13, s12, 31
	v_add_nc_u64_e32 v[4:5], s[28:29], v[8:9]
	s_load_b128 s[24:27], s[0:1], 0x78
	s_lshl_b64 s[34:35], s[12:13], 6
	s_load_b256 s[12:19], s[0:1], 0x58
	v_dual_mov_b32 v11, s35 :: v_dual_bitop2_b32 v10, s34, v16 bitop3:0x54
	s_load_b32 s33, s[0:1], 0x50
	s_wait_kmcnt 0x0
	v_mul_u64_e32 v[12:13], s[20:21], v[4:5]
	v_add_nc_u64_e32 v[4:5], s[28:29], v[2:3]
	s_load_b96 s[28:30], s[0:1], 0x10
	v_mul_u64_e32 v[10:11], s[6:7], v[10:11]
	v_dual_lshlrev_b32 v7, 1, v0 :: v_dual_lshlrev_b32 v20, 1, v6
	v_dual_lshrrev_b32 v18, 6, v15 :: v_dual_lshlrev_b32 v9, 1, v16
	v_lshl_add_u32 v21, v2, 3, 0x200
	s_delay_alu instid0(VALU_DEP_3) | instskip(NEXT) | instid1(VALU_DEP_3)
	v_dual_mov_b32 v7, v3 :: v_dual_bitop2_b32 v14, 6, v7 bitop3:0x40
	v_dual_mov_b32 v15, v3 :: v_dual_lshlrev_b32 v2, 1, v18
	s_delay_alu instid0(VALU_DEP_4) | instskip(SKIP_1) | instid1(VALU_DEP_4)
	v_lshl_or_b32 v22, v18, 7, v9
	v_mul_u64_e32 v[0:1], s[24:25], v[4:5]
	v_lshl_or_b32 v8, v8, 3, v14
	v_mul_u64_e32 v[4:5], s[14:15], v[4:5]
	v_add_nc_u64_e32 v[16:17], s[34:35], v[6:7]
	s_cmp_eq_f16 s33, 0
	s_delay_alu instid0(VALU_DEP_3)
	v_add_nc_u32_e32 v23, 0x200, v8
	s_wait_kmcnt 0x0
	v_cmp_gt_i64_e64 s0, s[28:29], 0
	s_cselect_b32 s1, -1, 0
	s_lshl_b64 s[6:7], s[22:23], 1
	s_lshl_b64 s[20:21], s[24:25], 4
	;; [unrolled: 1-line block ×5, first 2 shown]
	v_lshl_add_u64 v[6:7], v[12:13], 1, s[6:7]
	s_lshl_b64 s[6:7], s[8:9], 1
	v_cndmask_b32_e64 v12, 0, 1, s0
	v_lshl_add_u64 v[8:9], v[10:11], 1, s[6:7]
	v_lshlrev_b64_e32 v[10:11], 1, v[16:17]
	v_add_nc_u64_e32 v[6:7], v[6:7], v[14:15]
	s_lshl_b64 s[6:7], s[26:27], 1
	v_cmp_ne_u32_e64 s0, 1, v12
	v_add_nc_u64_e32 v[8:9], v[8:9], v[2:3]
	s_lshl_b64 s[8:9], s[20:21], 1
	s_branch .LBB62_3
.LBB62_2:                               ;   in Loop: Header=BB62_3 Depth=1
	s_add_co_i32 s2, s2, 0x10000
	s_delay_alu instid0(SALU_CYCLE_1)
	s_cmp_lt_i32 s2, s31
	s_cbranch_scc0 .LBB62_11
.LBB62_3:                               ; =>This Loop Header: Depth=1
                                        ;     Child Loop BB62_5 Depth 2
	v_mov_b32_e32 v2, s2
	s_and_b32 vcc_lo, exec_lo, s0
	s_clause 0x1
	global_load_b64 v[12:13], v2, s[12:13] scale_offset
	global_load_b64 v[14:15], v2, s[18:19] scale_offset
	s_cbranch_vccnz .LBB62_6
; %bb.4:                                ;   in Loop: Header=BB62_3 Depth=1
	s_lshl_b64 s[20:21], s[2:3], 3
	s_wait_xcnt 0x0
	v_dual_mov_b32 v2, 0 :: v_dual_mov_b32 v24, 0
	s_add_nc_u64 s[22:23], s[10:11], s[20:21]
	s_add_nc_u64 s[20:21], s[4:5], s[20:21]
	s_clause 0x1
	global_load_b64 v[16:17], v3, s[22:23]
	global_load_b64 v[18:19], v3, s[20:21]
	v_dual_mov_b32 v25, 0 :: v_dual_mov_b32 v26, 0
	v_dual_mov_b32 v27, 0 :: v_dual_mov_b32 v28, 0
	v_dual_mov_b32 v29, 0 :: v_dual_mov_b32 v30, 0
	s_wait_xcnt 0x0
	s_mov_b64 s[20:21], 0
	s_wait_loadcnt 0x1
	v_add_nc_u64_e32 v[16:17], v[16:17], v[6:7]
	s_wait_loadcnt 0x0
	v_add_nc_u64_e32 v[18:19], v[18:19], v[8:9]
.LBB62_5:                               ;   Parent Loop BB62_3 Depth=1
                                        ; =>  This Inner Loop Header: Depth=2
	flat_load_u16 v31, v[18:19]
	s_add_nc_u64 s[20:21], s[20:21], 4
	s_wait_xcnt 0x0
	v_add_nc_u64_e32 v[18:19], 8, v[18:19]
	v_cmp_lt_i64_e64 s22, s[20:21], s[28:29]
	s_and_b32 vcc_lo, exec_lo, s22
	s_wait_loadcnt_dscnt 0x0
	ds_store_b16 v22, v31
	flat_load_u16 v31, v[16:17]
	s_wait_xcnt 0x0
	v_add_nc_u64_e32 v[16:17], 8, v[16:17]
	s_wait_loadcnt_dscnt 0x0
	ds_store_b16 v23, v31
	s_wait_dscnt 0x0
	s_barrier_signal -1
	s_barrier_wait -1
	ds_load_u16 v31, v20
	ds_load_u16 v40, v20 offset:32
	ds_load_u16 v41, v20 offset:64
	;; [unrolled: 1-line block ×15, first 2 shown]
	ds_load_2addr_b64 v[32:35], v21 offset1:16
	ds_load_2addr_b64 v[36:39], v21 offset0:32 offset1:48
	s_wait_dscnt 0x0
	s_barrier_signal -1
	s_barrier_wait -1
	v_perm_b32 v31, v31, v40, 0x5040100
	v_perm_b32 v41, v41, v42, 0x5040100
	;; [unrolled: 1-line block ×8, first 2 shown]
	v_pk_fma_f16 v30, v31, v32, v30 op_sel_hi:[1,0,1]
	v_pk_fma_f16 v29, v41, v32, v29 op_sel_hi:[1,0,1]
	;; [unrolled: 1-line block ×8, first 2 shown]
	v_pk_fma_f16 v30, v40, v32, v30 op_sel:[0,1,0]
	v_pk_fma_f16 v29, v42, v32, v29 op_sel:[0,1,0]
	;; [unrolled: 1-line block ×8, first 2 shown]
	v_pk_fma_f16 v30, v43, v33, v30 op_sel_hi:[1,0,1]
	v_pk_fma_f16 v29, v45, v33, v29 op_sel_hi:[1,0,1]
	v_pk_fma_f16 v28, v43, v35, v28 op_sel_hi:[1,0,1]
	v_pk_fma_f16 v27, v45, v35, v27 op_sel_hi:[1,0,1]
	v_pk_fma_f16 v26, v43, v37, v26 op_sel_hi:[1,0,1]
	v_pk_fma_f16 v25, v45, v37, v25 op_sel_hi:[1,0,1]
	v_pk_fma_f16 v24, v43, v39, v24 op_sel_hi:[1,0,1]
	v_pk_fma_f16 v2, v45, v39, v2 op_sel_hi:[1,0,1]
	v_pk_fma_f16 v30, v44, v33, v30 op_sel:[0,1,0]
	v_pk_fma_f16 v29, v46, v33, v29 op_sel:[0,1,0]
	;; [unrolled: 1-line block ×8, first 2 shown]
	s_cbranch_vccnz .LBB62_5
	s_branch .LBB62_7
.LBB62_6:                               ;   in Loop: Header=BB62_3 Depth=1
	v_dual_mov_b32 v30, 0 :: v_dual_mov_b32 v29, 0
	v_dual_mov_b32 v28, 0 :: v_dual_mov_b32 v27, 0
	;; [unrolled: 1-line block ×3, first 2 shown]
	s_wait_xcnt 0x0
	v_dual_mov_b32 v24, 0 :: v_dual_mov_b32 v2, 0
.LBB62_7:                               ;   in Loop: Header=BB62_3 Depth=1
	s_wait_loadcnt 0x0
	v_add_nc_u64_e32 v[14:15], s[6:7], v[14:15]
	v_dual_lshrrev_b32 v36, 16, v30 :: v_dual_lshrrev_b32 v35, 16, v29
	v_dual_lshrrev_b32 v34, 16, v28 :: v_dual_lshrrev_b32 v33, 16, v27
	;; [unrolled: 1-line block ×3, first 2 shown]
	s_delay_alu instid0(VALU_DEP_4) | instskip(SKIP_2) | instid1(VALU_DEP_2)
	v_lshl_add_u64 v[14:15], v[0:1], 1, v[14:15]
	v_dual_lshrrev_b32 v19, 16, v24 :: v_dual_lshrrev_b32 v18, 16, v2
	s_and_not1_b32 vcc_lo, exec_lo, s1
	v_add_nc_u64_e32 v[16:17], v[14:15], v[10:11]
	v_add_nc_u64_e32 v[14:15], s[8:9], v[14:15]
	s_cbranch_vccnz .LBB62_9
; %bb.8:                                ;   in Loop: Header=BB62_3 Depth=1
	v_mul_f16_e32 v37, s30, v36
	v_mul_f16_e32 v40, s30, v30
	s_delay_alu instid0(VALU_DEP_3)
	v_add_nc_u64_e32 v[38:39], s[8:9], v[14:15]
	v_mul_f16_e32 v41, s30, v35
	v_mul_f16_e32 v42, s30, v29
	s_clause 0x3
	flat_store_b16 v[16:17], v37
	flat_store_b16 v[16:17], v40 offset:32
	flat_store_b16 v[16:17], v41 offset:64
	;; [unrolled: 1-line block ×3, first 2 shown]
	s_wait_xcnt 0x1
	v_add_nc_u64_e32 v[40:41], v[14:15], v[10:11]
	v_mul_f16_e32 v37, s30, v34
	v_mul_f16_e32 v44, s30, v28
	s_wait_xcnt 0x0
	v_add_nc_u64_e32 v[42:43], v[38:39], v[10:11]
	v_add_nc_u64_e32 v[38:39], s[8:9], v[38:39]
	v_mul_f16_e32 v45, s30, v33
	v_mul_f16_e32 v46, s30, v27
	s_clause 0x3
	flat_store_b16 v[40:41], v37
	flat_store_b16 v[40:41], v44 offset:32
	flat_store_b16 v[40:41], v45 offset:64
	;; [unrolled: 1-line block ×3, first 2 shown]
	s_wait_xcnt 0x3
	v_mul_f16_e32 v37, s30, v32
	s_wait_xcnt 0x0
	v_mul_f16_e32 v40, s30, v26
	v_mul_f16_e32 v41, s30, v31
	;; [unrolled: 1-line block ×3, first 2 shown]
	v_add_nc_u64_e32 v[38:39], v[38:39], v[10:11]
	s_clause 0x3
	flat_store_b16 v[42:43], v37
	flat_store_b16 v[42:43], v40 offset:32
	flat_store_b16 v[42:43], v41 offset:64
	;; [unrolled: 1-line block ×3, first 2 shown]
	s_wait_xcnt 0x3
	v_mul_f16_e32 v37, s30, v19
	s_wait_xcnt 0x2
	v_mul_f16_e32 v40, s30, v24
	;; [unrolled: 2-line block ×4, first 2 shown]
	s_clause 0x3
	flat_store_b16 v[38:39], v37
	flat_store_b16 v[38:39], v40 offset:32
	flat_store_b16 v[38:39], v41 offset:64
	;; [unrolled: 1-line block ×3, first 2 shown]
	s_cbranch_execnz .LBB62_2
	s_branch .LBB62_10
.LBB62_9:                               ;   in Loop: Header=BB62_3 Depth=1
.LBB62_10:                              ;   in Loop: Header=BB62_3 Depth=1
	v_add_nc_u64_e32 v[12:13], s[14:15], v[12:13]
	s_delay_alu instid0(VALU_DEP_1) | instskip(SKIP_1) | instid1(VALU_DEP_1)
	v_lshl_add_u64 v[12:13], v[4:5], 1, v[12:13]
	s_wait_xcnt 0x0
	v_add_nc_u64_e32 v[38:39], v[12:13], v[10:11]
	v_add_nc_u64_e32 v[12:13], s[16:17], v[12:13]
	flat_load_u16 v37, v[38:39]
	s_wait_loadcnt_dscnt 0x0
	v_mul_f16_e32 v37, s33, v37
	s_delay_alu instid0(VALU_DEP_1) | instskip(SKIP_4) | instid1(VALU_DEP_1)
	v_fmac_f16_e32 v37, s30, v36
	flat_store_b16 v[16:17], v37
	flat_load_u16 v36, v[38:39] offset:32
	s_wait_loadcnt_dscnt 0x0
	v_mul_f16_e32 v36, s33, v36
	v_fmac_f16_e32 v36, s30, v30
	flat_store_b16 v[16:17], v36 offset:32
	flat_load_u16 v30, v[38:39] offset:64
	s_wait_xcnt 0x1
	v_add_nc_u64_e32 v[36:37], v[12:13], v[10:11]
	v_add_nc_u64_e32 v[12:13], s[16:17], v[12:13]
	s_wait_loadcnt_dscnt 0x0
	v_mul_f16_e32 v30, s33, v30
	s_delay_alu instid0(VALU_DEP_1) | instskip(SKIP_4) | instid1(VALU_DEP_1)
	v_fmac_f16_e32 v30, s30, v35
	flat_store_b16 v[16:17], v30 offset:64
	flat_load_u16 v30, v[38:39] offset:96
	s_wait_loadcnt_dscnt 0x0
	v_mul_f16_e32 v30, s33, v30
	v_fmac_f16_e32 v30, s30, v29
	flat_store_b16 v[16:17], v30 offset:96
	flat_load_u16 v16, v[36:37]
	s_wait_loadcnt_dscnt 0x0
	v_mul_f16_e32 v29, s33, v16
	v_add_nc_u64_e32 v[16:17], v[14:15], v[10:11]
	v_add_nc_u64_e32 v[14:15], s[8:9], v[14:15]
	s_delay_alu instid0(VALU_DEP_3) | instskip(SKIP_4) | instid1(VALU_DEP_1)
	v_fmac_f16_e32 v29, s30, v34
	flat_store_b16 v[16:17], v29
	flat_load_u16 v29, v[36:37] offset:32
	s_wait_loadcnt_dscnt 0x0
	v_mul_f16_e32 v29, s33, v29
	v_fmac_f16_e32 v29, s30, v28
	flat_store_b16 v[16:17], v29 offset:32
	flat_load_u16 v28, v[36:37] offset:64
	s_wait_loadcnt_dscnt 0x0
	v_mul_f16_e32 v28, s33, v28
	s_delay_alu instid0(VALU_DEP_1)
	v_fmac_f16_e32 v28, s30, v33
	flat_store_b16 v[16:17], v28 offset:64
	flat_load_u16 v28, v[36:37] offset:96
	s_wait_loadcnt_dscnt 0x0
	v_mul_f16_e32 v30, s33, v28
	v_add_nc_u64_e32 v[28:29], v[12:13], v[10:11]
	v_add_nc_u64_e32 v[12:13], s[16:17], v[12:13]
	s_delay_alu instid0(VALU_DEP_3) | instskip(NEXT) | instid1(VALU_DEP_2)
	v_fmac_f16_e32 v30, s30, v27
	v_add_nc_u64_e32 v[12:13], v[12:13], v[10:11]
	flat_store_b16 v[16:17], v30 offset:96
	flat_load_u16 v16, v[28:29]
	s_wait_loadcnt_dscnt 0x0
	v_mul_f16_e32 v27, s33, v16
	v_add_nc_u64_e32 v[16:17], v[14:15], v[10:11]
	v_add_nc_u64_e32 v[14:15], s[8:9], v[14:15]
	s_delay_alu instid0(VALU_DEP_3) | instskip(NEXT) | instid1(VALU_DEP_2)
	v_fmac_f16_e32 v27, s30, v32
	v_add_nc_u64_e32 v[14:15], v[14:15], v[10:11]
	flat_store_b16 v[16:17], v27
	flat_load_u16 v27, v[28:29] offset:32
	s_wait_loadcnt_dscnt 0x0
	v_mul_f16_e32 v27, s33, v27
	s_delay_alu instid0(VALU_DEP_1) | instskip(SKIP_4) | instid1(VALU_DEP_1)
	v_fmac_f16_e32 v27, s30, v26
	flat_store_b16 v[16:17], v27 offset:32
	flat_load_u16 v26, v[28:29] offset:64
	s_wait_loadcnt_dscnt 0x0
	v_mul_f16_e32 v26, s33, v26
	v_fmac_f16_e32 v26, s30, v31
	flat_store_b16 v[16:17], v26 offset:64
	flat_load_u16 v26, v[28:29] offset:96
	s_wait_loadcnt_dscnt 0x0
	v_mul_f16_e32 v26, s33, v26
	s_delay_alu instid0(VALU_DEP_1) | instskip(SKIP_4) | instid1(VALU_DEP_1)
	v_fmac_f16_e32 v26, s30, v25
	flat_store_b16 v[16:17], v26 offset:96
	flat_load_u16 v16, v[12:13]
	s_wait_loadcnt_dscnt 0x0
	v_mul_f16_e32 v16, s33, v16
	v_fmac_f16_e32 v16, s30, v19
	flat_store_b16 v[14:15], v16
	flat_load_u16 v16, v[12:13] offset:32
	s_wait_loadcnt_dscnt 0x0
	v_mul_f16_e32 v16, s33, v16
	s_delay_alu instid0(VALU_DEP_1) | instskip(SKIP_4) | instid1(VALU_DEP_1)
	v_fmac_f16_e32 v16, s30, v24
	flat_store_b16 v[14:15], v16 offset:32
	flat_load_u16 v16, v[12:13] offset:64
	s_wait_loadcnt_dscnt 0x0
	v_mul_f16_e32 v16, s33, v16
	v_fmac_f16_e32 v16, s30, v18
	flat_store_b16 v[14:15], v16 offset:64
	flat_load_u16 v12, v[12:13] offset:96
	s_wait_loadcnt_dscnt 0x0
	s_wait_xcnt 0x0
	v_mul_f16_e32 v12, s33, v12
	s_delay_alu instid0(VALU_DEP_1)
	v_fmac_f16_e32 v12, s30, v2
	flat_store_b16 v[14:15], v12 offset:96
	s_branch .LBB62_2
.LBB62_11:
	s_endpgm
	.section	.rodata,"a",@progbits
	.p2align	6, 0x0
	.amdhsa_kernel _ZN12_GLOBAL__N_127rocblas_gemm_batched_kernelIDF16_Li16ELi16ELi64ELi64ELi4ELi64ELi4ELi4ELi64ELc67ELc78EKPKDF16_S3_KPDF16_EEvlllT_PT11_llS8_llS6_PT12_llPT13_lli
		.amdhsa_group_segment_fixed_size 1024
		.amdhsa_private_segment_fixed_size 0
		.amdhsa_kernarg_size 140
		.amdhsa_user_sgpr_count 2
		.amdhsa_user_sgpr_dispatch_ptr 0
		.amdhsa_user_sgpr_queue_ptr 0
		.amdhsa_user_sgpr_kernarg_segment_ptr 1
		.amdhsa_user_sgpr_dispatch_id 0
		.amdhsa_user_sgpr_kernarg_preload_length 0
		.amdhsa_user_sgpr_kernarg_preload_offset 0
		.amdhsa_user_sgpr_private_segment_size 0
		.amdhsa_wavefront_size32 1
		.amdhsa_uses_dynamic_stack 0
		.amdhsa_enable_private_segment 0
		.amdhsa_system_sgpr_workgroup_id_x 1
		.amdhsa_system_sgpr_workgroup_id_y 1
		.amdhsa_system_sgpr_workgroup_id_z 1
		.amdhsa_system_sgpr_workgroup_info 0
		.amdhsa_system_vgpr_workitem_id 1
		.amdhsa_next_free_vgpr 55
		.amdhsa_next_free_sgpr 36
		.amdhsa_named_barrier_count 0
		.amdhsa_reserve_vcc 1
		.amdhsa_float_round_mode_32 0
		.amdhsa_float_round_mode_16_64 0
		.amdhsa_float_denorm_mode_32 3
		.amdhsa_float_denorm_mode_16_64 3
		.amdhsa_fp16_overflow 0
		.amdhsa_memory_ordered 1
		.amdhsa_forward_progress 1
		.amdhsa_inst_pref_size 19
		.amdhsa_round_robin_scheduling 0
		.amdhsa_exception_fp_ieee_invalid_op 0
		.amdhsa_exception_fp_denorm_src 0
		.amdhsa_exception_fp_ieee_div_zero 0
		.amdhsa_exception_fp_ieee_overflow 0
		.amdhsa_exception_fp_ieee_underflow 0
		.amdhsa_exception_fp_ieee_inexact 0
		.amdhsa_exception_int_div_zero 0
	.end_amdhsa_kernel
	.section	.text._ZN12_GLOBAL__N_127rocblas_gemm_batched_kernelIDF16_Li16ELi16ELi64ELi64ELi4ELi64ELi4ELi4ELi64ELc67ELc78EKPKDF16_S3_KPDF16_EEvlllT_PT11_llS8_llS6_PT12_llPT13_lli,"axG",@progbits,_ZN12_GLOBAL__N_127rocblas_gemm_batched_kernelIDF16_Li16ELi16ELi64ELi64ELi4ELi64ELi4ELi4ELi64ELc67ELc78EKPKDF16_S3_KPDF16_EEvlllT_PT11_llS8_llS6_PT12_llPT13_lli,comdat
.Lfunc_end62:
	.size	_ZN12_GLOBAL__N_127rocblas_gemm_batched_kernelIDF16_Li16ELi16ELi64ELi64ELi4ELi64ELi4ELi4ELi64ELc67ELc78EKPKDF16_S3_KPDF16_EEvlllT_PT11_llS8_llS6_PT12_llPT13_lli, .Lfunc_end62-_ZN12_GLOBAL__N_127rocblas_gemm_batched_kernelIDF16_Li16ELi16ELi64ELi64ELi4ELi64ELi4ELi4ELi64ELc67ELc78EKPKDF16_S3_KPDF16_EEvlllT_PT11_llS8_llS6_PT12_llPT13_lli
                                        ; -- End function
	.set _ZN12_GLOBAL__N_127rocblas_gemm_batched_kernelIDF16_Li16ELi16ELi64ELi64ELi4ELi64ELi4ELi4ELi64ELc67ELc78EKPKDF16_S3_KPDF16_EEvlllT_PT11_llS8_llS6_PT12_llPT13_lli.num_vgpr, 55
	.set _ZN12_GLOBAL__N_127rocblas_gemm_batched_kernelIDF16_Li16ELi16ELi64ELi64ELi4ELi64ELi4ELi4ELi64ELc67ELc78EKPKDF16_S3_KPDF16_EEvlllT_PT11_llS8_llS6_PT12_llPT13_lli.num_agpr, 0
	.set _ZN12_GLOBAL__N_127rocblas_gemm_batched_kernelIDF16_Li16ELi16ELi64ELi64ELi4ELi64ELi4ELi4ELi64ELc67ELc78EKPKDF16_S3_KPDF16_EEvlllT_PT11_llS8_llS6_PT12_llPT13_lli.numbered_sgpr, 36
	.set _ZN12_GLOBAL__N_127rocblas_gemm_batched_kernelIDF16_Li16ELi16ELi64ELi64ELi4ELi64ELi4ELi4ELi64ELc67ELc78EKPKDF16_S3_KPDF16_EEvlllT_PT11_llS8_llS6_PT12_llPT13_lli.num_named_barrier, 0
	.set _ZN12_GLOBAL__N_127rocblas_gemm_batched_kernelIDF16_Li16ELi16ELi64ELi64ELi4ELi64ELi4ELi4ELi64ELc67ELc78EKPKDF16_S3_KPDF16_EEvlllT_PT11_llS8_llS6_PT12_llPT13_lli.private_seg_size, 0
	.set _ZN12_GLOBAL__N_127rocblas_gemm_batched_kernelIDF16_Li16ELi16ELi64ELi64ELi4ELi64ELi4ELi4ELi64ELc67ELc78EKPKDF16_S3_KPDF16_EEvlllT_PT11_llS8_llS6_PT12_llPT13_lli.uses_vcc, 1
	.set _ZN12_GLOBAL__N_127rocblas_gemm_batched_kernelIDF16_Li16ELi16ELi64ELi64ELi4ELi64ELi4ELi4ELi64ELc67ELc78EKPKDF16_S3_KPDF16_EEvlllT_PT11_llS8_llS6_PT12_llPT13_lli.uses_flat_scratch, 1
	.set _ZN12_GLOBAL__N_127rocblas_gemm_batched_kernelIDF16_Li16ELi16ELi64ELi64ELi4ELi64ELi4ELi4ELi64ELc67ELc78EKPKDF16_S3_KPDF16_EEvlllT_PT11_llS8_llS6_PT12_llPT13_lli.has_dyn_sized_stack, 0
	.set _ZN12_GLOBAL__N_127rocblas_gemm_batched_kernelIDF16_Li16ELi16ELi64ELi64ELi4ELi64ELi4ELi4ELi64ELc67ELc78EKPKDF16_S3_KPDF16_EEvlllT_PT11_llS8_llS6_PT12_llPT13_lli.has_recursion, 0
	.set _ZN12_GLOBAL__N_127rocblas_gemm_batched_kernelIDF16_Li16ELi16ELi64ELi64ELi4ELi64ELi4ELi4ELi64ELc67ELc78EKPKDF16_S3_KPDF16_EEvlllT_PT11_llS8_llS6_PT12_llPT13_lli.has_indirect_call, 0
	.section	.AMDGPU.csdata,"",@progbits
; Kernel info:
; codeLenInByte = 2420
; TotalNumSgprs: 38
; NumVgprs: 55
; ScratchSize: 0
; MemoryBound: 0
; FloatMode: 240
; IeeeMode: 1
; LDSByteSize: 1024 bytes/workgroup (compile time only)
; SGPRBlocks: 0
; VGPRBlocks: 3
; NumSGPRsForWavesPerEU: 38
; NumVGPRsForWavesPerEU: 55
; NamedBarCnt: 0
; Occupancy: 16
; WaveLimiterHint : 1
; COMPUTE_PGM_RSRC2:SCRATCH_EN: 0
; COMPUTE_PGM_RSRC2:USER_SGPR: 2
; COMPUTE_PGM_RSRC2:TRAP_HANDLER: 0
; COMPUTE_PGM_RSRC2:TGID_X_EN: 1
; COMPUTE_PGM_RSRC2:TGID_Y_EN: 1
; COMPUTE_PGM_RSRC2:TGID_Z_EN: 1
; COMPUTE_PGM_RSRC2:TIDIG_COMP_CNT: 1
	.section	.text._ZN12_GLOBAL__N_127rocblas_gemm_batched_kernelIDF16_Li16ELi16ELi64ELi64ELi4ELi64ELi4ELi4ELi64ELc67ELc84EKPKDF16_S3_KPDF16_EEvlllT_PT11_llS8_llS6_PT12_llPT13_lli,"axG",@progbits,_ZN12_GLOBAL__N_127rocblas_gemm_batched_kernelIDF16_Li16ELi16ELi64ELi64ELi4ELi64ELi4ELi4ELi64ELc67ELc84EKPKDF16_S3_KPDF16_EEvlllT_PT11_llS8_llS6_PT12_llPT13_lli,comdat
	.globl	_ZN12_GLOBAL__N_127rocblas_gemm_batched_kernelIDF16_Li16ELi16ELi64ELi64ELi4ELi64ELi4ELi4ELi64ELc67ELc84EKPKDF16_S3_KPDF16_EEvlllT_PT11_llS8_llS6_PT12_llPT13_lli ; -- Begin function _ZN12_GLOBAL__N_127rocblas_gemm_batched_kernelIDF16_Li16ELi16ELi64ELi64ELi4ELi64ELi4ELi4ELi64ELc67ELc84EKPKDF16_S3_KPDF16_EEvlllT_PT11_llS8_llS6_PT12_llPT13_lli
	.p2align	8
	.type	_ZN12_GLOBAL__N_127rocblas_gemm_batched_kernelIDF16_Li16ELi16ELi64ELi64ELi4ELi64ELi4ELi4ELi64ELc67ELc84EKPKDF16_S3_KPDF16_EEvlllT_PT11_llS8_llS6_PT12_llPT13_lli,@function
_ZN12_GLOBAL__N_127rocblas_gemm_batched_kernelIDF16_Li16ELi16ELi64ELi64ELi4ELi64ELi4ELi4ELi64ELc67ELc84EKPKDF16_S3_KPDF16_EEvlllT_PT11_llS8_llS6_PT12_llPT13_lli: ; @_ZN12_GLOBAL__N_127rocblas_gemm_batched_kernelIDF16_Li16ELi16ELi64ELi64ELi4ELi64ELi4ELi4ELi64ELc67ELc84EKPKDF16_S3_KPDF16_EEvlllT_PT11_llS8_llS6_PT12_llPT13_lli
; %bb.0:
	s_load_b32 s31, s[0:1], 0x88
	s_bfe_u32 s2, ttmp6, 0x40014
	s_lshr_b32 s3, ttmp7, 16
	s_add_co_i32 s2, s2, 1
	s_bfe_u32 s4, ttmp6, 0x40008
	s_mul_i32 s2, s3, s2
	s_getreg_b32 s28, hwreg(HW_REG_IB_STS2, 6, 4)
	s_add_co_i32 s4, s4, s2
	s_cmp_eq_u32 s28, 0
	s_cselect_b32 s2, s3, s4
	s_mov_b32 s3, 0
	s_wait_kmcnt 0x0
	s_cmp_ge_i32 s2, s31
	s_cbranch_scc1 .LBB63_11
; %bb.1:
	v_bfe_u32 v2, v0, 10, 10
	v_and_b32_e32 v6, 0x3ff, v0
	s_bfe_u32 s30, ttmp6, 0x4000c
	s_bfe_u32 s33, ttmp6, 0x40010
	s_clause 0x2
	s_load_b256 s[4:11], s[0:1], 0x20
	s_load_b128 s[24:27], s[0:1], 0x40
	s_load_b128 s[20:23], s[0:1], 0x78
	s_add_co_i32 s30, s30, 1
	s_and_b32 s34, ttmp7, 0xffff
	s_add_co_i32 s33, s33, 1
	s_and_b32 s29, ttmp6, 15
	s_mul_i32 s30, ttmp9, s30
	s_mul_i32 s33, s34, s33
	s_bfe_u32 s35, ttmp6, 0x40004
	v_lshl_add_u32 v7, v2, 4, v6
	s_add_co_i32 s29, s29, s30
	s_add_co_i32 s35, s35, s33
	s_cmp_eq_u32 s28, 0
	s_delay_alu instid0(VALU_DEP_1)
	v_dual_mov_b32 v3, 0 :: v_dual_bitop2_b32 v14, 63, v7 bitop3:0x40
	s_cselect_b32 s28, ttmp9, s29
	s_cselect_b32 s30, s34, s35
	s_ashr_i32 s29, s28, 31
	s_load_b256 s[12:19], s[0:1], 0x58
	s_lshl_b64 s[34:35], s[28:29], 6
	v_dual_lshrrev_b32 v8, 2, v7 :: v_dual_bitop2_b32 v15, 3, v0 bitop3:0x40
	v_dual_mov_b32 v9, v3 :: v_dual_bitop2_b32 v0, s34, v14 bitop3:0x54
	v_dual_mov_b32 v1, s35 :: v_dual_lshrrev_b32 v16, 6, v7
	s_load_b32 s33, s[0:1], 0x50
	s_wait_kmcnt 0x0
	s_delay_alu instid0(VALU_DEP_2)
	v_mad_nc_u64_u32 v[10:11], s24, v15, v[8:9]
	v_dual_lshlrev_b32 v7, 1, v15 :: v_dual_lshlrev_b32 v9, 1, v14
	v_mul_u64_e32 v[12:13], s[6:7], v[0:1]
	s_lshl_b32 s6, s30, 6
	s_mov_b32 s7, s3
	s_load_b96 s[28:30], s[0:1], 0x10
	v_add_nc_u64_e32 v[4:5], s[6:7], v[2:3]
	v_lshl_or_b32 v14, v8, 3, v7
	v_dual_mov_b32 v7, v3 :: v_dual_lshlrev_b32 v22, 1, v6
	v_mad_u32 v11, s25, v15, v11
	v_lshl_or_b32 v20, v16, 7, v9
	v_lshl_add_u32 v23, v2, 3, 0x200
	v_mul_u64_e32 v[0:1], s[20:21], v[4:5]
	v_mul_u64_e32 v[4:5], s[14:15], v[4:5]
	v_lshlrev_b32_e32 v2, 1, v16
	v_add_nc_u32_e32 v21, 0x200, v14
	s_cmp_eq_f16 s33, 0
	v_add_nc_u64_e32 v[8:9], s[6:7], v[10:11]
	s_wait_xcnt 0x0
	s_cselect_b32 s1, -1, 0
	v_add_nc_u64_e32 v[10:11], s[34:35], v[6:7]
	s_lshl_b64 s[6:7], s[8:9], 1
	s_wait_kmcnt 0x0
	v_cmp_gt_i64_e64 s0, s[28:29], 0
	s_lshl_b64 s[20:21], s[20:21], 4
	s_lshl_b64 s[34:35], s[14:15], 4
	v_lshlrev_b64_e32 v[6:7], 1, v[8:9]
	s_lshl_b64 s[8:9], s[22:23], 1
	v_lshlrev_b64_e32 v[10:11], 1, v[10:11]
	s_lshl_b64 s[14:15], s[20:21], 1
	s_lshl_b64 s[16:17], s[16:17], 1
	;; [unrolled: 1-line block ×3, first 2 shown]
	v_lshl_add_u64 v[8:9], v[12:13], 1, s[6:7]
	v_cndmask_b32_e64 v12, 0, 1, s0
	v_lshl_add_u64 v[6:7], s[26:27], 1, v[6:7]
	s_lshl_b64 s[6:7], s[24:25], 3
	s_delay_alu instid0(VALU_DEP_3) | instskip(NEXT) | instid1(VALU_DEP_3)
	v_add_nc_u64_e32 v[8:9], v[8:9], v[2:3]
	v_cmp_ne_u32_e64 s0, 1, v12
	s_branch .LBB63_3
.LBB63_2:                               ;   in Loop: Header=BB63_3 Depth=1
	s_add_co_i32 s2, s2, 0x10000
	s_delay_alu instid0(SALU_CYCLE_1)
	s_cmp_lt_i32 s2, s31
	s_cbranch_scc0 .LBB63_11
.LBB63_3:                               ; =>This Loop Header: Depth=1
                                        ;     Child Loop BB63_5 Depth 2
	v_mov_b32_e32 v2, s2
	s_delay_alu instid0(VALU_DEP_2)
	s_and_b32 vcc_lo, exec_lo, s0
	s_clause 0x1
	global_load_b64 v[12:13], v2, s[12:13] scale_offset
	global_load_b64 v[14:15], v2, s[18:19] scale_offset
	s_cbranch_vccnz .LBB63_6
; %bb.4:                                ;   in Loop: Header=BB63_3 Depth=1
	s_lshl_b64 s[22:23], s[2:3], 3
	s_wait_xcnt 0x0
	v_dual_mov_b32 v2, 0 :: v_dual_mov_b32 v24, 0
	s_add_nc_u64 s[24:25], s[10:11], s[22:23]
	s_add_nc_u64 s[22:23], s[4:5], s[22:23]
	s_clause 0x1
	global_load_b64 v[16:17], v3, s[24:25]
	global_load_b64 v[18:19], v3, s[22:23]
	v_dual_mov_b32 v25, 0 :: v_dual_mov_b32 v26, 0
	v_dual_mov_b32 v27, 0 :: v_dual_mov_b32 v28, 0
	v_dual_mov_b32 v29, 0 :: v_dual_mov_b32 v30, 0
	s_wait_xcnt 0x0
	s_mov_b64 s[22:23], 0
	s_wait_loadcnt 0x1
	v_add_nc_u64_e32 v[16:17], v[16:17], v[6:7]
	s_wait_loadcnt 0x0
	v_add_nc_u64_e32 v[18:19], v[18:19], v[8:9]
.LBB63_5:                               ;   Parent Loop BB63_3 Depth=1
                                        ; =>  This Inner Loop Header: Depth=2
	flat_load_u16 v31, v[18:19]
	s_add_nc_u64 s[22:23], s[22:23], 4
	s_wait_xcnt 0x0
	v_add_nc_u64_e32 v[18:19], 8, v[18:19]
	v_cmp_lt_i64_e64 s24, s[22:23], s[28:29]
	s_and_b32 vcc_lo, exec_lo, s24
	s_wait_loadcnt_dscnt 0x0
	ds_store_b16 v20, v31
	flat_load_u16 v31, v[16:17]
	s_wait_xcnt 0x0
	v_add_nc_u64_e32 v[16:17], s[6:7], v[16:17]
	s_wait_loadcnt_dscnt 0x0
	ds_store_b16 v21, v31
	s_wait_dscnt 0x0
	s_barrier_signal -1
	s_barrier_wait -1
	ds_load_u16 v31, v22
	ds_load_u16 v40, v22 offset:32
	ds_load_u16 v41, v22 offset:64
	;; [unrolled: 1-line block ×15, first 2 shown]
	ds_load_2addr_b64 v[32:35], v23 offset1:16
	ds_load_2addr_b64 v[36:39], v23 offset0:32 offset1:48
	s_wait_dscnt 0x0
	s_barrier_signal -1
	s_barrier_wait -1
	v_perm_b32 v31, v31, v40, 0x5040100
	v_perm_b32 v41, v41, v42, 0x5040100
	;; [unrolled: 1-line block ×8, first 2 shown]
	v_pk_fma_f16 v30, v31, v32, v30 op_sel_hi:[1,0,1]
	v_pk_fma_f16 v29, v41, v32, v29 op_sel_hi:[1,0,1]
	;; [unrolled: 1-line block ×8, first 2 shown]
	v_pk_fma_f16 v30, v40, v32, v30 op_sel:[0,1,0]
	v_pk_fma_f16 v29, v42, v32, v29 op_sel:[0,1,0]
	;; [unrolled: 1-line block ×8, first 2 shown]
	v_pk_fma_f16 v30, v43, v33, v30 op_sel_hi:[1,0,1]
	v_pk_fma_f16 v29, v45, v33, v29 op_sel_hi:[1,0,1]
	;; [unrolled: 1-line block ×8, first 2 shown]
	v_pk_fma_f16 v30, v44, v33, v30 op_sel:[0,1,0]
	v_pk_fma_f16 v29, v46, v33, v29 op_sel:[0,1,0]
	;; [unrolled: 1-line block ×8, first 2 shown]
	s_cbranch_vccnz .LBB63_5
	s_branch .LBB63_7
.LBB63_6:                               ;   in Loop: Header=BB63_3 Depth=1
	v_dual_mov_b32 v30, 0 :: v_dual_mov_b32 v29, 0
	v_dual_mov_b32 v28, 0 :: v_dual_mov_b32 v27, 0
	;; [unrolled: 1-line block ×3, first 2 shown]
	s_wait_xcnt 0x0
	v_dual_mov_b32 v24, 0 :: v_dual_mov_b32 v2, 0
.LBB63_7:                               ;   in Loop: Header=BB63_3 Depth=1
	s_wait_loadcnt 0x0
	v_add_nc_u64_e32 v[14:15], s[8:9], v[14:15]
	v_dual_lshrrev_b32 v36, 16, v30 :: v_dual_lshrrev_b32 v35, 16, v29
	v_dual_lshrrev_b32 v34, 16, v28 :: v_dual_lshrrev_b32 v33, 16, v27
	v_dual_lshrrev_b32 v32, 16, v26 :: v_dual_lshrrev_b32 v31, 16, v25
	s_delay_alu instid0(VALU_DEP_4) | instskip(SKIP_2) | instid1(VALU_DEP_2)
	v_lshl_add_u64 v[14:15], v[0:1], 1, v[14:15]
	v_dual_lshrrev_b32 v19, 16, v24 :: v_dual_lshrrev_b32 v18, 16, v2
	s_and_not1_b32 vcc_lo, exec_lo, s1
	v_add_nc_u64_e32 v[16:17], v[14:15], v[10:11]
	v_add_nc_u64_e32 v[14:15], s[14:15], v[14:15]
	s_cbranch_vccnz .LBB63_9
; %bb.8:                                ;   in Loop: Header=BB63_3 Depth=1
	v_mul_f16_e32 v37, s30, v36
	v_mul_f16_e32 v40, s30, v30
	s_delay_alu instid0(VALU_DEP_3)
	v_add_nc_u64_e32 v[38:39], s[14:15], v[14:15]
	v_mul_f16_e32 v41, s30, v35
	v_mul_f16_e32 v42, s30, v29
	s_clause 0x3
	flat_store_b16 v[16:17], v37
	flat_store_b16 v[16:17], v40 offset:32
	flat_store_b16 v[16:17], v41 offset:64
	;; [unrolled: 1-line block ×3, first 2 shown]
	s_wait_xcnt 0x1
	v_add_nc_u64_e32 v[40:41], v[14:15], v[10:11]
	v_mul_f16_e32 v37, s30, v34
	v_mul_f16_e32 v44, s30, v28
	s_wait_xcnt 0x0
	v_add_nc_u64_e32 v[42:43], v[38:39], v[10:11]
	v_add_nc_u64_e32 v[38:39], s[14:15], v[38:39]
	v_mul_f16_e32 v45, s30, v33
	v_mul_f16_e32 v46, s30, v27
	s_clause 0x3
	flat_store_b16 v[40:41], v37
	flat_store_b16 v[40:41], v44 offset:32
	flat_store_b16 v[40:41], v45 offset:64
	;; [unrolled: 1-line block ×3, first 2 shown]
	s_wait_xcnt 0x3
	v_mul_f16_e32 v37, s30, v32
	s_wait_xcnt 0x0
	v_mul_f16_e32 v40, s30, v26
	v_mul_f16_e32 v41, s30, v31
	;; [unrolled: 1-line block ×3, first 2 shown]
	v_add_nc_u64_e32 v[38:39], v[38:39], v[10:11]
	s_clause 0x3
	flat_store_b16 v[42:43], v37
	flat_store_b16 v[42:43], v40 offset:32
	flat_store_b16 v[42:43], v41 offset:64
	;; [unrolled: 1-line block ×3, first 2 shown]
	s_wait_xcnt 0x3
	v_mul_f16_e32 v37, s30, v19
	s_wait_xcnt 0x2
	v_mul_f16_e32 v40, s30, v24
	s_wait_xcnt 0x1
	v_mul_f16_e32 v41, s30, v18
	s_wait_xcnt 0x0
	v_mul_f16_e32 v42, s30, v2
	s_clause 0x3
	flat_store_b16 v[38:39], v37
	flat_store_b16 v[38:39], v40 offset:32
	flat_store_b16 v[38:39], v41 offset:64
	;; [unrolled: 1-line block ×3, first 2 shown]
	s_cbranch_execnz .LBB63_2
	s_branch .LBB63_10
.LBB63_9:                               ;   in Loop: Header=BB63_3 Depth=1
.LBB63_10:                              ;   in Loop: Header=BB63_3 Depth=1
	v_add_nc_u64_e32 v[12:13], s[16:17], v[12:13]
	s_delay_alu instid0(VALU_DEP_1) | instskip(SKIP_1) | instid1(VALU_DEP_1)
	v_lshl_add_u64 v[12:13], v[4:5], 1, v[12:13]
	s_wait_xcnt 0x0
	v_add_nc_u64_e32 v[38:39], v[12:13], v[10:11]
	v_add_nc_u64_e32 v[12:13], s[20:21], v[12:13]
	flat_load_u16 v37, v[38:39]
	s_wait_loadcnt_dscnt 0x0
	v_mul_f16_e32 v37, s33, v37
	s_delay_alu instid0(VALU_DEP_1) | instskip(SKIP_4) | instid1(VALU_DEP_1)
	v_fmac_f16_e32 v37, s30, v36
	flat_store_b16 v[16:17], v37
	flat_load_u16 v36, v[38:39] offset:32
	s_wait_loadcnt_dscnt 0x0
	v_mul_f16_e32 v36, s33, v36
	v_fmac_f16_e32 v36, s30, v30
	flat_store_b16 v[16:17], v36 offset:32
	flat_load_u16 v30, v[38:39] offset:64
	s_wait_xcnt 0x1
	v_add_nc_u64_e32 v[36:37], v[12:13], v[10:11]
	v_add_nc_u64_e32 v[12:13], s[20:21], v[12:13]
	s_wait_loadcnt_dscnt 0x0
	v_mul_f16_e32 v30, s33, v30
	s_delay_alu instid0(VALU_DEP_1) | instskip(SKIP_4) | instid1(VALU_DEP_1)
	v_fmac_f16_e32 v30, s30, v35
	flat_store_b16 v[16:17], v30 offset:64
	flat_load_u16 v30, v[38:39] offset:96
	s_wait_loadcnt_dscnt 0x0
	v_mul_f16_e32 v30, s33, v30
	v_fmac_f16_e32 v30, s30, v29
	flat_store_b16 v[16:17], v30 offset:96
	flat_load_u16 v16, v[36:37]
	s_wait_loadcnt_dscnt 0x0
	v_mul_f16_e32 v29, s33, v16
	v_add_nc_u64_e32 v[16:17], v[14:15], v[10:11]
	v_add_nc_u64_e32 v[14:15], s[14:15], v[14:15]
	s_delay_alu instid0(VALU_DEP_3) | instskip(SKIP_4) | instid1(VALU_DEP_1)
	v_fmac_f16_e32 v29, s30, v34
	flat_store_b16 v[16:17], v29
	flat_load_u16 v29, v[36:37] offset:32
	s_wait_loadcnt_dscnt 0x0
	v_mul_f16_e32 v29, s33, v29
	v_fmac_f16_e32 v29, s30, v28
	flat_store_b16 v[16:17], v29 offset:32
	flat_load_u16 v28, v[36:37] offset:64
	s_wait_loadcnt_dscnt 0x0
	v_mul_f16_e32 v28, s33, v28
	s_delay_alu instid0(VALU_DEP_1)
	v_fmac_f16_e32 v28, s30, v33
	flat_store_b16 v[16:17], v28 offset:64
	flat_load_u16 v28, v[36:37] offset:96
	s_wait_loadcnt_dscnt 0x0
	v_mul_f16_e32 v30, s33, v28
	v_add_nc_u64_e32 v[28:29], v[12:13], v[10:11]
	v_add_nc_u64_e32 v[12:13], s[20:21], v[12:13]
	s_delay_alu instid0(VALU_DEP_3) | instskip(NEXT) | instid1(VALU_DEP_2)
	v_fmac_f16_e32 v30, s30, v27
	v_add_nc_u64_e32 v[12:13], v[12:13], v[10:11]
	flat_store_b16 v[16:17], v30 offset:96
	flat_load_u16 v16, v[28:29]
	s_wait_loadcnt_dscnt 0x0
	v_mul_f16_e32 v27, s33, v16
	v_add_nc_u64_e32 v[16:17], v[14:15], v[10:11]
	v_add_nc_u64_e32 v[14:15], s[14:15], v[14:15]
	s_delay_alu instid0(VALU_DEP_3) | instskip(NEXT) | instid1(VALU_DEP_2)
	v_fmac_f16_e32 v27, s30, v32
	v_add_nc_u64_e32 v[14:15], v[14:15], v[10:11]
	flat_store_b16 v[16:17], v27
	flat_load_u16 v27, v[28:29] offset:32
	s_wait_loadcnt_dscnt 0x0
	v_mul_f16_e32 v27, s33, v27
	s_delay_alu instid0(VALU_DEP_1) | instskip(SKIP_4) | instid1(VALU_DEP_1)
	v_fmac_f16_e32 v27, s30, v26
	flat_store_b16 v[16:17], v27 offset:32
	flat_load_u16 v26, v[28:29] offset:64
	s_wait_loadcnt_dscnt 0x0
	v_mul_f16_e32 v26, s33, v26
	v_fmac_f16_e32 v26, s30, v31
	flat_store_b16 v[16:17], v26 offset:64
	flat_load_u16 v26, v[28:29] offset:96
	s_wait_loadcnt_dscnt 0x0
	v_mul_f16_e32 v26, s33, v26
	s_delay_alu instid0(VALU_DEP_1) | instskip(SKIP_4) | instid1(VALU_DEP_1)
	v_fmac_f16_e32 v26, s30, v25
	flat_store_b16 v[16:17], v26 offset:96
	flat_load_u16 v16, v[12:13]
	s_wait_loadcnt_dscnt 0x0
	v_mul_f16_e32 v16, s33, v16
	v_fmac_f16_e32 v16, s30, v19
	flat_store_b16 v[14:15], v16
	flat_load_u16 v16, v[12:13] offset:32
	s_wait_loadcnt_dscnt 0x0
	v_mul_f16_e32 v16, s33, v16
	s_delay_alu instid0(VALU_DEP_1) | instskip(SKIP_4) | instid1(VALU_DEP_1)
	v_fmac_f16_e32 v16, s30, v24
	flat_store_b16 v[14:15], v16 offset:32
	flat_load_u16 v16, v[12:13] offset:64
	s_wait_loadcnt_dscnt 0x0
	v_mul_f16_e32 v16, s33, v16
	v_fmac_f16_e32 v16, s30, v18
	flat_store_b16 v[14:15], v16 offset:64
	flat_load_u16 v12, v[12:13] offset:96
	s_wait_loadcnt_dscnt 0x0
	s_wait_xcnt 0x0
	v_mul_f16_e32 v12, s33, v12
	s_delay_alu instid0(VALU_DEP_1)
	v_fmac_f16_e32 v12, s30, v2
	flat_store_b16 v[14:15], v12 offset:96
	s_branch .LBB63_2
.LBB63_11:
	s_endpgm
	.section	.rodata,"a",@progbits
	.p2align	6, 0x0
	.amdhsa_kernel _ZN12_GLOBAL__N_127rocblas_gemm_batched_kernelIDF16_Li16ELi16ELi64ELi64ELi4ELi64ELi4ELi4ELi64ELc67ELc84EKPKDF16_S3_KPDF16_EEvlllT_PT11_llS8_llS6_PT12_llPT13_lli
		.amdhsa_group_segment_fixed_size 1024
		.amdhsa_private_segment_fixed_size 0
		.amdhsa_kernarg_size 140
		.amdhsa_user_sgpr_count 2
		.amdhsa_user_sgpr_dispatch_ptr 0
		.amdhsa_user_sgpr_queue_ptr 0
		.amdhsa_user_sgpr_kernarg_segment_ptr 1
		.amdhsa_user_sgpr_dispatch_id 0
		.amdhsa_user_sgpr_kernarg_preload_length 0
		.amdhsa_user_sgpr_kernarg_preload_offset 0
		.amdhsa_user_sgpr_private_segment_size 0
		.amdhsa_wavefront_size32 1
		.amdhsa_uses_dynamic_stack 0
		.amdhsa_enable_private_segment 0
		.amdhsa_system_sgpr_workgroup_id_x 1
		.amdhsa_system_sgpr_workgroup_id_y 1
		.amdhsa_system_sgpr_workgroup_id_z 1
		.amdhsa_system_sgpr_workgroup_info 0
		.amdhsa_system_vgpr_workitem_id 1
		.amdhsa_next_free_vgpr 55
		.amdhsa_next_free_sgpr 36
		.amdhsa_named_barrier_count 0
		.amdhsa_reserve_vcc 1
		.amdhsa_float_round_mode_32 0
		.amdhsa_float_round_mode_16_64 0
		.amdhsa_float_denorm_mode_32 3
		.amdhsa_float_denorm_mode_16_64 3
		.amdhsa_fp16_overflow 0
		.amdhsa_memory_ordered 1
		.amdhsa_forward_progress 1
		.amdhsa_inst_pref_size 19
		.amdhsa_round_robin_scheduling 0
		.amdhsa_exception_fp_ieee_invalid_op 0
		.amdhsa_exception_fp_denorm_src 0
		.amdhsa_exception_fp_ieee_div_zero 0
		.amdhsa_exception_fp_ieee_overflow 0
		.amdhsa_exception_fp_ieee_underflow 0
		.amdhsa_exception_fp_ieee_inexact 0
		.amdhsa_exception_int_div_zero 0
	.end_amdhsa_kernel
	.section	.text._ZN12_GLOBAL__N_127rocblas_gemm_batched_kernelIDF16_Li16ELi16ELi64ELi64ELi4ELi64ELi4ELi4ELi64ELc67ELc84EKPKDF16_S3_KPDF16_EEvlllT_PT11_llS8_llS6_PT12_llPT13_lli,"axG",@progbits,_ZN12_GLOBAL__N_127rocblas_gemm_batched_kernelIDF16_Li16ELi16ELi64ELi64ELi4ELi64ELi4ELi4ELi64ELc67ELc84EKPKDF16_S3_KPDF16_EEvlllT_PT11_llS8_llS6_PT12_llPT13_lli,comdat
.Lfunc_end63:
	.size	_ZN12_GLOBAL__N_127rocblas_gemm_batched_kernelIDF16_Li16ELi16ELi64ELi64ELi4ELi64ELi4ELi4ELi64ELc67ELc84EKPKDF16_S3_KPDF16_EEvlllT_PT11_llS8_llS6_PT12_llPT13_lli, .Lfunc_end63-_ZN12_GLOBAL__N_127rocblas_gemm_batched_kernelIDF16_Li16ELi16ELi64ELi64ELi4ELi64ELi4ELi4ELi64ELc67ELc84EKPKDF16_S3_KPDF16_EEvlllT_PT11_llS8_llS6_PT12_llPT13_lli
                                        ; -- End function
	.set _ZN12_GLOBAL__N_127rocblas_gemm_batched_kernelIDF16_Li16ELi16ELi64ELi64ELi4ELi64ELi4ELi4ELi64ELc67ELc84EKPKDF16_S3_KPDF16_EEvlllT_PT11_llS8_llS6_PT12_llPT13_lli.num_vgpr, 55
	.set _ZN12_GLOBAL__N_127rocblas_gemm_batched_kernelIDF16_Li16ELi16ELi64ELi64ELi4ELi64ELi4ELi4ELi64ELc67ELc84EKPKDF16_S3_KPDF16_EEvlllT_PT11_llS8_llS6_PT12_llPT13_lli.num_agpr, 0
	.set _ZN12_GLOBAL__N_127rocblas_gemm_batched_kernelIDF16_Li16ELi16ELi64ELi64ELi4ELi64ELi4ELi4ELi64ELc67ELc84EKPKDF16_S3_KPDF16_EEvlllT_PT11_llS8_llS6_PT12_llPT13_lli.numbered_sgpr, 36
	.set _ZN12_GLOBAL__N_127rocblas_gemm_batched_kernelIDF16_Li16ELi16ELi64ELi64ELi4ELi64ELi4ELi4ELi64ELc67ELc84EKPKDF16_S3_KPDF16_EEvlllT_PT11_llS8_llS6_PT12_llPT13_lli.num_named_barrier, 0
	.set _ZN12_GLOBAL__N_127rocblas_gemm_batched_kernelIDF16_Li16ELi16ELi64ELi64ELi4ELi64ELi4ELi4ELi64ELc67ELc84EKPKDF16_S3_KPDF16_EEvlllT_PT11_llS8_llS6_PT12_llPT13_lli.private_seg_size, 0
	.set _ZN12_GLOBAL__N_127rocblas_gemm_batched_kernelIDF16_Li16ELi16ELi64ELi64ELi4ELi64ELi4ELi4ELi64ELc67ELc84EKPKDF16_S3_KPDF16_EEvlllT_PT11_llS8_llS6_PT12_llPT13_lli.uses_vcc, 1
	.set _ZN12_GLOBAL__N_127rocblas_gemm_batched_kernelIDF16_Li16ELi16ELi64ELi64ELi4ELi64ELi4ELi4ELi64ELc67ELc84EKPKDF16_S3_KPDF16_EEvlllT_PT11_llS8_llS6_PT12_llPT13_lli.uses_flat_scratch, 1
	.set _ZN12_GLOBAL__N_127rocblas_gemm_batched_kernelIDF16_Li16ELi16ELi64ELi64ELi4ELi64ELi4ELi4ELi64ELc67ELc84EKPKDF16_S3_KPDF16_EEvlllT_PT11_llS8_llS6_PT12_llPT13_lli.has_dyn_sized_stack, 0
	.set _ZN12_GLOBAL__N_127rocblas_gemm_batched_kernelIDF16_Li16ELi16ELi64ELi64ELi4ELi64ELi4ELi4ELi64ELc67ELc84EKPKDF16_S3_KPDF16_EEvlllT_PT11_llS8_llS6_PT12_llPT13_lli.has_recursion, 0
	.set _ZN12_GLOBAL__N_127rocblas_gemm_batched_kernelIDF16_Li16ELi16ELi64ELi64ELi4ELi64ELi4ELi4ELi64ELc67ELc84EKPKDF16_S3_KPDF16_EEvlllT_PT11_llS8_llS6_PT12_llPT13_lli.has_indirect_call, 0
	.section	.AMDGPU.csdata,"",@progbits
; Kernel info:
; codeLenInByte = 2432
; TotalNumSgprs: 38
; NumVgprs: 55
; ScratchSize: 0
; MemoryBound: 0
; FloatMode: 240
; IeeeMode: 1
; LDSByteSize: 1024 bytes/workgroup (compile time only)
; SGPRBlocks: 0
; VGPRBlocks: 3
; NumSGPRsForWavesPerEU: 38
; NumVGPRsForWavesPerEU: 55
; NamedBarCnt: 0
; Occupancy: 16
; WaveLimiterHint : 1
; COMPUTE_PGM_RSRC2:SCRATCH_EN: 0
; COMPUTE_PGM_RSRC2:USER_SGPR: 2
; COMPUTE_PGM_RSRC2:TRAP_HANDLER: 0
; COMPUTE_PGM_RSRC2:TGID_X_EN: 1
; COMPUTE_PGM_RSRC2:TGID_Y_EN: 1
; COMPUTE_PGM_RSRC2:TGID_Z_EN: 1
; COMPUTE_PGM_RSRC2:TIDIG_COMP_CNT: 1
	.section	.text._ZN12_GLOBAL__N_127rocblas_gemm_batched_kernelIDF16_Li16ELi16ELi64ELi64ELi4ELi64ELi4ELi4ELi64ELc78ELc67EKPKDF16_S3_KPDF16_EEvlllT_PT11_llS8_llS6_PT12_llPT13_lli,"axG",@progbits,_ZN12_GLOBAL__N_127rocblas_gemm_batched_kernelIDF16_Li16ELi16ELi64ELi64ELi4ELi64ELi4ELi4ELi64ELc78ELc67EKPKDF16_S3_KPDF16_EEvlllT_PT11_llS8_llS6_PT12_llPT13_lli,comdat
	.globl	_ZN12_GLOBAL__N_127rocblas_gemm_batched_kernelIDF16_Li16ELi16ELi64ELi64ELi4ELi64ELi4ELi4ELi64ELc78ELc67EKPKDF16_S3_KPDF16_EEvlllT_PT11_llS8_llS6_PT12_llPT13_lli ; -- Begin function _ZN12_GLOBAL__N_127rocblas_gemm_batched_kernelIDF16_Li16ELi16ELi64ELi64ELi4ELi64ELi4ELi4ELi64ELc78ELc67EKPKDF16_S3_KPDF16_EEvlllT_PT11_llS8_llS6_PT12_llPT13_lli
	.p2align	8
	.type	_ZN12_GLOBAL__N_127rocblas_gemm_batched_kernelIDF16_Li16ELi16ELi64ELi64ELi4ELi64ELi4ELi4ELi64ELc78ELc67EKPKDF16_S3_KPDF16_EEvlllT_PT11_llS8_llS6_PT12_llPT13_lli,@function
_ZN12_GLOBAL__N_127rocblas_gemm_batched_kernelIDF16_Li16ELi16ELi64ELi64ELi4ELi64ELi4ELi4ELi64ELc78ELc67EKPKDF16_S3_KPDF16_EEvlllT_PT11_llS8_llS6_PT12_llPT13_lli: ; @_ZN12_GLOBAL__N_127rocblas_gemm_batched_kernelIDF16_Li16ELi16ELi64ELi64ELi4ELi64ELi4ELi4ELi64ELc78ELc67EKPKDF16_S3_KPDF16_EEvlllT_PT11_llS8_llS6_PT12_llPT13_lli
; %bb.0:
	s_load_b32 s31, s[0:1], 0x88
	s_bfe_u32 s2, ttmp6, 0x40014
	s_lshr_b32 s3, ttmp7, 16
	s_add_co_i32 s2, s2, 1
	s_bfe_u32 s4, ttmp6, 0x40008
	s_mul_i32 s2, s3, s2
	s_getreg_b32 s28, hwreg(HW_REG_IB_STS2, 6, 4)
	s_add_co_i32 s4, s4, s2
	s_cmp_eq_u32 s28, 0
	s_cselect_b32 s2, s3, s4
	s_mov_b32 s3, 0
	s_wait_kmcnt 0x0
	s_cmp_ge_i32 s2, s31
	s_cbranch_scc1 .LBB64_11
; %bb.1:
	s_clause 0x2
	s_load_b256 s[4:11], s[0:1], 0x20
	s_load_b128 s[24:27], s[0:1], 0x40
	s_load_b32 s33, s[0:1], 0x50
	v_bfe_u32 v2, v0, 10, 10
	v_and_b32_e32 v6, 0x3ff, v0
	s_bfe_u32 s29, ttmp6, 0x4000c
	s_bfe_u32 s34, ttmp6, 0x40010
	s_add_co_i32 s29, s29, 1
	s_and_b32 s35, ttmp7, 0xffff
	s_add_co_i32 s34, s34, 1
	s_and_b32 s30, ttmp6, 15
	s_mul_i32 s29, ttmp9, s29
	s_mul_i32 s34, s35, s34
	s_bfe_u32 s36, ttmp6, 0x40004
	v_lshl_add_u32 v1, v2, 4, v6
	v_dual_mov_b32 v3, 0 :: v_dual_bitop2_b32 v0, 3, v0 bitop3:0x40
	s_clause 0x1
	s_load_b128 s[20:23], s[0:1], 0x78
	s_load_b256 s[12:19], s[0:1], 0x58
	s_add_co_i32 s30, s30, s29
	s_add_co_i32 s36, s36, s34
	s_cmp_eq_u32 s28, 0
	v_dual_mov_b32 v9, v3 :: v_dual_lshrrev_b32 v8, 2, v1
	s_cselect_b32 s28, ttmp9, s30
	v_dual_lshrrev_b32 v16, 6, v1 :: v_dual_bitop2_b32 v14, 63, v1 bitop3:0x40
	s_cselect_b32 s30, s35, s36
	s_ashr_i32 s29, s28, 31
	s_wait_kmcnt 0x0
	v_mad_nc_u64_u32 v[10:11], s24, v0, v[8:9]
	s_lshl_b64 s[34:35], s[28:29], 6
	s_lshl_b32 s36, s30, 6
	v_mad_nc_u64_u32 v[12:13], s6, v16, s[34:35]
	s_mov_b32 s37, s3
	s_load_b96 s[28:30], s[0:1], 0x10
	v_add_nc_u64_e32 v[4:5], s[36:37], v[2:3]
	v_dual_lshlrev_b32 v7, 1, v0 :: v_dual_lshlrev_b32 v17, 1, v14
	v_mov_b32_e32 v15, v3
	s_cmp_eq_f16 s33, 0
	v_mad_u32 v11, s25, v0, v11
	s_delay_alu instid0(VALU_DEP_3)
	v_lshl_or_b32 v18, v8, 3, v7
	v_mul_u64_e32 v[0:1], s[20:21], v[4:5]
	v_mad_u32 v13, s7, v16, v13
	v_mul_u64_e32 v[4:5], s[14:15], v[4:5]
	v_dual_mov_b32 v7, v3 :: v_dual_lshlrev_b32 v22, 1, v6
	v_lshl_or_b32 v20, v16, 7, v17
	v_add_nc_u32_e32 v21, 0x200, v18
	v_lshl_add_u32 v2, v2, 3, 0x200
	s_wait_xcnt 0x0
	s_cselect_b32 s1, -1, 0
	v_add_nc_u64_e32 v[8:9], s[36:37], v[10:11]
	s_lshl_b64 s[20:21], s[20:21], 4
	s_lshl_b64 s[6:7], s[6:7], 3
	v_add_nc_u64_e32 v[10:11], v[12:13], v[14:15]
	s_wait_kmcnt 0x0
	v_cmp_gt_i64_e64 s0, s[28:29], 0
	v_add_nc_u64_e32 v[12:13], s[34:35], v[6:7]
	s_lshl_b64 s[34:35], s[14:15], 4
	v_lshlrev_b64_e32 v[8:9], 1, v[8:9]
	s_lshl_b64 s[14:15], s[24:25], 3
	s_lshl_b64 s[20:21], s[20:21], 1
	v_lshlrev_b64_e32 v[10:11], 1, v[10:11]
	v_cndmask_b32_e64 v14, 0, 1, s0
	s_lshl_b64 s[16:17], s[16:17], 1
	s_delay_alu instid0(VALU_DEP_3) | instskip(NEXT) | instid1(VALU_DEP_2)
	v_lshl_add_u64 v[6:7], s[26:27], 1, v[8:9]
	v_cmp_ne_u32_e64 s0, 1, v14
	s_delay_alu instid0(VALU_DEP_4)
	v_lshl_add_u64 v[8:9], s[8:9], 1, v[10:11]
	v_lshlrev_b64_e32 v[10:11], 1, v[12:13]
	s_lshl_b64 s[8:9], s[22:23], 1
	s_lshl_b64 s[22:23], s[34:35], 1
	s_branch .LBB64_3
.LBB64_2:                               ;   in Loop: Header=BB64_3 Depth=1
	s_add_co_i32 s2, s2, 0x10000
	s_delay_alu instid0(SALU_CYCLE_1)
	s_cmp_lt_i32 s2, s31
	s_cbranch_scc0 .LBB64_11
.LBB64_3:                               ; =>This Loop Header: Depth=1
                                        ;     Child Loop BB64_5 Depth 2
	v_mov_b32_e32 v16, s2
	s_and_b32 vcc_lo, exec_lo, s0
	s_clause 0x1
	global_load_b64 v[12:13], v16, s[12:13] scale_offset
	global_load_b64 v[14:15], v16, s[18:19] scale_offset
	s_cbranch_vccnz .LBB64_6
; %bb.4:                                ;   in Loop: Header=BB64_3 Depth=1
	s_lshl_b64 s[24:25], s[2:3], 3
	v_dual_mov_b32 v23, 0 :: v_dual_mov_b32 v24, 0
	s_add_nc_u64 s[26:27], s[10:11], s[24:25]
	s_add_nc_u64 s[24:25], s[4:5], s[24:25]
	s_clause 0x1
	global_load_b64 v[16:17], v3, s[26:27]
	global_load_b64 v[18:19], v3, s[24:25]
	v_dual_mov_b32 v25, 0 :: v_dual_mov_b32 v26, 0
	v_dual_mov_b32 v27, 0 :: v_dual_mov_b32 v28, 0
	;; [unrolled: 1-line block ×3, first 2 shown]
	s_wait_xcnt 0x0
	s_mov_b64 s[24:25], 0
	s_wait_loadcnt 0x1
	v_add_nc_u64_e32 v[16:17], v[16:17], v[6:7]
	s_wait_loadcnt 0x0
	v_add_nc_u64_e32 v[18:19], v[18:19], v[8:9]
.LBB64_5:                               ;   Parent Loop BB64_3 Depth=1
                                        ; =>  This Inner Loop Header: Depth=2
	flat_load_u16 v31, v[18:19]
	s_add_nc_u64 s[24:25], s[24:25], 4
	s_wait_xcnt 0x0
	v_add_nc_u64_e32 v[18:19], s[6:7], v[18:19]
	v_cmp_lt_i64_e64 s26, s[24:25], s[28:29]
	s_and_b32 vcc_lo, exec_lo, s26
	s_wait_loadcnt_dscnt 0x0
	ds_store_b16 v20, v31
	flat_load_u16 v31, v[16:17]
	s_wait_xcnt 0x0
	v_add_nc_u64_e32 v[16:17], s[14:15], v[16:17]
	s_wait_loadcnt_dscnt 0x0
	ds_store_b16 v21, v31
	s_wait_dscnt 0x0
	s_barrier_signal -1
	s_barrier_wait -1
	ds_load_u16 v31, v22
	ds_load_u16 v40, v22 offset:32
	ds_load_u16 v41, v22 offset:64
	ds_load_u16 v42, v22 offset:96
	ds_load_u16 v43, v22 offset:128
	ds_load_u16 v44, v22 offset:160
	ds_load_u16 v45, v22 offset:192
	ds_load_u16 v46, v22 offset:224
	ds_load_u16 v47, v22 offset:256
	ds_load_u16 v48, v22 offset:288
	ds_load_u16 v49, v22 offset:384
	ds_load_u16 v50, v22 offset:416
	ds_load_u16 v51, v22 offset:320
	ds_load_u16 v52, v22 offset:352
	ds_load_u16 v53, v22 offset:448
	ds_load_u16 v54, v22 offset:480
	ds_load_2addr_b64 v[32:35], v2 offset1:16
	ds_load_2addr_b64 v[36:39], v2 offset0:32 offset1:48
	s_wait_dscnt 0x0
	s_barrier_signal -1
	s_barrier_wait -1
	v_perm_b32 v31, v31, v40, 0x5040100
	v_perm_b32 v41, v41, v42, 0x5040100
	;; [unrolled: 1-line block ×8, first 2 shown]
	v_pk_fma_f16 v30, v31, v32, v30 op_sel_hi:[1,0,1]
	v_pk_fma_f16 v29, v41, v32, v29 op_sel_hi:[1,0,1]
	v_pk_fma_f16 v28, v31, v34, v28 op_sel_hi:[1,0,1]
	v_pk_fma_f16 v27, v41, v34, v27 op_sel_hi:[1,0,1]
	v_pk_fma_f16 v26, v31, v36, v26 op_sel_hi:[1,0,1]
	v_pk_fma_f16 v25, v41, v36, v25 op_sel_hi:[1,0,1]
	v_pk_fma_f16 v24, v31, v38, v24 op_sel_hi:[1,0,1]
	v_pk_fma_f16 v23, v41, v38, v23 op_sel_hi:[1,0,1]
	v_pk_fma_f16 v30, v40, v32, v30 op_sel:[0,1,0]
	v_pk_fma_f16 v29, v42, v32, v29 op_sel:[0,1,0]
	;; [unrolled: 1-line block ×8, first 2 shown]
	v_pk_fma_f16 v30, v43, v33, v30 op_sel_hi:[1,0,1]
	v_pk_fma_f16 v29, v45, v33, v29 op_sel_hi:[1,0,1]
	;; [unrolled: 1-line block ×8, first 2 shown]
	v_pk_fma_f16 v30, v44, v33, v30 op_sel:[0,1,0]
	v_pk_fma_f16 v29, v46, v33, v29 op_sel:[0,1,0]
	v_pk_fma_f16 v28, v44, v35, v28 op_sel:[0,1,0]
	v_pk_fma_f16 v27, v46, v35, v27 op_sel:[0,1,0]
	v_pk_fma_f16 v26, v44, v37, v26 op_sel:[0,1,0]
	v_pk_fma_f16 v25, v46, v37, v25 op_sel:[0,1,0]
	v_pk_fma_f16 v24, v44, v39, v24 op_sel:[0,1,0]
	v_pk_fma_f16 v23, v46, v39, v23 op_sel:[0,1,0]
	s_cbranch_vccnz .LBB64_5
	s_branch .LBB64_7
.LBB64_6:                               ;   in Loop: Header=BB64_3 Depth=1
	v_dual_mov_b32 v30, 0 :: v_dual_mov_b32 v29, 0
	v_dual_mov_b32 v28, 0 :: v_dual_mov_b32 v27, 0
	;; [unrolled: 1-line block ×4, first 2 shown]
.LBB64_7:                               ;   in Loop: Header=BB64_3 Depth=1
	s_wait_loadcnt 0x0
	v_add_nc_u64_e32 v[14:15], s[8:9], v[14:15]
	v_dual_lshrrev_b32 v36, 16, v30 :: v_dual_lshrrev_b32 v35, 16, v29
	v_dual_lshrrev_b32 v34, 16, v28 :: v_dual_lshrrev_b32 v33, 16, v27
	;; [unrolled: 1-line block ×3, first 2 shown]
	s_delay_alu instid0(VALU_DEP_4) | instskip(SKIP_3) | instid1(VALU_DEP_2)
	v_lshl_add_u64 v[14:15], v[0:1], 1, v[14:15]
	v_dual_lshrrev_b32 v19, 16, v24 :: v_dual_lshrrev_b32 v18, 16, v23
	s_and_not1_b32 vcc_lo, exec_lo, s1
	s_wait_xcnt 0x0
	v_add_nc_u64_e32 v[16:17], v[14:15], v[10:11]
	v_add_nc_u64_e32 v[14:15], s[20:21], v[14:15]
	s_cbranch_vccnz .LBB64_9
; %bb.8:                                ;   in Loop: Header=BB64_3 Depth=1
	v_mul_f16_e32 v37, s30, v36
	v_mul_f16_e32 v40, s30, v30
	s_delay_alu instid0(VALU_DEP_3)
	v_add_nc_u64_e32 v[38:39], s[20:21], v[14:15]
	v_mul_f16_e32 v41, s30, v35
	v_mul_f16_e32 v42, s30, v29
	s_clause 0x3
	flat_store_b16 v[16:17], v37
	flat_store_b16 v[16:17], v40 offset:32
	flat_store_b16 v[16:17], v41 offset:64
	;; [unrolled: 1-line block ×3, first 2 shown]
	s_wait_xcnt 0x1
	v_add_nc_u64_e32 v[40:41], v[14:15], v[10:11]
	v_mul_f16_e32 v37, s30, v34
	v_mul_f16_e32 v44, s30, v28
	s_wait_xcnt 0x0
	v_add_nc_u64_e32 v[42:43], v[38:39], v[10:11]
	v_add_nc_u64_e32 v[38:39], s[20:21], v[38:39]
	v_mul_f16_e32 v45, s30, v33
	v_mul_f16_e32 v46, s30, v27
	s_clause 0x3
	flat_store_b16 v[40:41], v37
	flat_store_b16 v[40:41], v44 offset:32
	flat_store_b16 v[40:41], v45 offset:64
	;; [unrolled: 1-line block ×3, first 2 shown]
	s_wait_xcnt 0x3
	v_mul_f16_e32 v37, s30, v32
	s_wait_xcnt 0x0
	v_mul_f16_e32 v40, s30, v26
	v_mul_f16_e32 v41, s30, v31
	;; [unrolled: 1-line block ×3, first 2 shown]
	v_add_nc_u64_e32 v[38:39], v[38:39], v[10:11]
	s_clause 0x3
	flat_store_b16 v[42:43], v37
	flat_store_b16 v[42:43], v40 offset:32
	flat_store_b16 v[42:43], v41 offset:64
	flat_store_b16 v[42:43], v44 offset:96
	s_wait_xcnt 0x3
	v_mul_f16_e32 v37, s30, v19
	s_wait_xcnt 0x2
	v_mul_f16_e32 v40, s30, v24
	;; [unrolled: 2-line block ×4, first 2 shown]
	s_clause 0x3
	flat_store_b16 v[38:39], v37
	flat_store_b16 v[38:39], v40 offset:32
	flat_store_b16 v[38:39], v41 offset:64
	;; [unrolled: 1-line block ×3, first 2 shown]
	s_cbranch_execnz .LBB64_2
	s_branch .LBB64_10
.LBB64_9:                               ;   in Loop: Header=BB64_3 Depth=1
.LBB64_10:                              ;   in Loop: Header=BB64_3 Depth=1
	v_add_nc_u64_e32 v[12:13], s[16:17], v[12:13]
	s_delay_alu instid0(VALU_DEP_1) | instskip(SKIP_1) | instid1(VALU_DEP_1)
	v_lshl_add_u64 v[12:13], v[4:5], 1, v[12:13]
	s_wait_xcnt 0x0
	v_add_nc_u64_e32 v[38:39], v[12:13], v[10:11]
	v_add_nc_u64_e32 v[12:13], s[22:23], v[12:13]
	flat_load_u16 v37, v[38:39]
	s_wait_loadcnt_dscnt 0x0
	v_mul_f16_e32 v37, s33, v37
	s_delay_alu instid0(VALU_DEP_1) | instskip(SKIP_4) | instid1(VALU_DEP_1)
	v_fmac_f16_e32 v37, s30, v36
	flat_store_b16 v[16:17], v37
	flat_load_u16 v36, v[38:39] offset:32
	s_wait_loadcnt_dscnt 0x0
	v_mul_f16_e32 v36, s33, v36
	v_fmac_f16_e32 v36, s30, v30
	flat_store_b16 v[16:17], v36 offset:32
	flat_load_u16 v30, v[38:39] offset:64
	s_wait_xcnt 0x1
	v_add_nc_u64_e32 v[36:37], v[12:13], v[10:11]
	v_add_nc_u64_e32 v[12:13], s[22:23], v[12:13]
	s_wait_loadcnt_dscnt 0x0
	v_mul_f16_e32 v30, s33, v30
	s_delay_alu instid0(VALU_DEP_1) | instskip(SKIP_4) | instid1(VALU_DEP_1)
	v_fmac_f16_e32 v30, s30, v35
	flat_store_b16 v[16:17], v30 offset:64
	flat_load_u16 v30, v[38:39] offset:96
	s_wait_loadcnt_dscnt 0x0
	v_mul_f16_e32 v30, s33, v30
	v_fmac_f16_e32 v30, s30, v29
	flat_store_b16 v[16:17], v30 offset:96
	flat_load_u16 v16, v[36:37]
	s_wait_loadcnt_dscnt 0x0
	v_mul_f16_e32 v29, s33, v16
	v_add_nc_u64_e32 v[16:17], v[14:15], v[10:11]
	v_add_nc_u64_e32 v[14:15], s[20:21], v[14:15]
	s_delay_alu instid0(VALU_DEP_3) | instskip(SKIP_4) | instid1(VALU_DEP_1)
	v_fmac_f16_e32 v29, s30, v34
	flat_store_b16 v[16:17], v29
	flat_load_u16 v29, v[36:37] offset:32
	s_wait_loadcnt_dscnt 0x0
	v_mul_f16_e32 v29, s33, v29
	v_fmac_f16_e32 v29, s30, v28
	flat_store_b16 v[16:17], v29 offset:32
	flat_load_u16 v28, v[36:37] offset:64
	s_wait_loadcnt_dscnt 0x0
	v_mul_f16_e32 v28, s33, v28
	s_delay_alu instid0(VALU_DEP_1)
	v_fmac_f16_e32 v28, s30, v33
	flat_store_b16 v[16:17], v28 offset:64
	flat_load_u16 v28, v[36:37] offset:96
	s_wait_loadcnt_dscnt 0x0
	v_mul_f16_e32 v30, s33, v28
	v_add_nc_u64_e32 v[28:29], v[12:13], v[10:11]
	v_add_nc_u64_e32 v[12:13], s[22:23], v[12:13]
	s_delay_alu instid0(VALU_DEP_3) | instskip(NEXT) | instid1(VALU_DEP_2)
	v_fmac_f16_e32 v30, s30, v27
	v_add_nc_u64_e32 v[12:13], v[12:13], v[10:11]
	flat_store_b16 v[16:17], v30 offset:96
	flat_load_u16 v16, v[28:29]
	s_wait_loadcnt_dscnt 0x0
	v_mul_f16_e32 v27, s33, v16
	v_add_nc_u64_e32 v[16:17], v[14:15], v[10:11]
	v_add_nc_u64_e32 v[14:15], s[20:21], v[14:15]
	s_delay_alu instid0(VALU_DEP_3) | instskip(NEXT) | instid1(VALU_DEP_2)
	v_fmac_f16_e32 v27, s30, v32
	v_add_nc_u64_e32 v[14:15], v[14:15], v[10:11]
	flat_store_b16 v[16:17], v27
	flat_load_u16 v27, v[28:29] offset:32
	s_wait_loadcnt_dscnt 0x0
	v_mul_f16_e32 v27, s33, v27
	s_delay_alu instid0(VALU_DEP_1) | instskip(SKIP_4) | instid1(VALU_DEP_1)
	v_fmac_f16_e32 v27, s30, v26
	flat_store_b16 v[16:17], v27 offset:32
	flat_load_u16 v26, v[28:29] offset:64
	s_wait_loadcnt_dscnt 0x0
	v_mul_f16_e32 v26, s33, v26
	v_fmac_f16_e32 v26, s30, v31
	flat_store_b16 v[16:17], v26 offset:64
	flat_load_u16 v26, v[28:29] offset:96
	s_wait_loadcnt_dscnt 0x0
	v_mul_f16_e32 v26, s33, v26
	s_delay_alu instid0(VALU_DEP_1) | instskip(SKIP_4) | instid1(VALU_DEP_1)
	v_fmac_f16_e32 v26, s30, v25
	flat_store_b16 v[16:17], v26 offset:96
	flat_load_u16 v16, v[12:13]
	s_wait_loadcnt_dscnt 0x0
	v_mul_f16_e32 v16, s33, v16
	v_fmac_f16_e32 v16, s30, v19
	flat_store_b16 v[14:15], v16
	flat_load_u16 v16, v[12:13] offset:32
	s_wait_loadcnt_dscnt 0x0
	v_mul_f16_e32 v16, s33, v16
	s_delay_alu instid0(VALU_DEP_1) | instskip(SKIP_4) | instid1(VALU_DEP_1)
	v_fmac_f16_e32 v16, s30, v24
	flat_store_b16 v[14:15], v16 offset:32
	flat_load_u16 v16, v[12:13] offset:64
	s_wait_loadcnt_dscnt 0x0
	v_mul_f16_e32 v16, s33, v16
	v_fmac_f16_e32 v16, s30, v18
	flat_store_b16 v[14:15], v16 offset:64
	flat_load_u16 v12, v[12:13] offset:96
	s_wait_loadcnt_dscnt 0x0
	s_wait_xcnt 0x0
	v_mul_f16_e32 v12, s33, v12
	s_delay_alu instid0(VALU_DEP_1)
	v_fmac_f16_e32 v12, s30, v23
	flat_store_b16 v[14:15], v12 offset:96
	s_branch .LBB64_2
.LBB64_11:
	s_endpgm
	.section	.rodata,"a",@progbits
	.p2align	6, 0x0
	.amdhsa_kernel _ZN12_GLOBAL__N_127rocblas_gemm_batched_kernelIDF16_Li16ELi16ELi64ELi64ELi4ELi64ELi4ELi4ELi64ELc78ELc67EKPKDF16_S3_KPDF16_EEvlllT_PT11_llS8_llS6_PT12_llPT13_lli
		.amdhsa_group_segment_fixed_size 1024
		.amdhsa_private_segment_fixed_size 0
		.amdhsa_kernarg_size 140
		.amdhsa_user_sgpr_count 2
		.amdhsa_user_sgpr_dispatch_ptr 0
		.amdhsa_user_sgpr_queue_ptr 0
		.amdhsa_user_sgpr_kernarg_segment_ptr 1
		.amdhsa_user_sgpr_dispatch_id 0
		.amdhsa_user_sgpr_kernarg_preload_length 0
		.amdhsa_user_sgpr_kernarg_preload_offset 0
		.amdhsa_user_sgpr_private_segment_size 0
		.amdhsa_wavefront_size32 1
		.amdhsa_uses_dynamic_stack 0
		.amdhsa_enable_private_segment 0
		.amdhsa_system_sgpr_workgroup_id_x 1
		.amdhsa_system_sgpr_workgroup_id_y 1
		.amdhsa_system_sgpr_workgroup_id_z 1
		.amdhsa_system_sgpr_workgroup_info 0
		.amdhsa_system_vgpr_workitem_id 1
		.amdhsa_next_free_vgpr 55
		.amdhsa_next_free_sgpr 38
		.amdhsa_named_barrier_count 0
		.amdhsa_reserve_vcc 1
		.amdhsa_float_round_mode_32 0
		.amdhsa_float_round_mode_16_64 0
		.amdhsa_float_denorm_mode_32 3
		.amdhsa_float_denorm_mode_16_64 3
		.amdhsa_fp16_overflow 0
		.amdhsa_memory_ordered 1
		.amdhsa_forward_progress 1
		.amdhsa_inst_pref_size 19
		.amdhsa_round_robin_scheduling 0
		.amdhsa_exception_fp_ieee_invalid_op 0
		.amdhsa_exception_fp_denorm_src 0
		.amdhsa_exception_fp_ieee_div_zero 0
		.amdhsa_exception_fp_ieee_overflow 0
		.amdhsa_exception_fp_ieee_underflow 0
		.amdhsa_exception_fp_ieee_inexact 0
		.amdhsa_exception_int_div_zero 0
	.end_amdhsa_kernel
	.section	.text._ZN12_GLOBAL__N_127rocblas_gemm_batched_kernelIDF16_Li16ELi16ELi64ELi64ELi4ELi64ELi4ELi4ELi64ELc78ELc67EKPKDF16_S3_KPDF16_EEvlllT_PT11_llS8_llS6_PT12_llPT13_lli,"axG",@progbits,_ZN12_GLOBAL__N_127rocblas_gemm_batched_kernelIDF16_Li16ELi16ELi64ELi64ELi4ELi64ELi4ELi4ELi64ELc78ELc67EKPKDF16_S3_KPDF16_EEvlllT_PT11_llS8_llS6_PT12_llPT13_lli,comdat
.Lfunc_end64:
	.size	_ZN12_GLOBAL__N_127rocblas_gemm_batched_kernelIDF16_Li16ELi16ELi64ELi64ELi4ELi64ELi4ELi4ELi64ELc78ELc67EKPKDF16_S3_KPDF16_EEvlllT_PT11_llS8_llS6_PT12_llPT13_lli, .Lfunc_end64-_ZN12_GLOBAL__N_127rocblas_gemm_batched_kernelIDF16_Li16ELi16ELi64ELi64ELi4ELi64ELi4ELi4ELi64ELc78ELc67EKPKDF16_S3_KPDF16_EEvlllT_PT11_llS8_llS6_PT12_llPT13_lli
                                        ; -- End function
	.set _ZN12_GLOBAL__N_127rocblas_gemm_batched_kernelIDF16_Li16ELi16ELi64ELi64ELi4ELi64ELi4ELi4ELi64ELc78ELc67EKPKDF16_S3_KPDF16_EEvlllT_PT11_llS8_llS6_PT12_llPT13_lli.num_vgpr, 55
	.set _ZN12_GLOBAL__N_127rocblas_gemm_batched_kernelIDF16_Li16ELi16ELi64ELi64ELi4ELi64ELi4ELi4ELi64ELc78ELc67EKPKDF16_S3_KPDF16_EEvlllT_PT11_llS8_llS6_PT12_llPT13_lli.num_agpr, 0
	.set _ZN12_GLOBAL__N_127rocblas_gemm_batched_kernelIDF16_Li16ELi16ELi64ELi64ELi4ELi64ELi4ELi4ELi64ELc78ELc67EKPKDF16_S3_KPDF16_EEvlllT_PT11_llS8_llS6_PT12_llPT13_lli.numbered_sgpr, 38
	.set _ZN12_GLOBAL__N_127rocblas_gemm_batched_kernelIDF16_Li16ELi16ELi64ELi64ELi4ELi64ELi4ELi4ELi64ELc78ELc67EKPKDF16_S3_KPDF16_EEvlllT_PT11_llS8_llS6_PT12_llPT13_lli.num_named_barrier, 0
	.set _ZN12_GLOBAL__N_127rocblas_gemm_batched_kernelIDF16_Li16ELi16ELi64ELi64ELi4ELi64ELi4ELi4ELi64ELc78ELc67EKPKDF16_S3_KPDF16_EEvlllT_PT11_llS8_llS6_PT12_llPT13_lli.private_seg_size, 0
	.set _ZN12_GLOBAL__N_127rocblas_gemm_batched_kernelIDF16_Li16ELi16ELi64ELi64ELi4ELi64ELi4ELi4ELi64ELc78ELc67EKPKDF16_S3_KPDF16_EEvlllT_PT11_llS8_llS6_PT12_llPT13_lli.uses_vcc, 1
	.set _ZN12_GLOBAL__N_127rocblas_gemm_batched_kernelIDF16_Li16ELi16ELi64ELi64ELi4ELi64ELi4ELi4ELi64ELc78ELc67EKPKDF16_S3_KPDF16_EEvlllT_PT11_llS8_llS6_PT12_llPT13_lli.uses_flat_scratch, 1
	.set _ZN12_GLOBAL__N_127rocblas_gemm_batched_kernelIDF16_Li16ELi16ELi64ELi64ELi4ELi64ELi4ELi4ELi64ELc78ELc67EKPKDF16_S3_KPDF16_EEvlllT_PT11_llS8_llS6_PT12_llPT13_lli.has_dyn_sized_stack, 0
	.set _ZN12_GLOBAL__N_127rocblas_gemm_batched_kernelIDF16_Li16ELi16ELi64ELi64ELi4ELi64ELi4ELi4ELi64ELc78ELc67EKPKDF16_S3_KPDF16_EEvlllT_PT11_llS8_llS6_PT12_llPT13_lli.has_recursion, 0
	.set _ZN12_GLOBAL__N_127rocblas_gemm_batched_kernelIDF16_Li16ELi16ELi64ELi64ELi4ELi64ELi4ELi4ELi64ELc78ELc67EKPKDF16_S3_KPDF16_EEvlllT_PT11_llS8_llS6_PT12_llPT13_lli.has_indirect_call, 0
	.section	.AMDGPU.csdata,"",@progbits
; Kernel info:
; codeLenInByte = 2424
; TotalNumSgprs: 40
; NumVgprs: 55
; ScratchSize: 0
; MemoryBound: 0
; FloatMode: 240
; IeeeMode: 1
; LDSByteSize: 1024 bytes/workgroup (compile time only)
; SGPRBlocks: 0
; VGPRBlocks: 3
; NumSGPRsForWavesPerEU: 40
; NumVGPRsForWavesPerEU: 55
; NamedBarCnt: 0
; Occupancy: 16
; WaveLimiterHint : 1
; COMPUTE_PGM_RSRC2:SCRATCH_EN: 0
; COMPUTE_PGM_RSRC2:USER_SGPR: 2
; COMPUTE_PGM_RSRC2:TRAP_HANDLER: 0
; COMPUTE_PGM_RSRC2:TGID_X_EN: 1
; COMPUTE_PGM_RSRC2:TGID_Y_EN: 1
; COMPUTE_PGM_RSRC2:TGID_Z_EN: 1
; COMPUTE_PGM_RSRC2:TIDIG_COMP_CNT: 1
	.section	.text._ZN12_GLOBAL__N_127rocblas_gemm_batched_kernelIDF16_Li16ELi16ELi64ELi64ELi4ELi64ELi4ELi4ELi64ELc84ELc67EKPKDF16_S3_KPDF16_EEvlllT_PT11_llS8_llS6_PT12_llPT13_lli,"axG",@progbits,_ZN12_GLOBAL__N_127rocblas_gemm_batched_kernelIDF16_Li16ELi16ELi64ELi64ELi4ELi64ELi4ELi4ELi64ELc84ELc67EKPKDF16_S3_KPDF16_EEvlllT_PT11_llS8_llS6_PT12_llPT13_lli,comdat
	.globl	_ZN12_GLOBAL__N_127rocblas_gemm_batched_kernelIDF16_Li16ELi16ELi64ELi64ELi4ELi64ELi4ELi4ELi64ELc84ELc67EKPKDF16_S3_KPDF16_EEvlllT_PT11_llS8_llS6_PT12_llPT13_lli ; -- Begin function _ZN12_GLOBAL__N_127rocblas_gemm_batched_kernelIDF16_Li16ELi16ELi64ELi64ELi4ELi64ELi4ELi4ELi64ELc84ELc67EKPKDF16_S3_KPDF16_EEvlllT_PT11_llS8_llS6_PT12_llPT13_lli
	.p2align	8
	.type	_ZN12_GLOBAL__N_127rocblas_gemm_batched_kernelIDF16_Li16ELi16ELi64ELi64ELi4ELi64ELi4ELi4ELi64ELc84ELc67EKPKDF16_S3_KPDF16_EEvlllT_PT11_llS8_llS6_PT12_llPT13_lli,@function
_ZN12_GLOBAL__N_127rocblas_gemm_batched_kernelIDF16_Li16ELi16ELi64ELi64ELi4ELi64ELi4ELi4ELi64ELc84ELc67EKPKDF16_S3_KPDF16_EEvlllT_PT11_llS8_llS6_PT12_llPT13_lli: ; @_ZN12_GLOBAL__N_127rocblas_gemm_batched_kernelIDF16_Li16ELi16ELi64ELi64ELi4ELi64ELi4ELi4ELi64ELc84ELc67EKPKDF16_S3_KPDF16_EEvlllT_PT11_llS8_llS6_PT12_llPT13_lli
; %bb.0:
	s_load_b32 s31, s[0:1], 0x88
	s_bfe_u32 s2, ttmp6, 0x40014
	s_lshr_b32 s3, ttmp7, 16
	s_add_co_i32 s2, s2, 1
	s_bfe_u32 s4, ttmp6, 0x40008
	s_mul_i32 s2, s3, s2
	s_getreg_b32 s28, hwreg(HW_REG_IB_STS2, 6, 4)
	s_add_co_i32 s4, s4, s2
	s_cmp_eq_u32 s28, 0
	s_cselect_b32 s2, s3, s4
	s_mov_b32 s3, 0
	s_wait_kmcnt 0x0
	s_cmp_ge_i32 s2, s31
	s_cbranch_scc1 .LBB65_11
; %bb.1:
	v_bfe_u32 v2, v0, 10, 10
	v_and_b32_e32 v6, 0x3ff, v0
	s_bfe_u32 s30, ttmp6, 0x4000c
	s_bfe_u32 s33, ttmp6, 0x40010
	s_clause 0x2
	s_load_b256 s[4:11], s[0:1], 0x20
	s_load_b128 s[24:27], s[0:1], 0x40
	s_load_b128 s[20:23], s[0:1], 0x78
	s_add_co_i32 s30, s30, 1
	s_and_b32 s34, ttmp7, 0xffff
	s_add_co_i32 s33, s33, 1
	s_and_b32 s29, ttmp6, 15
	s_mul_i32 s30, ttmp9, s30
	s_mul_i32 s33, s34, s33
	s_bfe_u32 s35, ttmp6, 0x40004
	v_lshl_add_u32 v7, v2, 4, v6
	s_add_co_i32 s29, s29, s30
	s_add_co_i32 s35, s35, s33
	s_cmp_eq_u32 s28, 0
	s_delay_alu instid0(VALU_DEP_1)
	v_dual_mov_b32 v3, 0 :: v_dual_bitop2_b32 v14, 63, v7 bitop3:0x40
	s_cselect_b32 s28, ttmp9, s29
	s_cselect_b32 s30, s34, s35
	s_ashr_i32 s29, s28, 31
	s_load_b256 s[12:19], s[0:1], 0x58
	s_lshl_b64 s[34:35], s[28:29], 6
	v_dual_lshrrev_b32 v8, 2, v7 :: v_dual_bitop2_b32 v15, 3, v0 bitop3:0x40
	v_dual_mov_b32 v9, v3 :: v_dual_bitop2_b32 v0, s34, v14 bitop3:0x54
	v_dual_mov_b32 v1, s35 :: v_dual_lshrrev_b32 v16, 6, v7
	s_load_b32 s33, s[0:1], 0x50
	s_wait_kmcnt 0x0
	s_delay_alu instid0(VALU_DEP_2)
	v_mad_nc_u64_u32 v[10:11], s24, v15, v[8:9]
	v_dual_lshlrev_b32 v7, 1, v15 :: v_dual_lshlrev_b32 v9, 1, v14
	v_mul_u64_e32 v[12:13], s[6:7], v[0:1]
	s_lshl_b32 s6, s30, 6
	s_mov_b32 s7, s3
	s_load_b96 s[28:30], s[0:1], 0x10
	v_add_nc_u64_e32 v[4:5], s[6:7], v[2:3]
	v_lshl_or_b32 v14, v8, 3, v7
	v_dual_mov_b32 v7, v3 :: v_dual_lshlrev_b32 v22, 1, v6
	v_mad_u32 v11, s25, v15, v11
	v_lshl_or_b32 v20, v16, 7, v9
	v_lshl_add_u32 v23, v2, 3, 0x200
	v_mul_u64_e32 v[0:1], s[20:21], v[4:5]
	v_mul_u64_e32 v[4:5], s[14:15], v[4:5]
	v_lshlrev_b32_e32 v2, 1, v16
	v_add_nc_u32_e32 v21, 0x200, v14
	s_cmp_eq_f16 s33, 0
	v_add_nc_u64_e32 v[8:9], s[6:7], v[10:11]
	s_wait_xcnt 0x0
	s_cselect_b32 s1, -1, 0
	v_add_nc_u64_e32 v[10:11], s[34:35], v[6:7]
	s_lshl_b64 s[6:7], s[8:9], 1
	s_wait_kmcnt 0x0
	v_cmp_gt_i64_e64 s0, s[28:29], 0
	s_lshl_b64 s[20:21], s[20:21], 4
	s_lshl_b64 s[34:35], s[14:15], 4
	v_lshlrev_b64_e32 v[6:7], 1, v[8:9]
	s_lshl_b64 s[8:9], s[22:23], 1
	v_lshlrev_b64_e32 v[10:11], 1, v[10:11]
	s_lshl_b64 s[14:15], s[20:21], 1
	s_lshl_b64 s[16:17], s[16:17], 1
	;; [unrolled: 1-line block ×3, first 2 shown]
	v_lshl_add_u64 v[8:9], v[12:13], 1, s[6:7]
	v_cndmask_b32_e64 v12, 0, 1, s0
	v_lshl_add_u64 v[6:7], s[26:27], 1, v[6:7]
	s_lshl_b64 s[6:7], s[24:25], 3
	s_delay_alu instid0(VALU_DEP_3) | instskip(NEXT) | instid1(VALU_DEP_3)
	v_add_nc_u64_e32 v[8:9], v[8:9], v[2:3]
	v_cmp_ne_u32_e64 s0, 1, v12
	s_branch .LBB65_3
.LBB65_2:                               ;   in Loop: Header=BB65_3 Depth=1
	s_add_co_i32 s2, s2, 0x10000
	s_delay_alu instid0(SALU_CYCLE_1)
	s_cmp_lt_i32 s2, s31
	s_cbranch_scc0 .LBB65_11
.LBB65_3:                               ; =>This Loop Header: Depth=1
                                        ;     Child Loop BB65_5 Depth 2
	v_mov_b32_e32 v2, s2
	s_delay_alu instid0(VALU_DEP_2)
	s_and_b32 vcc_lo, exec_lo, s0
	s_clause 0x1
	global_load_b64 v[12:13], v2, s[12:13] scale_offset
	global_load_b64 v[14:15], v2, s[18:19] scale_offset
	s_cbranch_vccnz .LBB65_6
; %bb.4:                                ;   in Loop: Header=BB65_3 Depth=1
	s_lshl_b64 s[22:23], s[2:3], 3
	s_wait_xcnt 0x0
	v_dual_mov_b32 v2, 0 :: v_dual_mov_b32 v24, 0
	s_add_nc_u64 s[24:25], s[10:11], s[22:23]
	s_add_nc_u64 s[22:23], s[4:5], s[22:23]
	s_clause 0x1
	global_load_b64 v[16:17], v3, s[24:25]
	global_load_b64 v[18:19], v3, s[22:23]
	v_dual_mov_b32 v25, 0 :: v_dual_mov_b32 v26, 0
	v_dual_mov_b32 v27, 0 :: v_dual_mov_b32 v28, 0
	;; [unrolled: 1-line block ×3, first 2 shown]
	s_wait_xcnt 0x0
	s_mov_b64 s[22:23], 0
	s_wait_loadcnt 0x1
	v_add_nc_u64_e32 v[16:17], v[16:17], v[6:7]
	s_wait_loadcnt 0x0
	v_add_nc_u64_e32 v[18:19], v[18:19], v[8:9]
.LBB65_5:                               ;   Parent Loop BB65_3 Depth=1
                                        ; =>  This Inner Loop Header: Depth=2
	flat_load_u16 v31, v[18:19]
	s_add_nc_u64 s[22:23], s[22:23], 4
	s_wait_xcnt 0x0
	v_add_nc_u64_e32 v[18:19], 8, v[18:19]
	v_cmp_lt_i64_e64 s24, s[22:23], s[28:29]
	s_and_b32 vcc_lo, exec_lo, s24
	s_wait_loadcnt_dscnt 0x0
	ds_store_b16 v20, v31
	flat_load_u16 v31, v[16:17]
	s_wait_xcnt 0x0
	v_add_nc_u64_e32 v[16:17], s[6:7], v[16:17]
	s_wait_loadcnt_dscnt 0x0
	ds_store_b16 v21, v31
	s_wait_dscnt 0x0
	s_barrier_signal -1
	s_barrier_wait -1
	ds_load_u16 v31, v22
	ds_load_u16 v40, v22 offset:32
	ds_load_u16 v41, v22 offset:64
	;; [unrolled: 1-line block ×15, first 2 shown]
	ds_load_2addr_b64 v[32:35], v23 offset1:16
	ds_load_2addr_b64 v[36:39], v23 offset0:32 offset1:48
	s_wait_dscnt 0x0
	s_barrier_signal -1
	s_barrier_wait -1
	v_perm_b32 v31, v31, v40, 0x5040100
	v_perm_b32 v41, v41, v42, 0x5040100
	;; [unrolled: 1-line block ×8, first 2 shown]
	v_pk_fma_f16 v30, v31, v32, v30 op_sel_hi:[1,0,1]
	v_pk_fma_f16 v29, v41, v32, v29 op_sel_hi:[1,0,1]
	;; [unrolled: 1-line block ×8, first 2 shown]
	v_pk_fma_f16 v30, v40, v32, v30 op_sel:[0,1,0]
	v_pk_fma_f16 v29, v42, v32, v29 op_sel:[0,1,0]
	;; [unrolled: 1-line block ×8, first 2 shown]
	v_pk_fma_f16 v30, v43, v33, v30 op_sel_hi:[1,0,1]
	v_pk_fma_f16 v29, v45, v33, v29 op_sel_hi:[1,0,1]
	;; [unrolled: 1-line block ×8, first 2 shown]
	v_pk_fma_f16 v30, v44, v33, v30 op_sel:[0,1,0]
	v_pk_fma_f16 v29, v46, v33, v29 op_sel:[0,1,0]
	v_pk_fma_f16 v28, v44, v35, v28 op_sel:[0,1,0]
	v_pk_fma_f16 v27, v46, v35, v27 op_sel:[0,1,0]
	v_pk_fma_f16 v26, v44, v37, v26 op_sel:[0,1,0]
	v_pk_fma_f16 v25, v46, v37, v25 op_sel:[0,1,0]
	v_pk_fma_f16 v24, v44, v39, v24 op_sel:[0,1,0]
	v_pk_fma_f16 v2, v46, v39, v2 op_sel:[0,1,0]
	s_cbranch_vccnz .LBB65_5
	s_branch .LBB65_7
.LBB65_6:                               ;   in Loop: Header=BB65_3 Depth=1
	v_dual_mov_b32 v30, 0 :: v_dual_mov_b32 v29, 0
	v_dual_mov_b32 v28, 0 :: v_dual_mov_b32 v27, 0
	;; [unrolled: 1-line block ×3, first 2 shown]
	s_wait_xcnt 0x0
	v_dual_mov_b32 v24, 0 :: v_dual_mov_b32 v2, 0
.LBB65_7:                               ;   in Loop: Header=BB65_3 Depth=1
	s_wait_loadcnt 0x0
	v_add_nc_u64_e32 v[14:15], s[8:9], v[14:15]
	v_dual_lshrrev_b32 v36, 16, v30 :: v_dual_lshrrev_b32 v35, 16, v29
	v_dual_lshrrev_b32 v34, 16, v28 :: v_dual_lshrrev_b32 v33, 16, v27
	;; [unrolled: 1-line block ×3, first 2 shown]
	s_delay_alu instid0(VALU_DEP_4) | instskip(SKIP_2) | instid1(VALU_DEP_2)
	v_lshl_add_u64 v[14:15], v[0:1], 1, v[14:15]
	v_dual_lshrrev_b32 v19, 16, v24 :: v_dual_lshrrev_b32 v18, 16, v2
	s_and_not1_b32 vcc_lo, exec_lo, s1
	v_add_nc_u64_e32 v[16:17], v[14:15], v[10:11]
	v_add_nc_u64_e32 v[14:15], s[14:15], v[14:15]
	s_cbranch_vccnz .LBB65_9
; %bb.8:                                ;   in Loop: Header=BB65_3 Depth=1
	v_mul_f16_e32 v37, s30, v36
	v_mul_f16_e32 v40, s30, v30
	s_delay_alu instid0(VALU_DEP_3)
	v_add_nc_u64_e32 v[38:39], s[14:15], v[14:15]
	v_mul_f16_e32 v41, s30, v35
	v_mul_f16_e32 v42, s30, v29
	s_clause 0x3
	flat_store_b16 v[16:17], v37
	flat_store_b16 v[16:17], v40 offset:32
	flat_store_b16 v[16:17], v41 offset:64
	;; [unrolled: 1-line block ×3, first 2 shown]
	s_wait_xcnt 0x1
	v_add_nc_u64_e32 v[40:41], v[14:15], v[10:11]
	v_mul_f16_e32 v37, s30, v34
	v_mul_f16_e32 v44, s30, v28
	s_wait_xcnt 0x0
	v_add_nc_u64_e32 v[42:43], v[38:39], v[10:11]
	v_add_nc_u64_e32 v[38:39], s[14:15], v[38:39]
	v_mul_f16_e32 v45, s30, v33
	v_mul_f16_e32 v46, s30, v27
	s_clause 0x3
	flat_store_b16 v[40:41], v37
	flat_store_b16 v[40:41], v44 offset:32
	flat_store_b16 v[40:41], v45 offset:64
	;; [unrolled: 1-line block ×3, first 2 shown]
	s_wait_xcnt 0x3
	v_mul_f16_e32 v37, s30, v32
	s_wait_xcnt 0x0
	v_mul_f16_e32 v40, s30, v26
	v_mul_f16_e32 v41, s30, v31
	;; [unrolled: 1-line block ×3, first 2 shown]
	v_add_nc_u64_e32 v[38:39], v[38:39], v[10:11]
	s_clause 0x3
	flat_store_b16 v[42:43], v37
	flat_store_b16 v[42:43], v40 offset:32
	flat_store_b16 v[42:43], v41 offset:64
	;; [unrolled: 1-line block ×3, first 2 shown]
	s_wait_xcnt 0x3
	v_mul_f16_e32 v37, s30, v19
	s_wait_xcnt 0x2
	v_mul_f16_e32 v40, s30, v24
	;; [unrolled: 2-line block ×4, first 2 shown]
	s_clause 0x3
	flat_store_b16 v[38:39], v37
	flat_store_b16 v[38:39], v40 offset:32
	flat_store_b16 v[38:39], v41 offset:64
	;; [unrolled: 1-line block ×3, first 2 shown]
	s_cbranch_execnz .LBB65_2
	s_branch .LBB65_10
.LBB65_9:                               ;   in Loop: Header=BB65_3 Depth=1
.LBB65_10:                              ;   in Loop: Header=BB65_3 Depth=1
	v_add_nc_u64_e32 v[12:13], s[16:17], v[12:13]
	s_delay_alu instid0(VALU_DEP_1) | instskip(SKIP_1) | instid1(VALU_DEP_1)
	v_lshl_add_u64 v[12:13], v[4:5], 1, v[12:13]
	s_wait_xcnt 0x0
	v_add_nc_u64_e32 v[38:39], v[12:13], v[10:11]
	v_add_nc_u64_e32 v[12:13], s[20:21], v[12:13]
	flat_load_u16 v37, v[38:39]
	s_wait_loadcnt_dscnt 0x0
	v_mul_f16_e32 v37, s33, v37
	s_delay_alu instid0(VALU_DEP_1) | instskip(SKIP_4) | instid1(VALU_DEP_1)
	v_fmac_f16_e32 v37, s30, v36
	flat_store_b16 v[16:17], v37
	flat_load_u16 v36, v[38:39] offset:32
	s_wait_loadcnt_dscnt 0x0
	v_mul_f16_e32 v36, s33, v36
	v_fmac_f16_e32 v36, s30, v30
	flat_store_b16 v[16:17], v36 offset:32
	flat_load_u16 v30, v[38:39] offset:64
	s_wait_xcnt 0x1
	v_add_nc_u64_e32 v[36:37], v[12:13], v[10:11]
	v_add_nc_u64_e32 v[12:13], s[20:21], v[12:13]
	s_wait_loadcnt_dscnt 0x0
	v_mul_f16_e32 v30, s33, v30
	s_delay_alu instid0(VALU_DEP_1) | instskip(SKIP_4) | instid1(VALU_DEP_1)
	v_fmac_f16_e32 v30, s30, v35
	flat_store_b16 v[16:17], v30 offset:64
	flat_load_u16 v30, v[38:39] offset:96
	s_wait_loadcnt_dscnt 0x0
	v_mul_f16_e32 v30, s33, v30
	v_fmac_f16_e32 v30, s30, v29
	flat_store_b16 v[16:17], v30 offset:96
	flat_load_u16 v16, v[36:37]
	s_wait_loadcnt_dscnt 0x0
	v_mul_f16_e32 v29, s33, v16
	v_add_nc_u64_e32 v[16:17], v[14:15], v[10:11]
	v_add_nc_u64_e32 v[14:15], s[14:15], v[14:15]
	s_delay_alu instid0(VALU_DEP_3) | instskip(SKIP_4) | instid1(VALU_DEP_1)
	v_fmac_f16_e32 v29, s30, v34
	flat_store_b16 v[16:17], v29
	flat_load_u16 v29, v[36:37] offset:32
	s_wait_loadcnt_dscnt 0x0
	v_mul_f16_e32 v29, s33, v29
	v_fmac_f16_e32 v29, s30, v28
	flat_store_b16 v[16:17], v29 offset:32
	flat_load_u16 v28, v[36:37] offset:64
	s_wait_loadcnt_dscnt 0x0
	v_mul_f16_e32 v28, s33, v28
	s_delay_alu instid0(VALU_DEP_1)
	v_fmac_f16_e32 v28, s30, v33
	flat_store_b16 v[16:17], v28 offset:64
	flat_load_u16 v28, v[36:37] offset:96
	s_wait_loadcnt_dscnt 0x0
	v_mul_f16_e32 v30, s33, v28
	v_add_nc_u64_e32 v[28:29], v[12:13], v[10:11]
	v_add_nc_u64_e32 v[12:13], s[20:21], v[12:13]
	s_delay_alu instid0(VALU_DEP_3) | instskip(NEXT) | instid1(VALU_DEP_2)
	v_fmac_f16_e32 v30, s30, v27
	v_add_nc_u64_e32 v[12:13], v[12:13], v[10:11]
	flat_store_b16 v[16:17], v30 offset:96
	flat_load_u16 v16, v[28:29]
	s_wait_loadcnt_dscnt 0x0
	v_mul_f16_e32 v27, s33, v16
	v_add_nc_u64_e32 v[16:17], v[14:15], v[10:11]
	v_add_nc_u64_e32 v[14:15], s[14:15], v[14:15]
	s_delay_alu instid0(VALU_DEP_3) | instskip(NEXT) | instid1(VALU_DEP_2)
	v_fmac_f16_e32 v27, s30, v32
	v_add_nc_u64_e32 v[14:15], v[14:15], v[10:11]
	flat_store_b16 v[16:17], v27
	flat_load_u16 v27, v[28:29] offset:32
	s_wait_loadcnt_dscnt 0x0
	v_mul_f16_e32 v27, s33, v27
	s_delay_alu instid0(VALU_DEP_1) | instskip(SKIP_4) | instid1(VALU_DEP_1)
	v_fmac_f16_e32 v27, s30, v26
	flat_store_b16 v[16:17], v27 offset:32
	flat_load_u16 v26, v[28:29] offset:64
	s_wait_loadcnt_dscnt 0x0
	v_mul_f16_e32 v26, s33, v26
	v_fmac_f16_e32 v26, s30, v31
	flat_store_b16 v[16:17], v26 offset:64
	flat_load_u16 v26, v[28:29] offset:96
	s_wait_loadcnt_dscnt 0x0
	v_mul_f16_e32 v26, s33, v26
	s_delay_alu instid0(VALU_DEP_1) | instskip(SKIP_4) | instid1(VALU_DEP_1)
	v_fmac_f16_e32 v26, s30, v25
	flat_store_b16 v[16:17], v26 offset:96
	flat_load_u16 v16, v[12:13]
	s_wait_loadcnt_dscnt 0x0
	v_mul_f16_e32 v16, s33, v16
	v_fmac_f16_e32 v16, s30, v19
	flat_store_b16 v[14:15], v16
	flat_load_u16 v16, v[12:13] offset:32
	s_wait_loadcnt_dscnt 0x0
	v_mul_f16_e32 v16, s33, v16
	s_delay_alu instid0(VALU_DEP_1) | instskip(SKIP_4) | instid1(VALU_DEP_1)
	v_fmac_f16_e32 v16, s30, v24
	flat_store_b16 v[14:15], v16 offset:32
	flat_load_u16 v16, v[12:13] offset:64
	s_wait_loadcnt_dscnt 0x0
	v_mul_f16_e32 v16, s33, v16
	v_fmac_f16_e32 v16, s30, v18
	flat_store_b16 v[14:15], v16 offset:64
	flat_load_u16 v12, v[12:13] offset:96
	s_wait_loadcnt_dscnt 0x0
	s_wait_xcnt 0x0
	v_mul_f16_e32 v12, s33, v12
	s_delay_alu instid0(VALU_DEP_1)
	v_fmac_f16_e32 v12, s30, v2
	flat_store_b16 v[14:15], v12 offset:96
	s_branch .LBB65_2
.LBB65_11:
	s_endpgm
	.section	.rodata,"a",@progbits
	.p2align	6, 0x0
	.amdhsa_kernel _ZN12_GLOBAL__N_127rocblas_gemm_batched_kernelIDF16_Li16ELi16ELi64ELi64ELi4ELi64ELi4ELi4ELi64ELc84ELc67EKPKDF16_S3_KPDF16_EEvlllT_PT11_llS8_llS6_PT12_llPT13_lli
		.amdhsa_group_segment_fixed_size 1024
		.amdhsa_private_segment_fixed_size 0
		.amdhsa_kernarg_size 140
		.amdhsa_user_sgpr_count 2
		.amdhsa_user_sgpr_dispatch_ptr 0
		.amdhsa_user_sgpr_queue_ptr 0
		.amdhsa_user_sgpr_kernarg_segment_ptr 1
		.amdhsa_user_sgpr_dispatch_id 0
		.amdhsa_user_sgpr_kernarg_preload_length 0
		.amdhsa_user_sgpr_kernarg_preload_offset 0
		.amdhsa_user_sgpr_private_segment_size 0
		.amdhsa_wavefront_size32 1
		.amdhsa_uses_dynamic_stack 0
		.amdhsa_enable_private_segment 0
		.amdhsa_system_sgpr_workgroup_id_x 1
		.amdhsa_system_sgpr_workgroup_id_y 1
		.amdhsa_system_sgpr_workgroup_id_z 1
		.amdhsa_system_sgpr_workgroup_info 0
		.amdhsa_system_vgpr_workitem_id 1
		.amdhsa_next_free_vgpr 55
		.amdhsa_next_free_sgpr 36
		.amdhsa_named_barrier_count 0
		.amdhsa_reserve_vcc 1
		.amdhsa_float_round_mode_32 0
		.amdhsa_float_round_mode_16_64 0
		.amdhsa_float_denorm_mode_32 3
		.amdhsa_float_denorm_mode_16_64 3
		.amdhsa_fp16_overflow 0
		.amdhsa_memory_ordered 1
		.amdhsa_forward_progress 1
		.amdhsa_inst_pref_size 19
		.amdhsa_round_robin_scheduling 0
		.amdhsa_exception_fp_ieee_invalid_op 0
		.amdhsa_exception_fp_denorm_src 0
		.amdhsa_exception_fp_ieee_div_zero 0
		.amdhsa_exception_fp_ieee_overflow 0
		.amdhsa_exception_fp_ieee_underflow 0
		.amdhsa_exception_fp_ieee_inexact 0
		.amdhsa_exception_int_div_zero 0
	.end_amdhsa_kernel
	.section	.text._ZN12_GLOBAL__N_127rocblas_gemm_batched_kernelIDF16_Li16ELi16ELi64ELi64ELi4ELi64ELi4ELi4ELi64ELc84ELc67EKPKDF16_S3_KPDF16_EEvlllT_PT11_llS8_llS6_PT12_llPT13_lli,"axG",@progbits,_ZN12_GLOBAL__N_127rocblas_gemm_batched_kernelIDF16_Li16ELi16ELi64ELi64ELi4ELi64ELi4ELi4ELi64ELc84ELc67EKPKDF16_S3_KPDF16_EEvlllT_PT11_llS8_llS6_PT12_llPT13_lli,comdat
.Lfunc_end65:
	.size	_ZN12_GLOBAL__N_127rocblas_gemm_batched_kernelIDF16_Li16ELi16ELi64ELi64ELi4ELi64ELi4ELi4ELi64ELc84ELc67EKPKDF16_S3_KPDF16_EEvlllT_PT11_llS8_llS6_PT12_llPT13_lli, .Lfunc_end65-_ZN12_GLOBAL__N_127rocblas_gemm_batched_kernelIDF16_Li16ELi16ELi64ELi64ELi4ELi64ELi4ELi4ELi64ELc84ELc67EKPKDF16_S3_KPDF16_EEvlllT_PT11_llS8_llS6_PT12_llPT13_lli
                                        ; -- End function
	.set _ZN12_GLOBAL__N_127rocblas_gemm_batched_kernelIDF16_Li16ELi16ELi64ELi64ELi4ELi64ELi4ELi4ELi64ELc84ELc67EKPKDF16_S3_KPDF16_EEvlllT_PT11_llS8_llS6_PT12_llPT13_lli.num_vgpr, 55
	.set _ZN12_GLOBAL__N_127rocblas_gemm_batched_kernelIDF16_Li16ELi16ELi64ELi64ELi4ELi64ELi4ELi4ELi64ELc84ELc67EKPKDF16_S3_KPDF16_EEvlllT_PT11_llS8_llS6_PT12_llPT13_lli.num_agpr, 0
	.set _ZN12_GLOBAL__N_127rocblas_gemm_batched_kernelIDF16_Li16ELi16ELi64ELi64ELi4ELi64ELi4ELi4ELi64ELc84ELc67EKPKDF16_S3_KPDF16_EEvlllT_PT11_llS8_llS6_PT12_llPT13_lli.numbered_sgpr, 36
	.set _ZN12_GLOBAL__N_127rocblas_gemm_batched_kernelIDF16_Li16ELi16ELi64ELi64ELi4ELi64ELi4ELi4ELi64ELc84ELc67EKPKDF16_S3_KPDF16_EEvlllT_PT11_llS8_llS6_PT12_llPT13_lli.num_named_barrier, 0
	.set _ZN12_GLOBAL__N_127rocblas_gemm_batched_kernelIDF16_Li16ELi16ELi64ELi64ELi4ELi64ELi4ELi4ELi64ELc84ELc67EKPKDF16_S3_KPDF16_EEvlllT_PT11_llS8_llS6_PT12_llPT13_lli.private_seg_size, 0
	.set _ZN12_GLOBAL__N_127rocblas_gemm_batched_kernelIDF16_Li16ELi16ELi64ELi64ELi4ELi64ELi4ELi4ELi64ELc84ELc67EKPKDF16_S3_KPDF16_EEvlllT_PT11_llS8_llS6_PT12_llPT13_lli.uses_vcc, 1
	.set _ZN12_GLOBAL__N_127rocblas_gemm_batched_kernelIDF16_Li16ELi16ELi64ELi64ELi4ELi64ELi4ELi4ELi64ELc84ELc67EKPKDF16_S3_KPDF16_EEvlllT_PT11_llS8_llS6_PT12_llPT13_lli.uses_flat_scratch, 1
	.set _ZN12_GLOBAL__N_127rocblas_gemm_batched_kernelIDF16_Li16ELi16ELi64ELi64ELi4ELi64ELi4ELi4ELi64ELc84ELc67EKPKDF16_S3_KPDF16_EEvlllT_PT11_llS8_llS6_PT12_llPT13_lli.has_dyn_sized_stack, 0
	.set _ZN12_GLOBAL__N_127rocblas_gemm_batched_kernelIDF16_Li16ELi16ELi64ELi64ELi4ELi64ELi4ELi4ELi64ELc84ELc67EKPKDF16_S3_KPDF16_EEvlllT_PT11_llS8_llS6_PT12_llPT13_lli.has_recursion, 0
	.set _ZN12_GLOBAL__N_127rocblas_gemm_batched_kernelIDF16_Li16ELi16ELi64ELi64ELi4ELi64ELi4ELi4ELi64ELc84ELc67EKPKDF16_S3_KPDF16_EEvlllT_PT11_llS8_llS6_PT12_llPT13_lli.has_indirect_call, 0
	.section	.AMDGPU.csdata,"",@progbits
; Kernel info:
; codeLenInByte = 2432
; TotalNumSgprs: 38
; NumVgprs: 55
; ScratchSize: 0
; MemoryBound: 0
; FloatMode: 240
; IeeeMode: 1
; LDSByteSize: 1024 bytes/workgroup (compile time only)
; SGPRBlocks: 0
; VGPRBlocks: 3
; NumSGPRsForWavesPerEU: 38
; NumVGPRsForWavesPerEU: 55
; NamedBarCnt: 0
; Occupancy: 16
; WaveLimiterHint : 1
; COMPUTE_PGM_RSRC2:SCRATCH_EN: 0
; COMPUTE_PGM_RSRC2:USER_SGPR: 2
; COMPUTE_PGM_RSRC2:TRAP_HANDLER: 0
; COMPUTE_PGM_RSRC2:TGID_X_EN: 1
; COMPUTE_PGM_RSRC2:TGID_Y_EN: 1
; COMPUTE_PGM_RSRC2:TGID_Z_EN: 1
; COMPUTE_PGM_RSRC2:TIDIG_COMP_CNT: 1
	.section	.text._ZN12_GLOBAL__N_127rocblas_gemm_batched_kernelIDF16_Li16ELi16ELi32ELi32ELi8ELi32ELi8ELi8ELi32ELc78ELc78EKPKDF16_S3_KPDF16_EEvlllT_PT11_llS8_llS6_PT12_llPT13_lli,"axG",@progbits,_ZN12_GLOBAL__N_127rocblas_gemm_batched_kernelIDF16_Li16ELi16ELi32ELi32ELi8ELi32ELi8ELi8ELi32ELc78ELc78EKPKDF16_S3_KPDF16_EEvlllT_PT11_llS8_llS6_PT12_llPT13_lli,comdat
	.globl	_ZN12_GLOBAL__N_127rocblas_gemm_batched_kernelIDF16_Li16ELi16ELi32ELi32ELi8ELi32ELi8ELi8ELi32ELc78ELc78EKPKDF16_S3_KPDF16_EEvlllT_PT11_llS8_llS6_PT12_llPT13_lli ; -- Begin function _ZN12_GLOBAL__N_127rocblas_gemm_batched_kernelIDF16_Li16ELi16ELi32ELi32ELi8ELi32ELi8ELi8ELi32ELc78ELc78EKPKDF16_S3_KPDF16_EEvlllT_PT11_llS8_llS6_PT12_llPT13_lli
	.p2align	8
	.type	_ZN12_GLOBAL__N_127rocblas_gemm_batched_kernelIDF16_Li16ELi16ELi32ELi32ELi8ELi32ELi8ELi8ELi32ELc78ELc78EKPKDF16_S3_KPDF16_EEvlllT_PT11_llS8_llS6_PT12_llPT13_lli,@function
_ZN12_GLOBAL__N_127rocblas_gemm_batched_kernelIDF16_Li16ELi16ELi32ELi32ELi8ELi32ELi8ELi8ELi32ELc78ELc78EKPKDF16_S3_KPDF16_EEvlllT_PT11_llS8_llS6_PT12_llPT13_lli: ; @_ZN12_GLOBAL__N_127rocblas_gemm_batched_kernelIDF16_Li16ELi16ELi32ELi32ELi8ELi32ELi8ELi8ELi32ELc78ELc78EKPKDF16_S3_KPDF16_EEvlllT_PT11_llS8_llS6_PT12_llPT13_lli
; %bb.0:
	s_load_b32 s31, s[0:1], 0x88
	s_bfe_u32 s2, ttmp6, 0x40014
	s_lshr_b32 s3, ttmp7, 16
	s_add_co_i32 s2, s2, 1
	s_bfe_u32 s4, ttmp6, 0x40008
	s_mul_i32 s2, s3, s2
	s_getreg_b32 s12, hwreg(HW_REG_IB_STS2, 6, 4)
	s_add_co_i32 s4, s4, s2
	s_cmp_eq_u32 s12, 0
	s_cselect_b32 s2, s3, s4
	s_mov_b32 s3, 0
	s_wait_kmcnt 0x0
	s_cmp_ge_i32 s2, s31
	s_cbranch_scc1 .LBB66_11
; %bb.1:
	v_bfe_u32 v2, v0, 10, 10
	v_mov_b32_e32 v3, 0
	v_and_b32_e32 v6, 0x3ff, v0
	s_clause 0x1
	s_load_b256 s[4:11], s[0:1], 0x20
	s_load_b128 s[20:23], s[0:1], 0x40
	s_bfe_u32 s14, ttmp6, 0x4000c
	v_lshlrev_b32_e32 v18, 4, v2
	s_bfe_u32 s16, ttmp6, 0x40010
	s_and_b32 s15, ttmp7, 0xffff
	s_add_co_i32 s14, s14, 1
	s_add_co_i32 s16, s16, 1
	v_dual_mov_b32 v9, v3 :: v_dual_add_nc_u32 v14, v18, v6
	s_and_b32 s13, ttmp6, 15
	s_mul_i32 s14, ttmp9, s14
	s_mul_i32 s16, s15, s16
	s_bfe_u32 s17, ttmp6, 0x40004
	s_add_co_i32 s13, s13, s14
	s_add_co_i32 s17, s17, s16
	s_cmp_eq_u32 s12, 0
	v_dual_lshrrev_b32 v8, 3, v14 :: v_dual_lshrrev_b32 v21, 5, v14
	s_cselect_b32 s12, s15, s17
	s_cselect_b32 s28, ttmp9, s13
	s_lshl_b32 s34, s12, 5
	s_mov_b32 s35, s3
	s_clause 0x1
	s_load_b128 s[24:27], s[0:1], 0x78
	s_load_b256 s[12:19], s[0:1], 0x58
	v_add_nc_u64_e32 v[4:5], s[34:35], v[8:9]
	s_ashr_i32 s29, s28, 31
	s_load_b32 s33, s[0:1], 0x50
	s_lshl_b64 s[36:37], s[28:29], 5
	s_load_b96 s[28:30], s[0:1], 0x10
	s_wait_kmcnt 0x0
	v_mad_nc_u64_u32 v[12:13], s6, v21, s[36:37]
	v_mov_b32_e32 v7, v3
	v_mul_u64_e32 v[10:11], s[20:21], v[4:5]
	v_add_nc_u64_e32 v[4:5], s[34:35], v[2:3]
	v_dual_mov_b32 v15, v3 :: v_dual_lshlrev_b32 v2, 1, v0
	v_dual_mov_b32 v17, v3 :: v_dual_bitop2_b32 v14, 31, v14 bitop3:0x40
	v_add_nc_u32_e32 v20, 0x200, v18
	s_delay_alu instid0(VALU_DEP_3)
	v_and_b32_e32 v16, 14, v2
	v_lshlrev_b32_e32 v2, 1, v6
	v_mad_u32 v13, s7, v21, v13
	v_add_nc_u64_e32 v[18:19], s[36:37], v[6:7]
	v_mul_u64_e32 v[0:1], s[24:25], v[4:5]
	v_mul_u64_e32 v[4:5], s[14:15], v[4:5]
	v_lshlrev_b32_e32 v22, 1, v14
	s_cmp_eq_f16 s33, 0
	v_cmp_gt_i64_e64 s0, s[28:29], 0
	s_delay_alu instid0(VALU_DEP_2)
	v_lshl_or_b32 v21, v21, 6, v22
	s_cselect_b32 s34, -1, 0
	v_add_nc_u64_e32 v[6:7], v[12:13], v[14:15]
	v_lshl_or_b32 v12, v8, 4, v16
	v_cndmask_b32_e64 v14, 0, 1, s34
	s_lshl_b64 s[20:21], s[24:25], 4
	v_cndmask_b32_e64 v13, 0, 1, s0
	s_lshl_b64 s[0:1], s[22:23], 1
	v_add_nc_u32_e32 v22, 0x200, v12
	v_lshlrev_b64_e32 v[6:7], 1, v[6:7]
	s_lshl_b64 s[14:15], s[14:15], 4
	s_lshl_b64 s[6:7], s[6:7], 4
	;; [unrolled: 1-line block ×3, first 2 shown]
	v_lshl_add_u64 v[8:9], v[10:11], 1, s[0:1]
	v_lshlrev_b64_e32 v[10:11], 1, v[18:19]
	s_delay_alu instid0(VALU_DEP_3)
	v_lshl_add_u64 v[6:7], s[8:9], 1, v[6:7]
	v_cmp_ne_u32_e64 s0, 1, v13
	v_cmp_ne_u32_e64 s1, 1, v14
	v_add_nc_u64_e32 v[8:9], v[8:9], v[16:17]
	s_lshl_b64 s[8:9], s[26:27], 1
	s_branch .LBB66_3
.LBB66_2:                               ;   in Loop: Header=BB66_3 Depth=1
	s_add_co_i32 s2, s2, 0x10000
	s_delay_alu instid0(SALU_CYCLE_1)
	s_cmp_lt_i32 s2, s31
	s_cbranch_scc0 .LBB66_11
.LBB66_3:                               ; =>This Loop Header: Depth=1
                                        ;     Child Loop BB66_5 Depth 2
	s_wait_xcnt 0x2
	v_mov_b32_e32 v16, s2
	s_and_b32 vcc_lo, exec_lo, s0
	s_clause 0x1
	global_load_b64 v[12:13], v16, s[12:13] scale_offset
	global_load_b64 v[14:15], v16, s[18:19] scale_offset
	s_cbranch_vccnz .LBB66_6
; %bb.4:                                ;   in Loop: Header=BB66_3 Depth=1
	s_lshl_b64 s[22:23], s[2:3], 3
	v_dual_mov_b32 v23, 0 :: v_dual_mov_b32 v24, 0
	s_add_nc_u64 s[24:25], s[10:11], s[22:23]
	s_add_nc_u64 s[22:23], s[4:5], s[22:23]
	s_clause 0x1
	global_load_b64 v[16:17], v3, s[24:25]
	global_load_b64 v[18:19], v3, s[22:23]
	s_wait_xcnt 0x0
	s_mov_b64 s[22:23], 0
	s_wait_loadcnt 0x1
	v_add_nc_u64_e32 v[16:17], v[16:17], v[8:9]
	s_wait_loadcnt 0x0
	v_add_nc_u64_e32 v[18:19], v[18:19], v[6:7]
.LBB66_5:                               ;   Parent Loop BB66_3 Depth=1
                                        ; =>  This Inner Loop Header: Depth=2
	flat_load_u16 v25, v[18:19]
	s_add_nc_u64 s[22:23], s[22:23], 8
	s_wait_xcnt 0x0
	v_add_nc_u64_e32 v[18:19], s[6:7], v[18:19]
	v_cmp_lt_i64_e64 s24, s[22:23], s[28:29]
	s_and_b32 vcc_lo, exec_lo, s24
	s_wait_loadcnt_dscnt 0x0
	ds_store_b16 v21, v25
	flat_load_u16 v25, v[16:17]
	s_wait_xcnt 0x0
	v_add_nc_u64_e32 v[16:17], 16, v[16:17]
	s_wait_loadcnt_dscnt 0x0
	ds_store_b16 v22, v25
	s_wait_dscnt 0x0
	s_barrier_signal -1
	s_barrier_wait -1
	ds_load_u16 v25, v2
	ds_load_u16 v34, v2 offset:32
	ds_load_u16 v35, v2 offset:64
	;; [unrolled: 1-line block ×3, first 2 shown]
	ds_load_b128 v[26:29], v20
	ds_load_b128 v[30:33], v20 offset:256
	ds_load_u16 v37, v2 offset:128
	ds_load_u16 v38, v2 offset:160
	;; [unrolled: 1-line block ×12, first 2 shown]
	s_wait_dscnt 0x0
	s_barrier_signal -1
	s_barrier_wait -1
	v_perm_b32 v25, v25, v34, 0x5040100
	v_perm_b32 v34, v35, v36, 0x5040100
	s_delay_alu instid0(VALU_DEP_2) | instskip(SKIP_2) | instid1(VALU_DEP_3)
	v_pk_fma_f16 v24, v25, v26, v24 op_sel_hi:[1,0,1]
	v_pk_fma_f16 v23, v25, v30, v23 op_sel_hi:[1,0,1]
	v_perm_b32 v25, v37, v38, 0x5040100
	v_pk_fma_f16 v24, v34, v26, v24 op_sel:[0,1,0]
	s_delay_alu instid0(VALU_DEP_3) | instskip(SKIP_1) | instid1(VALU_DEP_3)
	v_pk_fma_f16 v23, v34, v30, v23 op_sel:[0,1,0]
	v_perm_b32 v26, v39, v40, 0x5040100
	v_pk_fma_f16 v24, v25, v27, v24 op_sel_hi:[1,0,1]
	s_delay_alu instid0(VALU_DEP_3) | instskip(SKIP_1) | instid1(VALU_DEP_3)
	v_pk_fma_f16 v23, v25, v31, v23 op_sel_hi:[1,0,1]
	v_perm_b32 v25, v41, v42, 0x5040100
	v_pk_fma_f16 v24, v26, v27, v24 op_sel:[0,1,0]
	s_delay_alu instid0(VALU_DEP_3) | instskip(SKIP_1) | instid1(VALU_DEP_3)
	v_pk_fma_f16 v23, v26, v31, v23 op_sel:[0,1,0]
	v_perm_b32 v26, v43, v44, 0x5040100
	v_pk_fma_f16 v24, v25, v28, v24 op_sel_hi:[1,0,1]
	s_delay_alu instid0(VALU_DEP_3) | instskip(SKIP_1) | instid1(VALU_DEP_3)
	v_pk_fma_f16 v23, v25, v32, v23 op_sel_hi:[1,0,1]
	v_perm_b32 v25, v45, v46, 0x5040100
	v_pk_fma_f16 v24, v26, v28, v24 op_sel:[0,1,0]
	s_delay_alu instid0(VALU_DEP_3) | instskip(SKIP_1) | instid1(VALU_DEP_3)
	v_pk_fma_f16 v23, v26, v32, v23 op_sel:[0,1,0]
	v_perm_b32 v26, v47, v48, 0x5040100
	v_pk_fma_f16 v24, v25, v29, v24 op_sel_hi:[1,0,1]
	s_delay_alu instid0(VALU_DEP_3) | instskip(NEXT) | instid1(VALU_DEP_2)
	v_pk_fma_f16 v23, v25, v33, v23 op_sel_hi:[1,0,1]
	v_pk_fma_f16 v24, v26, v29, v24 op_sel:[0,1,0]
	s_delay_alu instid0(VALU_DEP_2)
	v_pk_fma_f16 v23, v26, v33, v23 op_sel:[0,1,0]
	s_cbranch_vccnz .LBB66_5
	s_branch .LBB66_7
.LBB66_6:                               ;   in Loop: Header=BB66_3 Depth=1
	v_dual_mov_b32 v24, 0 :: v_dual_mov_b32 v23, 0
.LBB66_7:                               ;   in Loop: Header=BB66_3 Depth=1
	s_wait_loadcnt 0x0
	v_add_nc_u64_e32 v[14:15], s[8:9], v[14:15]
	s_delay_alu instid0(VALU_DEP_2) | instskip(SKIP_1) | instid1(VALU_DEP_2)
	v_dual_lshrrev_b32 v19, 16, v24 :: v_dual_lshrrev_b32 v18, 16, v23
	s_and_b32 vcc_lo, exec_lo, s1
	v_lshl_add_u64 v[14:15], v[0:1], 1, v[14:15]
	s_wait_xcnt 0x0
	s_delay_alu instid0(VALU_DEP_1)
	v_add_nc_u64_e32 v[16:17], v[14:15], v[10:11]
	v_lshl_add_u64 v[14:15], s[20:21], 1, v[14:15]
	s_cbranch_vccnz .LBB66_9
; %bb.8:                                ;   in Loop: Header=BB66_3 Depth=1
	s_delay_alu instid0(VALU_DEP_1)
	v_add_nc_u64_e32 v[26:27], v[14:15], v[10:11]
	v_mul_f16_e32 v25, s30, v19
	v_mul_f16_e32 v29, s30, v18
	;; [unrolled: 1-line block ×4, first 2 shown]
	s_clause 0x3
	flat_store_b16 v[16:17], v25
	flat_store_b16 v[16:17], v28 offset:32
	flat_store_b16 v[26:27], v29
	flat_store_b16 v[26:27], v30 offset:32
	s_cbranch_execnz .LBB66_2
	s_branch .LBB66_10
.LBB66_9:                               ;   in Loop: Header=BB66_3 Depth=1
.LBB66_10:                              ;   in Loop: Header=BB66_3 Depth=1
	v_add_nc_u64_e32 v[12:13], s[16:17], v[12:13]
	s_delay_alu instid0(VALU_DEP_2) | instskip(NEXT) | instid1(VALU_DEP_2)
	v_add_nc_u64_e32 v[14:15], v[14:15], v[10:11]
	v_lshl_add_u64 v[12:13], v[4:5], 1, v[12:13]
	s_wait_xcnt 0x0
	s_delay_alu instid0(VALU_DEP_1) | instskip(SKIP_1) | instid1(VALU_DEP_1)
	v_add_nc_u64_e32 v[26:27], v[12:13], v[10:11]
	v_lshl_add_u64 v[12:13], s[14:15], 1, v[12:13]
	v_add_nc_u64_e32 v[12:13], v[12:13], v[10:11]
	flat_load_u16 v25, v[26:27]
	s_wait_loadcnt_dscnt 0x0
	v_mul_f16_e32 v25, s33, v25
	s_delay_alu instid0(VALU_DEP_1) | instskip(SKIP_4) | instid1(VALU_DEP_1)
	v_fmac_f16_e32 v25, s30, v19
	flat_store_b16 v[16:17], v25
	flat_load_u16 v19, v[26:27] offset:32
	s_wait_loadcnt_dscnt 0x0
	v_mul_f16_e32 v19, s33, v19
	v_fmac_f16_e32 v19, s30, v24
	flat_store_b16 v[16:17], v19 offset:32
	flat_load_u16 v16, v[12:13]
	s_wait_loadcnt_dscnt 0x0
	v_mul_f16_e32 v16, s33, v16
	s_delay_alu instid0(VALU_DEP_1)
	v_fmac_f16_e32 v16, s30, v18
	flat_store_b16 v[14:15], v16
	flat_load_u16 v12, v[12:13] offset:32
	s_wait_loadcnt_dscnt 0x0
	s_wait_xcnt 0x0
	v_mul_f16_e32 v12, s33, v12
	s_delay_alu instid0(VALU_DEP_1)
	v_fmac_f16_e32 v12, s30, v23
	flat_store_b16 v[14:15], v12 offset:32
	s_branch .LBB66_2
.LBB66_11:
	s_endpgm
	.section	.rodata,"a",@progbits
	.p2align	6, 0x0
	.amdhsa_kernel _ZN12_GLOBAL__N_127rocblas_gemm_batched_kernelIDF16_Li16ELi16ELi32ELi32ELi8ELi32ELi8ELi8ELi32ELc78ELc78EKPKDF16_S3_KPDF16_EEvlllT_PT11_llS8_llS6_PT12_llPT13_lli
		.amdhsa_group_segment_fixed_size 1024
		.amdhsa_private_segment_fixed_size 0
		.amdhsa_kernarg_size 140
		.amdhsa_user_sgpr_count 2
		.amdhsa_user_sgpr_dispatch_ptr 0
		.amdhsa_user_sgpr_queue_ptr 0
		.amdhsa_user_sgpr_kernarg_segment_ptr 1
		.amdhsa_user_sgpr_dispatch_id 0
		.amdhsa_user_sgpr_kernarg_preload_length 0
		.amdhsa_user_sgpr_kernarg_preload_offset 0
		.amdhsa_user_sgpr_private_segment_size 0
		.amdhsa_wavefront_size32 1
		.amdhsa_uses_dynamic_stack 0
		.amdhsa_enable_private_segment 0
		.amdhsa_system_sgpr_workgroup_id_x 1
		.amdhsa_system_sgpr_workgroup_id_y 1
		.amdhsa_system_sgpr_workgroup_id_z 1
		.amdhsa_system_sgpr_workgroup_info 0
		.amdhsa_system_vgpr_workitem_id 1
		.amdhsa_next_free_vgpr 49
		.amdhsa_next_free_sgpr 38
		.amdhsa_named_barrier_count 0
		.amdhsa_reserve_vcc 1
		.amdhsa_float_round_mode_32 0
		.amdhsa_float_round_mode_16_64 0
		.amdhsa_float_denorm_mode_32 3
		.amdhsa_float_denorm_mode_16_64 3
		.amdhsa_fp16_overflow 0
		.amdhsa_memory_ordered 1
		.amdhsa_forward_progress 1
		.amdhsa_inst_pref_size 12
		.amdhsa_round_robin_scheduling 0
		.amdhsa_exception_fp_ieee_invalid_op 0
		.amdhsa_exception_fp_denorm_src 0
		.amdhsa_exception_fp_ieee_div_zero 0
		.amdhsa_exception_fp_ieee_overflow 0
		.amdhsa_exception_fp_ieee_underflow 0
		.amdhsa_exception_fp_ieee_inexact 0
		.amdhsa_exception_int_div_zero 0
	.end_amdhsa_kernel
	.section	.text._ZN12_GLOBAL__N_127rocblas_gemm_batched_kernelIDF16_Li16ELi16ELi32ELi32ELi8ELi32ELi8ELi8ELi32ELc78ELc78EKPKDF16_S3_KPDF16_EEvlllT_PT11_llS8_llS6_PT12_llPT13_lli,"axG",@progbits,_ZN12_GLOBAL__N_127rocblas_gemm_batched_kernelIDF16_Li16ELi16ELi32ELi32ELi8ELi32ELi8ELi8ELi32ELc78ELc78EKPKDF16_S3_KPDF16_EEvlllT_PT11_llS8_llS6_PT12_llPT13_lli,comdat
.Lfunc_end66:
	.size	_ZN12_GLOBAL__N_127rocblas_gemm_batched_kernelIDF16_Li16ELi16ELi32ELi32ELi8ELi32ELi8ELi8ELi32ELc78ELc78EKPKDF16_S3_KPDF16_EEvlllT_PT11_llS8_llS6_PT12_llPT13_lli, .Lfunc_end66-_ZN12_GLOBAL__N_127rocblas_gemm_batched_kernelIDF16_Li16ELi16ELi32ELi32ELi8ELi32ELi8ELi8ELi32ELc78ELc78EKPKDF16_S3_KPDF16_EEvlllT_PT11_llS8_llS6_PT12_llPT13_lli
                                        ; -- End function
	.set _ZN12_GLOBAL__N_127rocblas_gemm_batched_kernelIDF16_Li16ELi16ELi32ELi32ELi8ELi32ELi8ELi8ELi32ELc78ELc78EKPKDF16_S3_KPDF16_EEvlllT_PT11_llS8_llS6_PT12_llPT13_lli.num_vgpr, 49
	.set _ZN12_GLOBAL__N_127rocblas_gemm_batched_kernelIDF16_Li16ELi16ELi32ELi32ELi8ELi32ELi8ELi8ELi32ELc78ELc78EKPKDF16_S3_KPDF16_EEvlllT_PT11_llS8_llS6_PT12_llPT13_lli.num_agpr, 0
	.set _ZN12_GLOBAL__N_127rocblas_gemm_batched_kernelIDF16_Li16ELi16ELi32ELi32ELi8ELi32ELi8ELi8ELi32ELc78ELc78EKPKDF16_S3_KPDF16_EEvlllT_PT11_llS8_llS6_PT12_llPT13_lli.numbered_sgpr, 38
	.set _ZN12_GLOBAL__N_127rocblas_gemm_batched_kernelIDF16_Li16ELi16ELi32ELi32ELi8ELi32ELi8ELi8ELi32ELc78ELc78EKPKDF16_S3_KPDF16_EEvlllT_PT11_llS8_llS6_PT12_llPT13_lli.num_named_barrier, 0
	.set _ZN12_GLOBAL__N_127rocblas_gemm_batched_kernelIDF16_Li16ELi16ELi32ELi32ELi8ELi32ELi8ELi8ELi32ELc78ELc78EKPKDF16_S3_KPDF16_EEvlllT_PT11_llS8_llS6_PT12_llPT13_lli.private_seg_size, 0
	.set _ZN12_GLOBAL__N_127rocblas_gemm_batched_kernelIDF16_Li16ELi16ELi32ELi32ELi8ELi32ELi8ELi8ELi32ELc78ELc78EKPKDF16_S3_KPDF16_EEvlllT_PT11_llS8_llS6_PT12_llPT13_lli.uses_vcc, 1
	.set _ZN12_GLOBAL__N_127rocblas_gemm_batched_kernelIDF16_Li16ELi16ELi32ELi32ELi8ELi32ELi8ELi8ELi32ELc78ELc78EKPKDF16_S3_KPDF16_EEvlllT_PT11_llS8_llS6_PT12_llPT13_lli.uses_flat_scratch, 1
	.set _ZN12_GLOBAL__N_127rocblas_gemm_batched_kernelIDF16_Li16ELi16ELi32ELi32ELi8ELi32ELi8ELi8ELi32ELc78ELc78EKPKDF16_S3_KPDF16_EEvlllT_PT11_llS8_llS6_PT12_llPT13_lli.has_dyn_sized_stack, 0
	.set _ZN12_GLOBAL__N_127rocblas_gemm_batched_kernelIDF16_Li16ELi16ELi32ELi32ELi8ELi32ELi8ELi8ELi32ELc78ELc78EKPKDF16_S3_KPDF16_EEvlllT_PT11_llS8_llS6_PT12_llPT13_lli.has_recursion, 0
	.set _ZN12_GLOBAL__N_127rocblas_gemm_batched_kernelIDF16_Li16ELi16ELi32ELi32ELi8ELi32ELi8ELi8ELi32ELc78ELc78EKPKDF16_S3_KPDF16_EEvlllT_PT11_llS8_llS6_PT12_llPT13_lli.has_indirect_call, 0
	.section	.AMDGPU.csdata,"",@progbits
; Kernel info:
; codeLenInByte = 1500
; TotalNumSgprs: 40
; NumVgprs: 49
; ScratchSize: 0
; MemoryBound: 0
; FloatMode: 240
; IeeeMode: 1
; LDSByteSize: 1024 bytes/workgroup (compile time only)
; SGPRBlocks: 0
; VGPRBlocks: 3
; NumSGPRsForWavesPerEU: 40
; NumVGPRsForWavesPerEU: 49
; NamedBarCnt: 0
; Occupancy: 16
; WaveLimiterHint : 1
; COMPUTE_PGM_RSRC2:SCRATCH_EN: 0
; COMPUTE_PGM_RSRC2:USER_SGPR: 2
; COMPUTE_PGM_RSRC2:TRAP_HANDLER: 0
; COMPUTE_PGM_RSRC2:TGID_X_EN: 1
; COMPUTE_PGM_RSRC2:TGID_Y_EN: 1
; COMPUTE_PGM_RSRC2:TGID_Z_EN: 1
; COMPUTE_PGM_RSRC2:TIDIG_COMP_CNT: 1
	.section	.text._ZN12_GLOBAL__N_127rocblas_gemm_batched_kernelIDF16_Li16ELi16ELi32ELi32ELi8ELi32ELi8ELi8ELi32ELc84ELc78EKPKDF16_S3_KPDF16_EEvlllT_PT11_llS8_llS6_PT12_llPT13_lli,"axG",@progbits,_ZN12_GLOBAL__N_127rocblas_gemm_batched_kernelIDF16_Li16ELi16ELi32ELi32ELi8ELi32ELi8ELi8ELi32ELc84ELc78EKPKDF16_S3_KPDF16_EEvlllT_PT11_llS8_llS6_PT12_llPT13_lli,comdat
	.globl	_ZN12_GLOBAL__N_127rocblas_gemm_batched_kernelIDF16_Li16ELi16ELi32ELi32ELi8ELi32ELi8ELi8ELi32ELc84ELc78EKPKDF16_S3_KPDF16_EEvlllT_PT11_llS8_llS6_PT12_llPT13_lli ; -- Begin function _ZN12_GLOBAL__N_127rocblas_gemm_batched_kernelIDF16_Li16ELi16ELi32ELi32ELi8ELi32ELi8ELi8ELi32ELc84ELc78EKPKDF16_S3_KPDF16_EEvlllT_PT11_llS8_llS6_PT12_llPT13_lli
	.p2align	8
	.type	_ZN12_GLOBAL__N_127rocblas_gemm_batched_kernelIDF16_Li16ELi16ELi32ELi32ELi8ELi32ELi8ELi8ELi32ELc84ELc78EKPKDF16_S3_KPDF16_EEvlllT_PT11_llS8_llS6_PT12_llPT13_lli,@function
_ZN12_GLOBAL__N_127rocblas_gemm_batched_kernelIDF16_Li16ELi16ELi32ELi32ELi8ELi32ELi8ELi8ELi32ELc84ELc78EKPKDF16_S3_KPDF16_EEvlllT_PT11_llS8_llS6_PT12_llPT13_lli: ; @_ZN12_GLOBAL__N_127rocblas_gemm_batched_kernelIDF16_Li16ELi16ELi32ELi32ELi8ELi32ELi8ELi8ELi32ELc84ELc78EKPKDF16_S3_KPDF16_EEvlllT_PT11_llS8_llS6_PT12_llPT13_lli
; %bb.0:
	s_load_b32 s31, s[0:1], 0x88
	s_bfe_u32 s2, ttmp6, 0x40014
	s_lshr_b32 s3, ttmp7, 16
	s_add_co_i32 s2, s2, 1
	s_bfe_u32 s4, ttmp6, 0x40008
	s_mul_i32 s2, s3, s2
	s_getreg_b32 s28, hwreg(HW_REG_IB_STS2, 6, 4)
	s_add_co_i32 s4, s4, s2
	s_cmp_eq_u32 s28, 0
	s_cselect_b32 s2, s3, s4
	s_mov_b32 s3, 0
	s_wait_kmcnt 0x0
	s_cmp_ge_i32 s2, s31
	s_cbranch_scc1 .LBB67_11
; %bb.1:
	v_bfe_u32 v2, v0, 10, 10
	v_and_b32_e32 v6, 0x3ff, v0
	s_clause 0x1
	s_load_b256 s[4:11], s[0:1], 0x20
	s_load_b128 s[24:27], s[0:1], 0x40
	s_bfe_u32 s30, ttmp6, 0x4000c
	s_bfe_u32 s34, ttmp6, 0x40010
	v_dual_mov_b32 v3, 0 :: v_dual_lshlrev_b32 v16, 4, v2
	s_and_b32 s33, ttmp7, 0xffff
	s_add_co_i32 s30, s30, 1
	s_add_co_i32 s34, s34, 1
	s_delay_alu instid0(VALU_DEP_1)
	v_dual_add_nc_u32 v17, v16, v6 :: v_dual_mov_b32 v9, v3
	s_and_b32 s29, ttmp6, 15
	s_mul_i32 s30, ttmp9, s30
	s_mul_i32 s34, s33, s34
	s_bfe_u32 s35, ttmp6, 0x40004
	s_add_co_i32 s29, s29, s30
	s_add_co_i32 s35, s35, s34
	s_cmp_eq_u32 s28, 0
	v_dual_lshrrev_b32 v8, 3, v17 :: v_dual_bitop2_b32 v18, 31, v17 bitop3:0x40
	s_cselect_b32 s28, ttmp9, s29
	s_cselect_b32 s30, s33, s35
	s_ashr_i32 s29, s28, 31
	s_lshl_b32 s34, s30, 5
	s_mov_b32 s35, s3
	s_clause 0x1
	s_load_b128 s[20:23], s[0:1], 0x78
	s_load_b256 s[12:19], s[0:1], 0x58
	s_lshl_b64 s[36:37], s[28:29], 5
	v_add_nc_u64_e32 v[4:5], s[34:35], v[8:9]
	v_dual_mov_b32 v11, s37 :: v_dual_bitop2_b32 v10, s36, v18 bitop3:0x54
	s_clause 0x1
	s_load_b32 s33, s[0:1], 0x50
	s_load_b96 s[28:30], s[0:1], 0x10
	v_dual_mov_b32 v7, v3 :: v_dual_lshlrev_b32 v20, 1, v6
	v_lshrrev_b32_e32 v19, 5, v17
	s_wait_kmcnt 0x0
	v_mul_u64_e32 v[10:11], s[6:7], v[10:11]
	v_mul_u64_e32 v[12:13], s[24:25], v[4:5]
	v_add_nc_u64_e32 v[4:5], s[34:35], v[2:3]
	v_lshlrev_b32_e32 v2, 1, v0
	v_add_nc_u32_e32 v21, 0x200, v16
	v_add_nc_u64_e32 v[16:17], s[36:37], v[6:7]
	v_dual_mov_b32 v15, v3 :: v_dual_lshlrev_b32 v18, 1, v18
	s_delay_alu instid0(VALU_DEP_4)
	v_and_b32_e32 v14, 14, v2
	v_mul_u64_e32 v[0:1], s[20:21], v[4:5]
	v_mul_u64_e32 v[4:5], s[14:15], v[4:5]
	v_lshlrev_b32_e32 v2, 1, v19
	v_lshl_or_b32 v22, v19, 6, v18
	v_lshl_or_b32 v23, v8, 4, v14
	s_cmp_eq_f16 s33, 0
	v_cmp_gt_i64_e64 s0, s[28:29], 0
	s_delay_alu instid0(VALU_DEP_2)
	v_add_nc_u32_e32 v23, 0x200, v23
	s_cselect_b32 s24, -1, 0
	s_lshl_b64 s[6:7], s[20:21], 4
	s_lshl_b64 s[16:17], s[16:17], 1
	v_cndmask_b32_e64 v24, 0, 1, s0
	s_lshl_b64 s[0:1], s[8:9], 1
	s_lshl_b64 s[8:9], s[26:27], 1
	v_lshl_add_u64 v[6:7], v[10:11], 1, s[0:1]
	v_lshl_add_u64 v[8:9], v[12:13], 1, s[8:9]
	v_cndmask_b32_e64 v12, 0, 1, s24
	v_lshlrev_b64_e32 v[10:11], 1, v[16:17]
	v_cmp_ne_u32_e64 s0, 1, v24
	v_add_nc_u64_e32 v[6:7], v[6:7], v[2:3]
	v_add_nc_u64_e32 v[8:9], v[8:9], v[14:15]
	v_cmp_ne_u32_e64 s1, 1, v12
	s_lshl_b64 s[8:9], s[14:15], 4
	s_lshl_b64 s[14:15], s[22:23], 1
	s_branch .LBB67_3
.LBB67_2:                               ;   in Loop: Header=BB67_3 Depth=1
	s_add_co_i32 s2, s2, 0x10000
	s_delay_alu instid0(SALU_CYCLE_1)
	s_cmp_lt_i32 s2, s31
	s_cbranch_scc0 .LBB67_11
.LBB67_3:                               ; =>This Loop Header: Depth=1
                                        ;     Child Loop BB67_5 Depth 2
	v_mov_b32_e32 v2, s2
	s_and_b32 vcc_lo, exec_lo, s0
	s_clause 0x1
	global_load_b64 v[12:13], v2, s[12:13] scale_offset
	global_load_b64 v[14:15], v2, s[18:19] scale_offset
	s_cbranch_vccnz .LBB67_6
; %bb.4:                                ;   in Loop: Header=BB67_3 Depth=1
	s_lshl_b64 s[20:21], s[2:3], 3
	s_wait_xcnt 0x0
	v_dual_mov_b32 v2, 0 :: v_dual_mov_b32 v24, 0
	s_add_nc_u64 s[22:23], s[10:11], s[20:21]
	s_add_nc_u64 s[20:21], s[4:5], s[20:21]
	s_clause 0x1
	global_load_b64 v[16:17], v3, s[22:23]
	global_load_b64 v[18:19], v3, s[20:21]
	s_wait_xcnt 0x0
	s_mov_b64 s[20:21], 0
	s_wait_loadcnt 0x1
	v_add_nc_u64_e32 v[16:17], v[16:17], v[8:9]
	s_wait_loadcnt 0x0
	v_add_nc_u64_e32 v[18:19], v[18:19], v[6:7]
.LBB67_5:                               ;   Parent Loop BB67_3 Depth=1
                                        ; =>  This Inner Loop Header: Depth=2
	flat_load_u16 v25, v[18:19]
	s_add_nc_u64 s[20:21], s[20:21], 8
	s_wait_xcnt 0x0
	v_add_nc_u64_e32 v[18:19], 16, v[18:19]
	v_cmp_lt_i64_e64 s22, s[20:21], s[28:29]
	s_and_b32 vcc_lo, exec_lo, s22
	s_wait_loadcnt_dscnt 0x0
	ds_store_b16 v22, v25
	flat_load_u16 v25, v[16:17]
	s_wait_xcnt 0x0
	v_add_nc_u64_e32 v[16:17], 16, v[16:17]
	s_wait_loadcnt_dscnt 0x0
	ds_store_b16 v23, v25
	s_wait_dscnt 0x0
	s_barrier_signal -1
	s_barrier_wait -1
	ds_load_u16 v25, v20
	ds_load_u16 v34, v20 offset:32
	ds_load_u16 v35, v20 offset:64
	;; [unrolled: 1-line block ×3, first 2 shown]
	ds_load_b128 v[26:29], v21
	ds_load_b128 v[30:33], v21 offset:256
	ds_load_u16 v37, v20 offset:128
	ds_load_u16 v38, v20 offset:160
	;; [unrolled: 1-line block ×12, first 2 shown]
	s_wait_dscnt 0x0
	s_barrier_signal -1
	s_barrier_wait -1
	v_perm_b32 v25, v25, v34, 0x5040100
	v_perm_b32 v34, v35, v36, 0x5040100
	s_delay_alu instid0(VALU_DEP_2) | instskip(SKIP_2) | instid1(VALU_DEP_3)
	v_pk_fma_f16 v24, v25, v26, v24 op_sel_hi:[1,0,1]
	v_pk_fma_f16 v2, v25, v30, v2 op_sel_hi:[1,0,1]
	v_perm_b32 v25, v37, v38, 0x5040100
	v_pk_fma_f16 v24, v34, v26, v24 op_sel:[0,1,0]
	s_delay_alu instid0(VALU_DEP_3) | instskip(SKIP_1) | instid1(VALU_DEP_3)
	v_pk_fma_f16 v2, v34, v30, v2 op_sel:[0,1,0]
	v_perm_b32 v26, v39, v40, 0x5040100
	v_pk_fma_f16 v24, v25, v27, v24 op_sel_hi:[1,0,1]
	s_delay_alu instid0(VALU_DEP_3) | instskip(SKIP_1) | instid1(VALU_DEP_3)
	v_pk_fma_f16 v2, v25, v31, v2 op_sel_hi:[1,0,1]
	v_perm_b32 v25, v41, v42, 0x5040100
	v_pk_fma_f16 v24, v26, v27, v24 op_sel:[0,1,0]
	s_delay_alu instid0(VALU_DEP_3) | instskip(SKIP_1) | instid1(VALU_DEP_3)
	v_pk_fma_f16 v2, v26, v31, v2 op_sel:[0,1,0]
	v_perm_b32 v26, v43, v44, 0x5040100
	v_pk_fma_f16 v24, v25, v28, v24 op_sel_hi:[1,0,1]
	s_delay_alu instid0(VALU_DEP_3) | instskip(SKIP_1) | instid1(VALU_DEP_3)
	v_pk_fma_f16 v2, v25, v32, v2 op_sel_hi:[1,0,1]
	v_perm_b32 v25, v45, v46, 0x5040100
	v_pk_fma_f16 v24, v26, v28, v24 op_sel:[0,1,0]
	s_delay_alu instid0(VALU_DEP_3) | instskip(SKIP_1) | instid1(VALU_DEP_3)
	v_pk_fma_f16 v2, v26, v32, v2 op_sel:[0,1,0]
	v_perm_b32 v26, v47, v48, 0x5040100
	v_pk_fma_f16 v24, v25, v29, v24 op_sel_hi:[1,0,1]
	s_delay_alu instid0(VALU_DEP_3) | instskip(NEXT) | instid1(VALU_DEP_2)
	v_pk_fma_f16 v2, v25, v33, v2 op_sel_hi:[1,0,1]
	v_pk_fma_f16 v24, v26, v29, v24 op_sel:[0,1,0]
	s_delay_alu instid0(VALU_DEP_2)
	v_pk_fma_f16 v2, v26, v33, v2 op_sel:[0,1,0]
	s_cbranch_vccnz .LBB67_5
	s_branch .LBB67_7
.LBB67_6:                               ;   in Loop: Header=BB67_3 Depth=1
	s_wait_xcnt 0x0
	v_dual_mov_b32 v24, 0 :: v_dual_mov_b32 v2, 0
.LBB67_7:                               ;   in Loop: Header=BB67_3 Depth=1
	s_wait_loadcnt 0x0
	v_add_nc_u64_e32 v[14:15], s[14:15], v[14:15]
	s_delay_alu instid0(VALU_DEP_2) | instskip(SKIP_1) | instid1(VALU_DEP_2)
	v_dual_lshrrev_b32 v19, 16, v24 :: v_dual_lshrrev_b32 v18, 16, v2
	s_and_b32 vcc_lo, exec_lo, s1
	v_lshl_add_u64 v[14:15], v[0:1], 1, v[14:15]
	s_delay_alu instid0(VALU_DEP_1)
	v_add_nc_u64_e32 v[16:17], v[14:15], v[10:11]
	v_lshl_add_u64 v[14:15], s[6:7], 1, v[14:15]
	s_cbranch_vccnz .LBB67_9
; %bb.8:                                ;   in Loop: Header=BB67_3 Depth=1
	s_delay_alu instid0(VALU_DEP_1)
	v_add_nc_u64_e32 v[26:27], v[14:15], v[10:11]
	v_mul_f16_e32 v25, s30, v19
	v_mul_f16_e32 v29, s30, v18
	;; [unrolled: 1-line block ×4, first 2 shown]
	s_clause 0x3
	flat_store_b16 v[16:17], v25
	flat_store_b16 v[16:17], v28 offset:32
	flat_store_b16 v[26:27], v29
	flat_store_b16 v[26:27], v30 offset:32
	s_cbranch_execnz .LBB67_2
	s_branch .LBB67_10
.LBB67_9:                               ;   in Loop: Header=BB67_3 Depth=1
.LBB67_10:                              ;   in Loop: Header=BB67_3 Depth=1
	v_add_nc_u64_e32 v[12:13], s[16:17], v[12:13]
	s_delay_alu instid0(VALU_DEP_2) | instskip(NEXT) | instid1(VALU_DEP_2)
	v_add_nc_u64_e32 v[14:15], v[14:15], v[10:11]
	v_lshl_add_u64 v[12:13], v[4:5], 1, v[12:13]
	s_wait_xcnt 0x0
	s_delay_alu instid0(VALU_DEP_1) | instskip(SKIP_1) | instid1(VALU_DEP_1)
	v_add_nc_u64_e32 v[26:27], v[12:13], v[10:11]
	v_lshl_add_u64 v[12:13], s[8:9], 1, v[12:13]
	v_add_nc_u64_e32 v[12:13], v[12:13], v[10:11]
	flat_load_u16 v25, v[26:27]
	s_wait_loadcnt_dscnt 0x0
	v_mul_f16_e32 v25, s33, v25
	s_delay_alu instid0(VALU_DEP_1) | instskip(SKIP_4) | instid1(VALU_DEP_1)
	v_fmac_f16_e32 v25, s30, v19
	flat_store_b16 v[16:17], v25
	flat_load_u16 v19, v[26:27] offset:32
	s_wait_loadcnt_dscnt 0x0
	v_mul_f16_e32 v19, s33, v19
	v_fmac_f16_e32 v19, s30, v24
	flat_store_b16 v[16:17], v19 offset:32
	flat_load_u16 v16, v[12:13]
	s_wait_loadcnt_dscnt 0x0
	v_mul_f16_e32 v16, s33, v16
	s_delay_alu instid0(VALU_DEP_1)
	v_fmac_f16_e32 v16, s30, v18
	flat_store_b16 v[14:15], v16
	flat_load_u16 v12, v[12:13] offset:32
	s_wait_loadcnt_dscnt 0x0
	s_wait_xcnt 0x0
	v_mul_f16_e32 v12, s33, v12
	s_delay_alu instid0(VALU_DEP_1)
	v_fmac_f16_e32 v12, s30, v2
	flat_store_b16 v[14:15], v12 offset:32
	s_branch .LBB67_2
.LBB67_11:
	s_endpgm
	.section	.rodata,"a",@progbits
	.p2align	6, 0x0
	.amdhsa_kernel _ZN12_GLOBAL__N_127rocblas_gemm_batched_kernelIDF16_Li16ELi16ELi32ELi32ELi8ELi32ELi8ELi8ELi32ELc84ELc78EKPKDF16_S3_KPDF16_EEvlllT_PT11_llS8_llS6_PT12_llPT13_lli
		.amdhsa_group_segment_fixed_size 1024
		.amdhsa_private_segment_fixed_size 0
		.amdhsa_kernarg_size 140
		.amdhsa_user_sgpr_count 2
		.amdhsa_user_sgpr_dispatch_ptr 0
		.amdhsa_user_sgpr_queue_ptr 0
		.amdhsa_user_sgpr_kernarg_segment_ptr 1
		.amdhsa_user_sgpr_dispatch_id 0
		.amdhsa_user_sgpr_kernarg_preload_length 0
		.amdhsa_user_sgpr_kernarg_preload_offset 0
		.amdhsa_user_sgpr_private_segment_size 0
		.amdhsa_wavefront_size32 1
		.amdhsa_uses_dynamic_stack 0
		.amdhsa_enable_private_segment 0
		.amdhsa_system_sgpr_workgroup_id_x 1
		.amdhsa_system_sgpr_workgroup_id_y 1
		.amdhsa_system_sgpr_workgroup_id_z 1
		.amdhsa_system_sgpr_workgroup_info 0
		.amdhsa_system_vgpr_workitem_id 1
		.amdhsa_next_free_vgpr 49
		.amdhsa_next_free_sgpr 38
		.amdhsa_named_barrier_count 0
		.amdhsa_reserve_vcc 1
		.amdhsa_float_round_mode_32 0
		.amdhsa_float_round_mode_16_64 0
		.amdhsa_float_denorm_mode_32 3
		.amdhsa_float_denorm_mode_16_64 3
		.amdhsa_fp16_overflow 0
		.amdhsa_memory_ordered 1
		.amdhsa_forward_progress 1
		.amdhsa_inst_pref_size 12
		.amdhsa_round_robin_scheduling 0
		.amdhsa_exception_fp_ieee_invalid_op 0
		.amdhsa_exception_fp_denorm_src 0
		.amdhsa_exception_fp_ieee_div_zero 0
		.amdhsa_exception_fp_ieee_overflow 0
		.amdhsa_exception_fp_ieee_underflow 0
		.amdhsa_exception_fp_ieee_inexact 0
		.amdhsa_exception_int_div_zero 0
	.end_amdhsa_kernel
	.section	.text._ZN12_GLOBAL__N_127rocblas_gemm_batched_kernelIDF16_Li16ELi16ELi32ELi32ELi8ELi32ELi8ELi8ELi32ELc84ELc78EKPKDF16_S3_KPDF16_EEvlllT_PT11_llS8_llS6_PT12_llPT13_lli,"axG",@progbits,_ZN12_GLOBAL__N_127rocblas_gemm_batched_kernelIDF16_Li16ELi16ELi32ELi32ELi8ELi32ELi8ELi8ELi32ELc84ELc78EKPKDF16_S3_KPDF16_EEvlllT_PT11_llS8_llS6_PT12_llPT13_lli,comdat
.Lfunc_end67:
	.size	_ZN12_GLOBAL__N_127rocblas_gemm_batched_kernelIDF16_Li16ELi16ELi32ELi32ELi8ELi32ELi8ELi8ELi32ELc84ELc78EKPKDF16_S3_KPDF16_EEvlllT_PT11_llS8_llS6_PT12_llPT13_lli, .Lfunc_end67-_ZN12_GLOBAL__N_127rocblas_gemm_batched_kernelIDF16_Li16ELi16ELi32ELi32ELi8ELi32ELi8ELi8ELi32ELc84ELc78EKPKDF16_S3_KPDF16_EEvlllT_PT11_llS8_llS6_PT12_llPT13_lli
                                        ; -- End function
	.set _ZN12_GLOBAL__N_127rocblas_gemm_batched_kernelIDF16_Li16ELi16ELi32ELi32ELi8ELi32ELi8ELi8ELi32ELc84ELc78EKPKDF16_S3_KPDF16_EEvlllT_PT11_llS8_llS6_PT12_llPT13_lli.num_vgpr, 49
	.set _ZN12_GLOBAL__N_127rocblas_gemm_batched_kernelIDF16_Li16ELi16ELi32ELi32ELi8ELi32ELi8ELi8ELi32ELc84ELc78EKPKDF16_S3_KPDF16_EEvlllT_PT11_llS8_llS6_PT12_llPT13_lli.num_agpr, 0
	.set _ZN12_GLOBAL__N_127rocblas_gemm_batched_kernelIDF16_Li16ELi16ELi32ELi32ELi8ELi32ELi8ELi8ELi32ELc84ELc78EKPKDF16_S3_KPDF16_EEvlllT_PT11_llS8_llS6_PT12_llPT13_lli.numbered_sgpr, 38
	.set _ZN12_GLOBAL__N_127rocblas_gemm_batched_kernelIDF16_Li16ELi16ELi32ELi32ELi8ELi32ELi8ELi8ELi32ELc84ELc78EKPKDF16_S3_KPDF16_EEvlllT_PT11_llS8_llS6_PT12_llPT13_lli.num_named_barrier, 0
	.set _ZN12_GLOBAL__N_127rocblas_gemm_batched_kernelIDF16_Li16ELi16ELi32ELi32ELi8ELi32ELi8ELi8ELi32ELc84ELc78EKPKDF16_S3_KPDF16_EEvlllT_PT11_llS8_llS6_PT12_llPT13_lli.private_seg_size, 0
	.set _ZN12_GLOBAL__N_127rocblas_gemm_batched_kernelIDF16_Li16ELi16ELi32ELi32ELi8ELi32ELi8ELi8ELi32ELc84ELc78EKPKDF16_S3_KPDF16_EEvlllT_PT11_llS8_llS6_PT12_llPT13_lli.uses_vcc, 1
	.set _ZN12_GLOBAL__N_127rocblas_gemm_batched_kernelIDF16_Li16ELi16ELi32ELi32ELi8ELi32ELi8ELi8ELi32ELc84ELc78EKPKDF16_S3_KPDF16_EEvlllT_PT11_llS8_llS6_PT12_llPT13_lli.uses_flat_scratch, 1
	.set _ZN12_GLOBAL__N_127rocblas_gemm_batched_kernelIDF16_Li16ELi16ELi32ELi32ELi8ELi32ELi8ELi8ELi32ELc84ELc78EKPKDF16_S3_KPDF16_EEvlllT_PT11_llS8_llS6_PT12_llPT13_lli.has_dyn_sized_stack, 0
	.set _ZN12_GLOBAL__N_127rocblas_gemm_batched_kernelIDF16_Li16ELi16ELi32ELi32ELi8ELi32ELi8ELi8ELi32ELc84ELc78EKPKDF16_S3_KPDF16_EEvlllT_PT11_llS8_llS6_PT12_llPT13_lli.has_recursion, 0
	.set _ZN12_GLOBAL__N_127rocblas_gemm_batched_kernelIDF16_Li16ELi16ELi32ELi32ELi8ELi32ELi8ELi8ELi32ELc84ELc78EKPKDF16_S3_KPDF16_EEvlllT_PT11_llS8_llS6_PT12_llPT13_lli.has_indirect_call, 0
	.section	.AMDGPU.csdata,"",@progbits
; Kernel info:
; codeLenInByte = 1508
; TotalNumSgprs: 40
; NumVgprs: 49
; ScratchSize: 0
; MemoryBound: 0
; FloatMode: 240
; IeeeMode: 1
; LDSByteSize: 1024 bytes/workgroup (compile time only)
; SGPRBlocks: 0
; VGPRBlocks: 3
; NumSGPRsForWavesPerEU: 40
; NumVGPRsForWavesPerEU: 49
; NamedBarCnt: 0
; Occupancy: 16
; WaveLimiterHint : 1
; COMPUTE_PGM_RSRC2:SCRATCH_EN: 0
; COMPUTE_PGM_RSRC2:USER_SGPR: 2
; COMPUTE_PGM_RSRC2:TRAP_HANDLER: 0
; COMPUTE_PGM_RSRC2:TGID_X_EN: 1
; COMPUTE_PGM_RSRC2:TGID_Y_EN: 1
; COMPUTE_PGM_RSRC2:TGID_Z_EN: 1
; COMPUTE_PGM_RSRC2:TIDIG_COMP_CNT: 1
	.section	.text._ZN12_GLOBAL__N_127rocblas_gemm_batched_kernelIDF16_Li16ELi16ELi32ELi32ELi8ELi32ELi8ELi8ELi32ELc78ELc84EKPKDF16_S3_KPDF16_EEvlllT_PT11_llS8_llS6_PT12_llPT13_lli,"axG",@progbits,_ZN12_GLOBAL__N_127rocblas_gemm_batched_kernelIDF16_Li16ELi16ELi32ELi32ELi8ELi32ELi8ELi8ELi32ELc78ELc84EKPKDF16_S3_KPDF16_EEvlllT_PT11_llS8_llS6_PT12_llPT13_lli,comdat
	.globl	_ZN12_GLOBAL__N_127rocblas_gemm_batched_kernelIDF16_Li16ELi16ELi32ELi32ELi8ELi32ELi8ELi8ELi32ELc78ELc84EKPKDF16_S3_KPDF16_EEvlllT_PT11_llS8_llS6_PT12_llPT13_lli ; -- Begin function _ZN12_GLOBAL__N_127rocblas_gemm_batched_kernelIDF16_Li16ELi16ELi32ELi32ELi8ELi32ELi8ELi8ELi32ELc78ELc84EKPKDF16_S3_KPDF16_EEvlllT_PT11_llS8_llS6_PT12_llPT13_lli
	.p2align	8
	.type	_ZN12_GLOBAL__N_127rocblas_gemm_batched_kernelIDF16_Li16ELi16ELi32ELi32ELi8ELi32ELi8ELi8ELi32ELc78ELc84EKPKDF16_S3_KPDF16_EEvlllT_PT11_llS8_llS6_PT12_llPT13_lli,@function
_ZN12_GLOBAL__N_127rocblas_gemm_batched_kernelIDF16_Li16ELi16ELi32ELi32ELi8ELi32ELi8ELi8ELi32ELc78ELc84EKPKDF16_S3_KPDF16_EEvlllT_PT11_llS8_llS6_PT12_llPT13_lli: ; @_ZN12_GLOBAL__N_127rocblas_gemm_batched_kernelIDF16_Li16ELi16ELi32ELi32ELi8ELi32ELi8ELi8ELi32ELc78ELc84EKPKDF16_S3_KPDF16_EEvlllT_PT11_llS8_llS6_PT12_llPT13_lli
; %bb.0:
	s_load_b32 s31, s[0:1], 0x88
	s_bfe_u32 s2, ttmp6, 0x40014
	s_lshr_b32 s3, ttmp7, 16
	s_add_co_i32 s2, s2, 1
	s_bfe_u32 s4, ttmp6, 0x40008
	s_mul_i32 s2, s3, s2
	s_getreg_b32 s28, hwreg(HW_REG_IB_STS2, 6, 4)
	s_add_co_i32 s4, s4, s2
	s_cmp_eq_u32 s28, 0
	s_cselect_b32 s2, s3, s4
	s_mov_b32 s3, 0
	s_wait_kmcnt 0x0
	s_cmp_ge_i32 s2, s31
	s_cbranch_scc1 .LBB68_11
; %bb.1:
	v_bfe_u32 v2, v0, 10, 10
	s_clause 0x2
	s_load_b256 s[4:11], s[0:1], 0x20
	s_load_b128 s[20:23], s[0:1], 0x40
	s_load_b32 s33, s[0:1], 0x50
	v_and_b32_e32 v6, 0x3ff, v0
	s_bfe_u32 s30, ttmp6, 0x4000c
	s_bfe_u32 s34, ttmp6, 0x40010
	v_dual_mov_b32 v3, 0 :: v_dual_lshlrev_b32 v16, 4, v2
	s_add_co_i32 s30, s30, 1
	s_and_b32 s35, ttmp7, 0xffff
	s_add_co_i32 s34, s34, 1
	s_delay_alu instid0(VALU_DEP_1)
	v_dual_add_nc_u32 v1, v16, v6 :: v_dual_bitop2_b32 v0, 7, v0 bitop3:0x40
	s_clause 0x1
	s_load_b128 s[24:27], s[0:1], 0x78
	s_load_b256 s[12:19], s[0:1], 0x58
	s_and_b32 s29, ttmp6, 15
	s_mul_i32 s30, ttmp9, s30
	s_mul_i32 s34, s35, s34
	s_bfe_u32 s36, ttmp6, 0x40004
	s_add_co_i32 s29, s29, s30
	s_add_co_i32 s36, s36, s34
	s_cmp_eq_u32 s28, 0
	v_dual_mov_b32 v9, v3 :: v_dual_lshrrev_b32 v8, 3, v1
	s_cselect_b32 s28, ttmp9, s29
	v_dual_lshrrev_b32 v17, 5, v1 :: v_dual_bitop2_b32 v14, 31, v1 bitop3:0x40
	s_cselect_b32 s30, s35, s36
	s_ashr_i32 s29, s28, 31
	s_wait_kmcnt 0x0
	v_mad_nc_u64_u32 v[10:11], s20, v0, v[8:9]
	s_lshl_b64 s[34:35], s[28:29], 5
	s_lshl_b32 s36, s30, 5
	s_mov_b32 s37, s3
	v_mad_nc_u64_u32 v[12:13], s6, v17, s[34:35]
	v_add_nc_u64_e32 v[4:5], s[36:37], v[2:3]
	s_load_b96 s[28:30], s[0:1], 0x10
	v_dual_lshlrev_b32 v2, 1, v0 :: v_dual_lshlrev_b32 v9, 1, v14
	v_dual_mov_b32 v7, v3 :: v_dual_mov_b32 v15, v3
	v_mad_u32 v11, s21, v0, v11
	s_delay_alu instid0(VALU_DEP_4)
	v_mul_u64_e32 v[0:1], s[24:25], v[4:5]
	v_mul_u64_e32 v[4:5], s[14:15], v[4:5]
	v_lshl_or_b32 v18, v8, 4, v2
	v_mad_u32 v13, s7, v17, v13
	v_lshl_or_b32 v2, v17, 6, v9
	v_lshlrev_b32_e32 v21, 1, v6
	s_cmp_eq_f16 s33, 0
	v_add_nc_u32_e32 v20, 0x200, v18
	v_add_nc_u32_e32 v22, 0x200, v16
	v_add_nc_u64_e32 v[8:9], s[36:37], v[10:11]
	s_wait_xcnt 0x0
	s_cselect_b32 s1, -1, 0
	s_lshl_b64 s[24:25], s[24:25], 4
	s_lshl_b64 s[14:15], s[14:15], 4
	v_add_nc_u64_e32 v[10:11], v[12:13], v[14:15]
	s_wait_kmcnt 0x0
	v_cmp_gt_i64_e64 s0, s[28:29], 0
	v_add_nc_u64_e32 v[12:13], s[34:35], v[6:7]
	v_lshlrev_b64_e32 v[8:9], 1, v[8:9]
	s_lshl_b64 s[20:21], s[20:21], 4
	s_lshl_b64 s[6:7], s[6:7], 4
	;; [unrolled: 1-line block ×3, first 2 shown]
	v_lshlrev_b64_e32 v[10:11], 1, v[10:11]
	v_cndmask_b32_e64 v14, 0, 1, s0
	s_delay_alu instid0(VALU_DEP_3) | instskip(SKIP_1) | instid1(VALU_DEP_3)
	v_lshl_add_u64 v[6:7], s[22:23], 1, v[8:9]
	v_lshlrev_b64_e32 v[8:9], 1, v[12:13]
	v_cmp_ne_u32_e64 s0, 1, v14
	v_lshl_add_u64 v[10:11], s[8:9], 1, v[10:11]
	s_lshl_b64 s[8:9], s[26:27], 1
	s_branch .LBB68_3
.LBB68_2:                               ;   in Loop: Header=BB68_3 Depth=1
	s_add_co_i32 s2, s2, 0x10000
	s_delay_alu instid0(SALU_CYCLE_1)
	s_cmp_lt_i32 s2, s31
	s_cbranch_scc0 .LBB68_11
.LBB68_3:                               ; =>This Loop Header: Depth=1
                                        ;     Child Loop BB68_5 Depth 2
	s_wait_xcnt 0x2
	v_mov_b32_e32 v16, s2
	s_and_b32 vcc_lo, exec_lo, s0
	s_clause 0x1
	global_load_b64 v[12:13], v16, s[12:13] scale_offset
	global_load_b64 v[14:15], v16, s[18:19] scale_offset
	s_cbranch_vccnz .LBB68_6
; %bb.4:                                ;   in Loop: Header=BB68_3 Depth=1
	s_lshl_b64 s[22:23], s[2:3], 3
	v_dual_mov_b32 v23, 0 :: v_dual_mov_b32 v24, 0
	s_add_nc_u64 s[26:27], s[10:11], s[22:23]
	s_add_nc_u64 s[22:23], s[4:5], s[22:23]
	s_clause 0x1
	global_load_b64 v[16:17], v3, s[26:27]
	global_load_b64 v[18:19], v3, s[22:23]
	s_wait_xcnt 0x0
	s_mov_b64 s[22:23], 0
	s_wait_loadcnt 0x1
	v_add_nc_u64_e32 v[16:17], v[16:17], v[6:7]
	s_wait_loadcnt 0x0
	v_add_nc_u64_e32 v[18:19], v[18:19], v[10:11]
.LBB68_5:                               ;   Parent Loop BB68_3 Depth=1
                                        ; =>  This Inner Loop Header: Depth=2
	flat_load_u16 v25, v[18:19]
	s_add_nc_u64 s[22:23], s[22:23], 8
	s_wait_xcnt 0x0
	v_add_nc_u64_e32 v[18:19], s[6:7], v[18:19]
	v_cmp_lt_i64_e64 s26, s[22:23], s[28:29]
	s_and_b32 vcc_lo, exec_lo, s26
	s_wait_loadcnt_dscnt 0x0
	ds_store_b16 v2, v25
	flat_load_u16 v25, v[16:17]
	s_wait_xcnt 0x0
	v_add_nc_u64_e32 v[16:17], s[20:21], v[16:17]
	s_wait_loadcnt_dscnt 0x0
	ds_store_b16 v20, v25
	s_wait_dscnt 0x0
	s_barrier_signal -1
	s_barrier_wait -1
	ds_load_u16 v25, v21
	ds_load_u16 v34, v21 offset:32
	ds_load_u16 v35, v21 offset:64
	;; [unrolled: 1-line block ×3, first 2 shown]
	ds_load_b128 v[26:29], v22
	ds_load_b128 v[30:33], v22 offset:256
	ds_load_u16 v37, v21 offset:128
	ds_load_u16 v38, v21 offset:160
	;; [unrolled: 1-line block ×12, first 2 shown]
	s_wait_dscnt 0x0
	s_barrier_signal -1
	s_barrier_wait -1
	v_perm_b32 v25, v25, v34, 0x5040100
	v_perm_b32 v34, v35, v36, 0x5040100
	s_delay_alu instid0(VALU_DEP_2) | instskip(SKIP_2) | instid1(VALU_DEP_3)
	v_pk_fma_f16 v24, v25, v26, v24 op_sel_hi:[1,0,1]
	v_pk_fma_f16 v23, v25, v30, v23 op_sel_hi:[1,0,1]
	v_perm_b32 v25, v37, v38, 0x5040100
	v_pk_fma_f16 v24, v34, v26, v24 op_sel:[0,1,0]
	s_delay_alu instid0(VALU_DEP_3) | instskip(SKIP_1) | instid1(VALU_DEP_3)
	v_pk_fma_f16 v23, v34, v30, v23 op_sel:[0,1,0]
	v_perm_b32 v26, v39, v40, 0x5040100
	v_pk_fma_f16 v24, v25, v27, v24 op_sel_hi:[1,0,1]
	s_delay_alu instid0(VALU_DEP_3) | instskip(SKIP_1) | instid1(VALU_DEP_3)
	v_pk_fma_f16 v23, v25, v31, v23 op_sel_hi:[1,0,1]
	v_perm_b32 v25, v41, v42, 0x5040100
	v_pk_fma_f16 v24, v26, v27, v24 op_sel:[0,1,0]
	s_delay_alu instid0(VALU_DEP_3) | instskip(SKIP_1) | instid1(VALU_DEP_3)
	v_pk_fma_f16 v23, v26, v31, v23 op_sel:[0,1,0]
	v_perm_b32 v26, v43, v44, 0x5040100
	v_pk_fma_f16 v24, v25, v28, v24 op_sel_hi:[1,0,1]
	s_delay_alu instid0(VALU_DEP_3) | instskip(SKIP_1) | instid1(VALU_DEP_3)
	v_pk_fma_f16 v23, v25, v32, v23 op_sel_hi:[1,0,1]
	v_perm_b32 v25, v45, v46, 0x5040100
	v_pk_fma_f16 v24, v26, v28, v24 op_sel:[0,1,0]
	s_delay_alu instid0(VALU_DEP_3) | instskip(SKIP_1) | instid1(VALU_DEP_3)
	v_pk_fma_f16 v23, v26, v32, v23 op_sel:[0,1,0]
	v_perm_b32 v26, v47, v48, 0x5040100
	v_pk_fma_f16 v24, v25, v29, v24 op_sel_hi:[1,0,1]
	s_delay_alu instid0(VALU_DEP_3) | instskip(NEXT) | instid1(VALU_DEP_2)
	v_pk_fma_f16 v23, v25, v33, v23 op_sel_hi:[1,0,1]
	v_pk_fma_f16 v24, v26, v29, v24 op_sel:[0,1,0]
	s_delay_alu instid0(VALU_DEP_2)
	v_pk_fma_f16 v23, v26, v33, v23 op_sel:[0,1,0]
	s_cbranch_vccnz .LBB68_5
	s_branch .LBB68_7
.LBB68_6:                               ;   in Loop: Header=BB68_3 Depth=1
	v_dual_mov_b32 v24, 0 :: v_dual_mov_b32 v23, 0
.LBB68_7:                               ;   in Loop: Header=BB68_3 Depth=1
	s_wait_loadcnt 0x0
	v_add_nc_u64_e32 v[14:15], s[8:9], v[14:15]
	s_delay_alu instid0(VALU_DEP_2) | instskip(SKIP_1) | instid1(VALU_DEP_2)
	v_dual_lshrrev_b32 v19, 16, v24 :: v_dual_lshrrev_b32 v18, 16, v23
	s_and_not1_b32 vcc_lo, exec_lo, s1
	v_lshl_add_u64 v[14:15], v[0:1], 1, v[14:15]
	s_wait_xcnt 0x0
	s_delay_alu instid0(VALU_DEP_1)
	v_add_nc_u64_e32 v[16:17], v[14:15], v[8:9]
	v_lshl_add_u64 v[14:15], s[24:25], 1, v[14:15]
	s_cbranch_vccnz .LBB68_9
; %bb.8:                                ;   in Loop: Header=BB68_3 Depth=1
	s_delay_alu instid0(VALU_DEP_1)
	v_add_nc_u64_e32 v[26:27], v[14:15], v[8:9]
	v_mul_f16_e32 v25, s30, v19
	v_mul_f16_e32 v29, s30, v18
	;; [unrolled: 1-line block ×4, first 2 shown]
	s_clause 0x3
	flat_store_b16 v[16:17], v25
	flat_store_b16 v[16:17], v28 offset:32
	flat_store_b16 v[26:27], v29
	flat_store_b16 v[26:27], v30 offset:32
	s_cbranch_execnz .LBB68_2
	s_branch .LBB68_10
.LBB68_9:                               ;   in Loop: Header=BB68_3 Depth=1
.LBB68_10:                              ;   in Loop: Header=BB68_3 Depth=1
	v_add_nc_u64_e32 v[12:13], s[16:17], v[12:13]
	s_delay_alu instid0(VALU_DEP_2) | instskip(NEXT) | instid1(VALU_DEP_2)
	v_add_nc_u64_e32 v[14:15], v[14:15], v[8:9]
	v_lshl_add_u64 v[12:13], v[4:5], 1, v[12:13]
	s_wait_xcnt 0x0
	s_delay_alu instid0(VALU_DEP_1) | instskip(SKIP_1) | instid1(VALU_DEP_1)
	v_add_nc_u64_e32 v[26:27], v[12:13], v[8:9]
	v_lshl_add_u64 v[12:13], s[14:15], 1, v[12:13]
	v_add_nc_u64_e32 v[12:13], v[12:13], v[8:9]
	flat_load_u16 v25, v[26:27]
	s_wait_loadcnt_dscnt 0x0
	v_mul_f16_e32 v25, s33, v25
	s_delay_alu instid0(VALU_DEP_1) | instskip(SKIP_4) | instid1(VALU_DEP_1)
	v_fmac_f16_e32 v25, s30, v19
	flat_store_b16 v[16:17], v25
	flat_load_u16 v19, v[26:27] offset:32
	s_wait_loadcnt_dscnt 0x0
	v_mul_f16_e32 v19, s33, v19
	v_fmac_f16_e32 v19, s30, v24
	flat_store_b16 v[16:17], v19 offset:32
	flat_load_u16 v16, v[12:13]
	s_wait_loadcnt_dscnt 0x0
	v_mul_f16_e32 v16, s33, v16
	s_delay_alu instid0(VALU_DEP_1)
	v_fmac_f16_e32 v16, s30, v18
	flat_store_b16 v[14:15], v16
	flat_load_u16 v12, v[12:13] offset:32
	s_wait_loadcnt_dscnt 0x0
	s_wait_xcnt 0x0
	v_mul_f16_e32 v12, s33, v12
	s_delay_alu instid0(VALU_DEP_1)
	v_fmac_f16_e32 v12, s30, v23
	flat_store_b16 v[14:15], v12 offset:32
	s_branch .LBB68_2
.LBB68_11:
	s_endpgm
	.section	.rodata,"a",@progbits
	.p2align	6, 0x0
	.amdhsa_kernel _ZN12_GLOBAL__N_127rocblas_gemm_batched_kernelIDF16_Li16ELi16ELi32ELi32ELi8ELi32ELi8ELi8ELi32ELc78ELc84EKPKDF16_S3_KPDF16_EEvlllT_PT11_llS8_llS6_PT12_llPT13_lli
		.amdhsa_group_segment_fixed_size 1024
		.amdhsa_private_segment_fixed_size 0
		.amdhsa_kernarg_size 140
		.amdhsa_user_sgpr_count 2
		.amdhsa_user_sgpr_dispatch_ptr 0
		.amdhsa_user_sgpr_queue_ptr 0
		.amdhsa_user_sgpr_kernarg_segment_ptr 1
		.amdhsa_user_sgpr_dispatch_id 0
		.amdhsa_user_sgpr_kernarg_preload_length 0
		.amdhsa_user_sgpr_kernarg_preload_offset 0
		.amdhsa_user_sgpr_private_segment_size 0
		.amdhsa_wavefront_size32 1
		.amdhsa_uses_dynamic_stack 0
		.amdhsa_enable_private_segment 0
		.amdhsa_system_sgpr_workgroup_id_x 1
		.amdhsa_system_sgpr_workgroup_id_y 1
		.amdhsa_system_sgpr_workgroup_id_z 1
		.amdhsa_system_sgpr_workgroup_info 0
		.amdhsa_system_vgpr_workitem_id 1
		.amdhsa_next_free_vgpr 49
		.amdhsa_next_free_sgpr 38
		.amdhsa_named_barrier_count 0
		.amdhsa_reserve_vcc 1
		.amdhsa_float_round_mode_32 0
		.amdhsa_float_round_mode_16_64 0
		.amdhsa_float_denorm_mode_32 3
		.amdhsa_float_denorm_mode_16_64 3
		.amdhsa_fp16_overflow 0
		.amdhsa_memory_ordered 1
		.amdhsa_forward_progress 1
		.amdhsa_inst_pref_size 12
		.amdhsa_round_robin_scheduling 0
		.amdhsa_exception_fp_ieee_invalid_op 0
		.amdhsa_exception_fp_denorm_src 0
		.amdhsa_exception_fp_ieee_div_zero 0
		.amdhsa_exception_fp_ieee_overflow 0
		.amdhsa_exception_fp_ieee_underflow 0
		.amdhsa_exception_fp_ieee_inexact 0
		.amdhsa_exception_int_div_zero 0
	.end_amdhsa_kernel
	.section	.text._ZN12_GLOBAL__N_127rocblas_gemm_batched_kernelIDF16_Li16ELi16ELi32ELi32ELi8ELi32ELi8ELi8ELi32ELc78ELc84EKPKDF16_S3_KPDF16_EEvlllT_PT11_llS8_llS6_PT12_llPT13_lli,"axG",@progbits,_ZN12_GLOBAL__N_127rocblas_gemm_batched_kernelIDF16_Li16ELi16ELi32ELi32ELi8ELi32ELi8ELi8ELi32ELc78ELc84EKPKDF16_S3_KPDF16_EEvlllT_PT11_llS8_llS6_PT12_llPT13_lli,comdat
.Lfunc_end68:
	.size	_ZN12_GLOBAL__N_127rocblas_gemm_batched_kernelIDF16_Li16ELi16ELi32ELi32ELi8ELi32ELi8ELi8ELi32ELc78ELc84EKPKDF16_S3_KPDF16_EEvlllT_PT11_llS8_llS6_PT12_llPT13_lli, .Lfunc_end68-_ZN12_GLOBAL__N_127rocblas_gemm_batched_kernelIDF16_Li16ELi16ELi32ELi32ELi8ELi32ELi8ELi8ELi32ELc78ELc84EKPKDF16_S3_KPDF16_EEvlllT_PT11_llS8_llS6_PT12_llPT13_lli
                                        ; -- End function
	.set _ZN12_GLOBAL__N_127rocblas_gemm_batched_kernelIDF16_Li16ELi16ELi32ELi32ELi8ELi32ELi8ELi8ELi32ELc78ELc84EKPKDF16_S3_KPDF16_EEvlllT_PT11_llS8_llS6_PT12_llPT13_lli.num_vgpr, 49
	.set _ZN12_GLOBAL__N_127rocblas_gemm_batched_kernelIDF16_Li16ELi16ELi32ELi32ELi8ELi32ELi8ELi8ELi32ELc78ELc84EKPKDF16_S3_KPDF16_EEvlllT_PT11_llS8_llS6_PT12_llPT13_lli.num_agpr, 0
	.set _ZN12_GLOBAL__N_127rocblas_gemm_batched_kernelIDF16_Li16ELi16ELi32ELi32ELi8ELi32ELi8ELi8ELi32ELc78ELc84EKPKDF16_S3_KPDF16_EEvlllT_PT11_llS8_llS6_PT12_llPT13_lli.numbered_sgpr, 38
	.set _ZN12_GLOBAL__N_127rocblas_gemm_batched_kernelIDF16_Li16ELi16ELi32ELi32ELi8ELi32ELi8ELi8ELi32ELc78ELc84EKPKDF16_S3_KPDF16_EEvlllT_PT11_llS8_llS6_PT12_llPT13_lli.num_named_barrier, 0
	.set _ZN12_GLOBAL__N_127rocblas_gemm_batched_kernelIDF16_Li16ELi16ELi32ELi32ELi8ELi32ELi8ELi8ELi32ELc78ELc84EKPKDF16_S3_KPDF16_EEvlllT_PT11_llS8_llS6_PT12_llPT13_lli.private_seg_size, 0
	.set _ZN12_GLOBAL__N_127rocblas_gemm_batched_kernelIDF16_Li16ELi16ELi32ELi32ELi8ELi32ELi8ELi8ELi32ELc78ELc84EKPKDF16_S3_KPDF16_EEvlllT_PT11_llS8_llS6_PT12_llPT13_lli.uses_vcc, 1
	.set _ZN12_GLOBAL__N_127rocblas_gemm_batched_kernelIDF16_Li16ELi16ELi32ELi32ELi8ELi32ELi8ELi8ELi32ELc78ELc84EKPKDF16_S3_KPDF16_EEvlllT_PT11_llS8_llS6_PT12_llPT13_lli.uses_flat_scratch, 1
	.set _ZN12_GLOBAL__N_127rocblas_gemm_batched_kernelIDF16_Li16ELi16ELi32ELi32ELi8ELi32ELi8ELi8ELi32ELc78ELc84EKPKDF16_S3_KPDF16_EEvlllT_PT11_llS8_llS6_PT12_llPT13_lli.has_dyn_sized_stack, 0
	.set _ZN12_GLOBAL__N_127rocblas_gemm_batched_kernelIDF16_Li16ELi16ELi32ELi32ELi8ELi32ELi8ELi8ELi32ELc78ELc84EKPKDF16_S3_KPDF16_EEvlllT_PT11_llS8_llS6_PT12_llPT13_lli.has_recursion, 0
	.set _ZN12_GLOBAL__N_127rocblas_gemm_batched_kernelIDF16_Li16ELi16ELi32ELi32ELi8ELi32ELi8ELi8ELi32ELc78ELc84EKPKDF16_S3_KPDF16_EEvlllT_PT11_llS8_llS6_PT12_llPT13_lli.has_indirect_call, 0
	.section	.AMDGPU.csdata,"",@progbits
; Kernel info:
; codeLenInByte = 1508
; TotalNumSgprs: 40
; NumVgprs: 49
; ScratchSize: 0
; MemoryBound: 0
; FloatMode: 240
; IeeeMode: 1
; LDSByteSize: 1024 bytes/workgroup (compile time only)
; SGPRBlocks: 0
; VGPRBlocks: 3
; NumSGPRsForWavesPerEU: 40
; NumVGPRsForWavesPerEU: 49
; NamedBarCnt: 0
; Occupancy: 16
; WaveLimiterHint : 1
; COMPUTE_PGM_RSRC2:SCRATCH_EN: 0
; COMPUTE_PGM_RSRC2:USER_SGPR: 2
; COMPUTE_PGM_RSRC2:TRAP_HANDLER: 0
; COMPUTE_PGM_RSRC2:TGID_X_EN: 1
; COMPUTE_PGM_RSRC2:TGID_Y_EN: 1
; COMPUTE_PGM_RSRC2:TGID_Z_EN: 1
; COMPUTE_PGM_RSRC2:TIDIG_COMP_CNT: 1
	.section	.text._ZN12_GLOBAL__N_127rocblas_gemm_batched_kernelIDF16_Li16ELi16ELi32ELi32ELi8ELi32ELi8ELi8ELi32ELc84ELc84EKPKDF16_S3_KPDF16_EEvlllT_PT11_llS8_llS6_PT12_llPT13_lli,"axG",@progbits,_ZN12_GLOBAL__N_127rocblas_gemm_batched_kernelIDF16_Li16ELi16ELi32ELi32ELi8ELi32ELi8ELi8ELi32ELc84ELc84EKPKDF16_S3_KPDF16_EEvlllT_PT11_llS8_llS6_PT12_llPT13_lli,comdat
	.globl	_ZN12_GLOBAL__N_127rocblas_gemm_batched_kernelIDF16_Li16ELi16ELi32ELi32ELi8ELi32ELi8ELi8ELi32ELc84ELc84EKPKDF16_S3_KPDF16_EEvlllT_PT11_llS8_llS6_PT12_llPT13_lli ; -- Begin function _ZN12_GLOBAL__N_127rocblas_gemm_batched_kernelIDF16_Li16ELi16ELi32ELi32ELi8ELi32ELi8ELi8ELi32ELc84ELc84EKPKDF16_S3_KPDF16_EEvlllT_PT11_llS8_llS6_PT12_llPT13_lli
	.p2align	8
	.type	_ZN12_GLOBAL__N_127rocblas_gemm_batched_kernelIDF16_Li16ELi16ELi32ELi32ELi8ELi32ELi8ELi8ELi32ELc84ELc84EKPKDF16_S3_KPDF16_EEvlllT_PT11_llS8_llS6_PT12_llPT13_lli,@function
_ZN12_GLOBAL__N_127rocblas_gemm_batched_kernelIDF16_Li16ELi16ELi32ELi32ELi8ELi32ELi8ELi8ELi32ELc84ELc84EKPKDF16_S3_KPDF16_EEvlllT_PT11_llS8_llS6_PT12_llPT13_lli: ; @_ZN12_GLOBAL__N_127rocblas_gemm_batched_kernelIDF16_Li16ELi16ELi32ELi32ELi8ELi32ELi8ELi8ELi32ELc84ELc84EKPKDF16_S3_KPDF16_EEvlllT_PT11_llS8_llS6_PT12_llPT13_lli
; %bb.0:
	s_load_b32 s31, s[0:1], 0x88
	s_bfe_u32 s2, ttmp6, 0x40014
	s_lshr_b32 s3, ttmp7, 16
	s_add_co_i32 s2, s2, 1
	s_bfe_u32 s4, ttmp6, 0x40008
	s_mul_i32 s2, s3, s2
	s_getreg_b32 s28, hwreg(HW_REG_IB_STS2, 6, 4)
	s_add_co_i32 s4, s4, s2
	s_cmp_eq_u32 s28, 0
	s_cselect_b32 s2, s3, s4
	s_mov_b32 s3, 0
	s_wait_kmcnt 0x0
	s_cmp_ge_i32 s2, s31
	s_cbranch_scc1 .LBB69_11
; %bb.1:
	v_bfe_u32 v2, v0, 10, 10
	v_and_b32_e32 v6, 0x3ff, v0
	s_bfe_u32 s30, ttmp6, 0x4000c
	s_bfe_u32 s34, ttmp6, 0x40010
	s_clause 0x2
	s_load_b256 s[4:11], s[0:1], 0x20
	s_load_b128 s[24:27], s[0:1], 0x40
	s_load_b128 s[20:23], s[0:1], 0x78
	v_dual_mov_b32 v3, 0 :: v_dual_lshlrev_b32 v14, 4, v2
	s_and_b32 s33, ttmp7, 0xffff
	s_add_co_i32 s30, s30, 1
	s_add_co_i32 s34, s34, 1
	s_and_b32 s29, ttmp6, 15
	s_mul_i32 s30, ttmp9, s30
	s_mul_i32 s34, s33, s34
	s_bfe_u32 s35, ttmp6, 0x40004
	v_dual_add_nc_u32 v7, v14, v6 :: v_dual_bitop2_b32 v16, 7, v0 bitop3:0x40
	s_add_co_i32 s29, s29, s30
	s_add_co_i32 s35, s35, s34
	s_cmp_eq_u32 s28, 0
	s_delay_alu instid0(VALU_DEP_1)
	v_dual_lshrrev_b32 v8, 3, v7 :: v_dual_bitop2_b32 v15, 31, v7 bitop3:0x40
	s_cselect_b32 s28, ttmp9, s29
	s_cselect_b32 s30, s33, s35
	s_ashr_i32 s29, s28, 31
	s_load_b256 s[12:19], s[0:1], 0x58
	s_lshl_b64 s[34:35], s[28:29], 5
	s_delay_alu instid0(SALU_CYCLE_1)
	v_dual_mov_b32 v9, v3 :: v_dual_bitop2_b32 v0, s34, v15 bitop3:0x54
	v_mov_b32_e32 v1, s35
	s_load_b32 s33, s[0:1], 0x50
	v_add_nc_u32_e32 v23, 0x200, v14
	s_wait_kmcnt 0x0
	v_mad_nc_u64_u32 v[10:11], s24, v16, v[8:9]
	v_lshlrev_b32_e32 v9, 1, v15
	v_mul_u64_e32 v[12:13], s[6:7], v[0:1]
	s_lshl_b32 s6, s30, 5
	s_mov_b32 s7, s3
	s_load_b96 s[28:30], s[0:1], 0x10
	v_add_nc_u64_e32 v[4:5], s[6:7], v[2:3]
	v_dual_lshrrev_b32 v2, 5, v7 :: v_dual_lshlrev_b32 v7, 1, v16
	v_lshlrev_b32_e32 v22, 1, v6
	v_mad_u32 v11, s25, v16, v11
	s_delay_alu instid0(VALU_DEP_3)
	v_lshl_or_b32 v20, v2, 6, v9
	v_mul_u64_e32 v[0:1], s[20:21], v[4:5]
	v_mul_u64_e32 v[4:5], s[14:15], v[4:5]
	v_lshl_or_b32 v15, v8, 4, v7
	v_dual_mov_b32 v7, v3 :: v_dual_lshlrev_b32 v2, 1, v2
	s_cmp_eq_f16 s33, 0
	s_delay_alu instid0(VALU_DEP_2)
	v_add_nc_u32_e32 v21, 0x200, v15
	v_add_nc_u64_e32 v[8:9], s[6:7], v[10:11]
	s_cselect_b32 s36, -1, 0
	s_wait_xcnt 0x0
	s_lshl_b64 s[0:1], s[8:9], 1
	v_add_nc_u64_e32 v[10:11], s[34:35], v[6:7]
	s_lshl_b64 s[6:7], s[20:21], 4
	s_lshl_b64 s[8:9], s[14:15], 4
	;; [unrolled: 1-line block ×3, first 2 shown]
	v_lshlrev_b64_e32 v[6:7], 1, v[8:9]
	s_lshl_b64 s[20:21], s[22:23], 1
	s_lshl_b64 s[16:17], s[16:17], 1
	v_lshlrev_b64_e32 v[10:11], 1, v[10:11]
	v_lshl_add_u64 v[8:9], v[12:13], 1, s[0:1]
	s_wait_kmcnt 0x0
	v_cmp_gt_i64_e64 s0, s[28:29], 0
	v_cndmask_b32_e64 v13, 0, 1, s36
	v_lshl_add_u64 v[6:7], s[26:27], 1, v[6:7]
	v_add_nc_u64_e32 v[8:9], v[8:9], v[2:3]
	s_delay_alu instid0(VALU_DEP_3) | instskip(SKIP_1) | instid1(VALU_DEP_1)
	v_cmp_ne_u32_e64 s1, 1, v13
	v_cndmask_b32_e64 v12, 0, 1, s0
	v_cmp_ne_u32_e64 s0, 1, v12
	s_branch .LBB69_3
.LBB69_2:                               ;   in Loop: Header=BB69_3 Depth=1
	s_add_co_i32 s2, s2, 0x10000
	s_delay_alu instid0(SALU_CYCLE_1)
	s_cmp_lt_i32 s2, s31
	s_cbranch_scc0 .LBB69_11
.LBB69_3:                               ; =>This Loop Header: Depth=1
                                        ;     Child Loop BB69_5 Depth 2
	v_mov_b32_e32 v2, s2
	s_delay_alu instid0(VALU_DEP_2)
	s_and_b32 vcc_lo, exec_lo, s0
	s_clause 0x1
	global_load_b64 v[12:13], v2, s[12:13] scale_offset
	global_load_b64 v[14:15], v2, s[18:19] scale_offset
	s_cbranch_vccnz .LBB69_6
; %bb.4:                                ;   in Loop: Header=BB69_3 Depth=1
	s_lshl_b64 s[22:23], s[2:3], 3
	s_wait_xcnt 0x0
	v_dual_mov_b32 v2, 0 :: v_dual_mov_b32 v24, 0
	s_add_nc_u64 s[24:25], s[10:11], s[22:23]
	s_add_nc_u64 s[22:23], s[4:5], s[22:23]
	s_clause 0x1
	global_load_b64 v[16:17], v3, s[24:25]
	global_load_b64 v[18:19], v3, s[22:23]
	s_wait_xcnt 0x0
	s_mov_b64 s[22:23], 0
	s_wait_loadcnt 0x1
	v_add_nc_u64_e32 v[16:17], v[16:17], v[6:7]
	s_wait_loadcnt 0x0
	v_add_nc_u64_e32 v[18:19], v[18:19], v[8:9]
.LBB69_5:                               ;   Parent Loop BB69_3 Depth=1
                                        ; =>  This Inner Loop Header: Depth=2
	flat_load_u16 v25, v[18:19]
	s_add_nc_u64 s[22:23], s[22:23], 8
	s_wait_xcnt 0x0
	v_add_nc_u64_e32 v[18:19], 16, v[18:19]
	v_cmp_lt_i64_e64 s24, s[22:23], s[28:29]
	s_and_b32 vcc_lo, exec_lo, s24
	s_wait_loadcnt_dscnt 0x0
	ds_store_b16 v20, v25
	flat_load_u16 v25, v[16:17]
	s_wait_xcnt 0x0
	v_add_nc_u64_e32 v[16:17], s[14:15], v[16:17]
	s_wait_loadcnt_dscnt 0x0
	ds_store_b16 v21, v25
	s_wait_dscnt 0x0
	s_barrier_signal -1
	s_barrier_wait -1
	ds_load_u16 v25, v22
	ds_load_u16 v34, v22 offset:32
	ds_load_u16 v35, v22 offset:64
	;; [unrolled: 1-line block ×3, first 2 shown]
	ds_load_b128 v[26:29], v23
	ds_load_b128 v[30:33], v23 offset:256
	ds_load_u16 v37, v22 offset:128
	ds_load_u16 v38, v22 offset:160
	;; [unrolled: 1-line block ×12, first 2 shown]
	s_wait_dscnt 0x0
	s_barrier_signal -1
	s_barrier_wait -1
	v_perm_b32 v25, v25, v34, 0x5040100
	v_perm_b32 v34, v35, v36, 0x5040100
	s_delay_alu instid0(VALU_DEP_2) | instskip(SKIP_2) | instid1(VALU_DEP_3)
	v_pk_fma_f16 v24, v25, v26, v24 op_sel_hi:[1,0,1]
	v_pk_fma_f16 v2, v25, v30, v2 op_sel_hi:[1,0,1]
	v_perm_b32 v25, v37, v38, 0x5040100
	v_pk_fma_f16 v24, v34, v26, v24 op_sel:[0,1,0]
	s_delay_alu instid0(VALU_DEP_3) | instskip(SKIP_1) | instid1(VALU_DEP_3)
	v_pk_fma_f16 v2, v34, v30, v2 op_sel:[0,1,0]
	v_perm_b32 v26, v39, v40, 0x5040100
	v_pk_fma_f16 v24, v25, v27, v24 op_sel_hi:[1,0,1]
	s_delay_alu instid0(VALU_DEP_3) | instskip(SKIP_1) | instid1(VALU_DEP_3)
	v_pk_fma_f16 v2, v25, v31, v2 op_sel_hi:[1,0,1]
	v_perm_b32 v25, v41, v42, 0x5040100
	v_pk_fma_f16 v24, v26, v27, v24 op_sel:[0,1,0]
	s_delay_alu instid0(VALU_DEP_3) | instskip(SKIP_1) | instid1(VALU_DEP_3)
	v_pk_fma_f16 v2, v26, v31, v2 op_sel:[0,1,0]
	v_perm_b32 v26, v43, v44, 0x5040100
	v_pk_fma_f16 v24, v25, v28, v24 op_sel_hi:[1,0,1]
	s_delay_alu instid0(VALU_DEP_3) | instskip(SKIP_1) | instid1(VALU_DEP_3)
	v_pk_fma_f16 v2, v25, v32, v2 op_sel_hi:[1,0,1]
	v_perm_b32 v25, v45, v46, 0x5040100
	v_pk_fma_f16 v24, v26, v28, v24 op_sel:[0,1,0]
	s_delay_alu instid0(VALU_DEP_3) | instskip(SKIP_1) | instid1(VALU_DEP_3)
	v_pk_fma_f16 v2, v26, v32, v2 op_sel:[0,1,0]
	v_perm_b32 v26, v47, v48, 0x5040100
	v_pk_fma_f16 v24, v25, v29, v24 op_sel_hi:[1,0,1]
	s_delay_alu instid0(VALU_DEP_3) | instskip(NEXT) | instid1(VALU_DEP_2)
	v_pk_fma_f16 v2, v25, v33, v2 op_sel_hi:[1,0,1]
	v_pk_fma_f16 v24, v26, v29, v24 op_sel:[0,1,0]
	s_delay_alu instid0(VALU_DEP_2)
	v_pk_fma_f16 v2, v26, v33, v2 op_sel:[0,1,0]
	s_cbranch_vccnz .LBB69_5
	s_branch .LBB69_7
.LBB69_6:                               ;   in Loop: Header=BB69_3 Depth=1
	s_wait_xcnt 0x0
	v_dual_mov_b32 v24, 0 :: v_dual_mov_b32 v2, 0
.LBB69_7:                               ;   in Loop: Header=BB69_3 Depth=1
	s_wait_loadcnt 0x0
	v_add_nc_u64_e32 v[14:15], s[20:21], v[14:15]
	s_delay_alu instid0(VALU_DEP_2) | instskip(SKIP_1) | instid1(VALU_DEP_2)
	v_dual_lshrrev_b32 v19, 16, v24 :: v_dual_lshrrev_b32 v18, 16, v2
	s_and_b32 vcc_lo, exec_lo, s1
	v_lshl_add_u64 v[14:15], v[0:1], 1, v[14:15]
	s_delay_alu instid0(VALU_DEP_1)
	v_add_nc_u64_e32 v[16:17], v[14:15], v[10:11]
	v_lshl_add_u64 v[14:15], s[6:7], 1, v[14:15]
	s_cbranch_vccnz .LBB69_9
; %bb.8:                                ;   in Loop: Header=BB69_3 Depth=1
	s_delay_alu instid0(VALU_DEP_1)
	v_add_nc_u64_e32 v[26:27], v[14:15], v[10:11]
	v_mul_f16_e32 v25, s30, v19
	v_mul_f16_e32 v29, s30, v18
	;; [unrolled: 1-line block ×4, first 2 shown]
	s_clause 0x3
	flat_store_b16 v[16:17], v25
	flat_store_b16 v[16:17], v28 offset:32
	flat_store_b16 v[26:27], v29
	flat_store_b16 v[26:27], v30 offset:32
	s_cbranch_execnz .LBB69_2
	s_branch .LBB69_10
.LBB69_9:                               ;   in Loop: Header=BB69_3 Depth=1
.LBB69_10:                              ;   in Loop: Header=BB69_3 Depth=1
	v_add_nc_u64_e32 v[12:13], s[16:17], v[12:13]
	s_delay_alu instid0(VALU_DEP_2) | instskip(NEXT) | instid1(VALU_DEP_2)
	v_add_nc_u64_e32 v[14:15], v[14:15], v[10:11]
	v_lshl_add_u64 v[12:13], v[4:5], 1, v[12:13]
	s_wait_xcnt 0x0
	s_delay_alu instid0(VALU_DEP_1) | instskip(SKIP_1) | instid1(VALU_DEP_1)
	v_add_nc_u64_e32 v[26:27], v[12:13], v[10:11]
	v_lshl_add_u64 v[12:13], s[8:9], 1, v[12:13]
	v_add_nc_u64_e32 v[12:13], v[12:13], v[10:11]
	flat_load_u16 v25, v[26:27]
	s_wait_loadcnt_dscnt 0x0
	v_mul_f16_e32 v25, s33, v25
	s_delay_alu instid0(VALU_DEP_1) | instskip(SKIP_4) | instid1(VALU_DEP_1)
	v_fmac_f16_e32 v25, s30, v19
	flat_store_b16 v[16:17], v25
	flat_load_u16 v19, v[26:27] offset:32
	s_wait_loadcnt_dscnt 0x0
	v_mul_f16_e32 v19, s33, v19
	v_fmac_f16_e32 v19, s30, v24
	flat_store_b16 v[16:17], v19 offset:32
	flat_load_u16 v16, v[12:13]
	s_wait_loadcnt_dscnt 0x0
	v_mul_f16_e32 v16, s33, v16
	s_delay_alu instid0(VALU_DEP_1)
	v_fmac_f16_e32 v16, s30, v18
	flat_store_b16 v[14:15], v16
	flat_load_u16 v12, v[12:13] offset:32
	s_wait_loadcnt_dscnt 0x0
	s_wait_xcnt 0x0
	v_mul_f16_e32 v12, s33, v12
	s_delay_alu instid0(VALU_DEP_1)
	v_fmac_f16_e32 v12, s30, v2
	flat_store_b16 v[14:15], v12 offset:32
	s_branch .LBB69_2
.LBB69_11:
	s_endpgm
	.section	.rodata,"a",@progbits
	.p2align	6, 0x0
	.amdhsa_kernel _ZN12_GLOBAL__N_127rocblas_gemm_batched_kernelIDF16_Li16ELi16ELi32ELi32ELi8ELi32ELi8ELi8ELi32ELc84ELc84EKPKDF16_S3_KPDF16_EEvlllT_PT11_llS8_llS6_PT12_llPT13_lli
		.amdhsa_group_segment_fixed_size 1024
		.amdhsa_private_segment_fixed_size 0
		.amdhsa_kernarg_size 140
		.amdhsa_user_sgpr_count 2
		.amdhsa_user_sgpr_dispatch_ptr 0
		.amdhsa_user_sgpr_queue_ptr 0
		.amdhsa_user_sgpr_kernarg_segment_ptr 1
		.amdhsa_user_sgpr_dispatch_id 0
		.amdhsa_user_sgpr_kernarg_preload_length 0
		.amdhsa_user_sgpr_kernarg_preload_offset 0
		.amdhsa_user_sgpr_private_segment_size 0
		.amdhsa_wavefront_size32 1
		.amdhsa_uses_dynamic_stack 0
		.amdhsa_enable_private_segment 0
		.amdhsa_system_sgpr_workgroup_id_x 1
		.amdhsa_system_sgpr_workgroup_id_y 1
		.amdhsa_system_sgpr_workgroup_id_z 1
		.amdhsa_system_sgpr_workgroup_info 0
		.amdhsa_system_vgpr_workitem_id 1
		.amdhsa_next_free_vgpr 49
		.amdhsa_next_free_sgpr 37
		.amdhsa_named_barrier_count 0
		.amdhsa_reserve_vcc 1
		.amdhsa_float_round_mode_32 0
		.amdhsa_float_round_mode_16_64 0
		.amdhsa_float_denorm_mode_32 3
		.amdhsa_float_denorm_mode_16_64 3
		.amdhsa_fp16_overflow 0
		.amdhsa_memory_ordered 1
		.amdhsa_forward_progress 1
		.amdhsa_inst_pref_size 12
		.amdhsa_round_robin_scheduling 0
		.amdhsa_exception_fp_ieee_invalid_op 0
		.amdhsa_exception_fp_denorm_src 0
		.amdhsa_exception_fp_ieee_div_zero 0
		.amdhsa_exception_fp_ieee_overflow 0
		.amdhsa_exception_fp_ieee_underflow 0
		.amdhsa_exception_fp_ieee_inexact 0
		.amdhsa_exception_int_div_zero 0
	.end_amdhsa_kernel
	.section	.text._ZN12_GLOBAL__N_127rocblas_gemm_batched_kernelIDF16_Li16ELi16ELi32ELi32ELi8ELi32ELi8ELi8ELi32ELc84ELc84EKPKDF16_S3_KPDF16_EEvlllT_PT11_llS8_llS6_PT12_llPT13_lli,"axG",@progbits,_ZN12_GLOBAL__N_127rocblas_gemm_batched_kernelIDF16_Li16ELi16ELi32ELi32ELi8ELi32ELi8ELi8ELi32ELc84ELc84EKPKDF16_S3_KPDF16_EEvlllT_PT11_llS8_llS6_PT12_llPT13_lli,comdat
.Lfunc_end69:
	.size	_ZN12_GLOBAL__N_127rocblas_gemm_batched_kernelIDF16_Li16ELi16ELi32ELi32ELi8ELi32ELi8ELi8ELi32ELc84ELc84EKPKDF16_S3_KPDF16_EEvlllT_PT11_llS8_llS6_PT12_llPT13_lli, .Lfunc_end69-_ZN12_GLOBAL__N_127rocblas_gemm_batched_kernelIDF16_Li16ELi16ELi32ELi32ELi8ELi32ELi8ELi8ELi32ELc84ELc84EKPKDF16_S3_KPDF16_EEvlllT_PT11_llS8_llS6_PT12_llPT13_lli
                                        ; -- End function
	.set _ZN12_GLOBAL__N_127rocblas_gemm_batched_kernelIDF16_Li16ELi16ELi32ELi32ELi8ELi32ELi8ELi8ELi32ELc84ELc84EKPKDF16_S3_KPDF16_EEvlllT_PT11_llS8_llS6_PT12_llPT13_lli.num_vgpr, 49
	.set _ZN12_GLOBAL__N_127rocblas_gemm_batched_kernelIDF16_Li16ELi16ELi32ELi32ELi8ELi32ELi8ELi8ELi32ELc84ELc84EKPKDF16_S3_KPDF16_EEvlllT_PT11_llS8_llS6_PT12_llPT13_lli.num_agpr, 0
	.set _ZN12_GLOBAL__N_127rocblas_gemm_batched_kernelIDF16_Li16ELi16ELi32ELi32ELi8ELi32ELi8ELi8ELi32ELc84ELc84EKPKDF16_S3_KPDF16_EEvlllT_PT11_llS8_llS6_PT12_llPT13_lli.numbered_sgpr, 37
	.set _ZN12_GLOBAL__N_127rocblas_gemm_batched_kernelIDF16_Li16ELi16ELi32ELi32ELi8ELi32ELi8ELi8ELi32ELc84ELc84EKPKDF16_S3_KPDF16_EEvlllT_PT11_llS8_llS6_PT12_llPT13_lli.num_named_barrier, 0
	.set _ZN12_GLOBAL__N_127rocblas_gemm_batched_kernelIDF16_Li16ELi16ELi32ELi32ELi8ELi32ELi8ELi8ELi32ELc84ELc84EKPKDF16_S3_KPDF16_EEvlllT_PT11_llS8_llS6_PT12_llPT13_lli.private_seg_size, 0
	.set _ZN12_GLOBAL__N_127rocblas_gemm_batched_kernelIDF16_Li16ELi16ELi32ELi32ELi8ELi32ELi8ELi8ELi32ELc84ELc84EKPKDF16_S3_KPDF16_EEvlllT_PT11_llS8_llS6_PT12_llPT13_lli.uses_vcc, 1
	.set _ZN12_GLOBAL__N_127rocblas_gemm_batched_kernelIDF16_Li16ELi16ELi32ELi32ELi8ELi32ELi8ELi8ELi32ELc84ELc84EKPKDF16_S3_KPDF16_EEvlllT_PT11_llS8_llS6_PT12_llPT13_lli.uses_flat_scratch, 1
	.set _ZN12_GLOBAL__N_127rocblas_gemm_batched_kernelIDF16_Li16ELi16ELi32ELi32ELi8ELi32ELi8ELi8ELi32ELc84ELc84EKPKDF16_S3_KPDF16_EEvlllT_PT11_llS8_llS6_PT12_llPT13_lli.has_dyn_sized_stack, 0
	.set _ZN12_GLOBAL__N_127rocblas_gemm_batched_kernelIDF16_Li16ELi16ELi32ELi32ELi8ELi32ELi8ELi8ELi32ELc84ELc84EKPKDF16_S3_KPDF16_EEvlllT_PT11_llS8_llS6_PT12_llPT13_lli.has_recursion, 0
	.set _ZN12_GLOBAL__N_127rocblas_gemm_batched_kernelIDF16_Li16ELi16ELi32ELi32ELi8ELi32ELi8ELi8ELi32ELc84ELc84EKPKDF16_S3_KPDF16_EEvlllT_PT11_llS8_llS6_PT12_llPT13_lli.has_indirect_call, 0
	.section	.AMDGPU.csdata,"",@progbits
; Kernel info:
; codeLenInByte = 1532
; TotalNumSgprs: 39
; NumVgprs: 49
; ScratchSize: 0
; MemoryBound: 0
; FloatMode: 240
; IeeeMode: 1
; LDSByteSize: 1024 bytes/workgroup (compile time only)
; SGPRBlocks: 0
; VGPRBlocks: 3
; NumSGPRsForWavesPerEU: 39
; NumVGPRsForWavesPerEU: 49
; NamedBarCnt: 0
; Occupancy: 16
; WaveLimiterHint : 1
; COMPUTE_PGM_RSRC2:SCRATCH_EN: 0
; COMPUTE_PGM_RSRC2:USER_SGPR: 2
; COMPUTE_PGM_RSRC2:TRAP_HANDLER: 0
; COMPUTE_PGM_RSRC2:TGID_X_EN: 1
; COMPUTE_PGM_RSRC2:TGID_Y_EN: 1
; COMPUTE_PGM_RSRC2:TGID_Z_EN: 1
; COMPUTE_PGM_RSRC2:TIDIG_COMP_CNT: 1
	.section	.text._ZN12_GLOBAL__N_127rocblas_gemm_batched_kernelIDF16_Li16ELi16ELi32ELi32ELi8ELi32ELi8ELi8ELi32ELc67ELc67EKPKDF16_S3_KPDF16_EEvlllT_PT11_llS8_llS6_PT12_llPT13_lli,"axG",@progbits,_ZN12_GLOBAL__N_127rocblas_gemm_batched_kernelIDF16_Li16ELi16ELi32ELi32ELi8ELi32ELi8ELi8ELi32ELc67ELc67EKPKDF16_S3_KPDF16_EEvlllT_PT11_llS8_llS6_PT12_llPT13_lli,comdat
	.globl	_ZN12_GLOBAL__N_127rocblas_gemm_batched_kernelIDF16_Li16ELi16ELi32ELi32ELi8ELi32ELi8ELi8ELi32ELc67ELc67EKPKDF16_S3_KPDF16_EEvlllT_PT11_llS8_llS6_PT12_llPT13_lli ; -- Begin function _ZN12_GLOBAL__N_127rocblas_gemm_batched_kernelIDF16_Li16ELi16ELi32ELi32ELi8ELi32ELi8ELi8ELi32ELc67ELc67EKPKDF16_S3_KPDF16_EEvlllT_PT11_llS8_llS6_PT12_llPT13_lli
	.p2align	8
	.type	_ZN12_GLOBAL__N_127rocblas_gemm_batched_kernelIDF16_Li16ELi16ELi32ELi32ELi8ELi32ELi8ELi8ELi32ELc67ELc67EKPKDF16_S3_KPDF16_EEvlllT_PT11_llS8_llS6_PT12_llPT13_lli,@function
_ZN12_GLOBAL__N_127rocblas_gemm_batched_kernelIDF16_Li16ELi16ELi32ELi32ELi8ELi32ELi8ELi8ELi32ELc67ELc67EKPKDF16_S3_KPDF16_EEvlllT_PT11_llS8_llS6_PT12_llPT13_lli: ; @_ZN12_GLOBAL__N_127rocblas_gemm_batched_kernelIDF16_Li16ELi16ELi32ELi32ELi8ELi32ELi8ELi8ELi32ELc67ELc67EKPKDF16_S3_KPDF16_EEvlllT_PT11_llS8_llS6_PT12_llPT13_lli
; %bb.0:
	s_load_b32 s31, s[0:1], 0x88
	s_bfe_u32 s2, ttmp6, 0x40014
	s_lshr_b32 s3, ttmp7, 16
	s_add_co_i32 s2, s2, 1
	s_bfe_u32 s4, ttmp6, 0x40008
	s_mul_i32 s2, s3, s2
	s_getreg_b32 s28, hwreg(HW_REG_IB_STS2, 6, 4)
	s_add_co_i32 s4, s4, s2
	s_cmp_eq_u32 s28, 0
	s_cselect_b32 s2, s3, s4
	s_mov_b32 s3, 0
	s_wait_kmcnt 0x0
	s_cmp_ge_i32 s2, s31
	s_cbranch_scc1 .LBB70_11
; %bb.1:
	v_bfe_u32 v2, v0, 10, 10
	v_and_b32_e32 v6, 0x3ff, v0
	s_bfe_u32 s30, ttmp6, 0x4000c
	s_bfe_u32 s34, ttmp6, 0x40010
	s_clause 0x2
	s_load_b256 s[4:11], s[0:1], 0x20
	s_load_b128 s[24:27], s[0:1], 0x40
	s_load_b128 s[20:23], s[0:1], 0x78
	v_dual_mov_b32 v3, 0 :: v_dual_lshlrev_b32 v14, 4, v2
	s_and_b32 s33, ttmp7, 0xffff
	s_add_co_i32 s30, s30, 1
	s_add_co_i32 s34, s34, 1
	s_and_b32 s29, ttmp6, 15
	s_mul_i32 s30, ttmp9, s30
	s_mul_i32 s34, s33, s34
	s_bfe_u32 s35, ttmp6, 0x40004
	v_dual_add_nc_u32 v7, v14, v6 :: v_dual_bitop2_b32 v16, 7, v0 bitop3:0x40
	s_add_co_i32 s29, s29, s30
	s_add_co_i32 s35, s35, s34
	s_cmp_eq_u32 s28, 0
	s_delay_alu instid0(VALU_DEP_1)
	v_dual_lshrrev_b32 v8, 3, v7 :: v_dual_bitop2_b32 v15, 31, v7 bitop3:0x40
	s_cselect_b32 s28, ttmp9, s29
	s_cselect_b32 s30, s33, s35
	s_ashr_i32 s29, s28, 31
	s_load_b256 s[12:19], s[0:1], 0x58
	s_lshl_b64 s[34:35], s[28:29], 5
	s_delay_alu instid0(SALU_CYCLE_1)
	v_dual_mov_b32 v9, v3 :: v_dual_bitop2_b32 v0, s34, v15 bitop3:0x54
	v_mov_b32_e32 v1, s35
	s_load_b32 s33, s[0:1], 0x50
	v_add_nc_u32_e32 v23, 0x200, v14
	s_wait_kmcnt 0x0
	v_mad_nc_u64_u32 v[10:11], s24, v16, v[8:9]
	v_lshlrev_b32_e32 v9, 1, v15
	v_mul_u64_e32 v[12:13], s[6:7], v[0:1]
	s_lshl_b32 s6, s30, 5
	s_mov_b32 s7, s3
	s_load_b96 s[28:30], s[0:1], 0x10
	v_add_nc_u64_e32 v[4:5], s[6:7], v[2:3]
	v_dual_lshrrev_b32 v2, 5, v7 :: v_dual_lshlrev_b32 v7, 1, v16
	v_lshlrev_b32_e32 v22, 1, v6
	v_mad_u32 v11, s25, v16, v11
	s_delay_alu instid0(VALU_DEP_3)
	v_lshl_or_b32 v20, v2, 6, v9
	v_mul_u64_e32 v[0:1], s[20:21], v[4:5]
	v_mul_u64_e32 v[4:5], s[14:15], v[4:5]
	v_lshl_or_b32 v15, v8, 4, v7
	v_dual_mov_b32 v7, v3 :: v_dual_lshlrev_b32 v2, 1, v2
	s_cmp_eq_f16 s33, 0
	s_delay_alu instid0(VALU_DEP_2)
	v_add_nc_u32_e32 v21, 0x200, v15
	v_add_nc_u64_e32 v[8:9], s[6:7], v[10:11]
	s_cselect_b32 s36, -1, 0
	s_wait_xcnt 0x0
	s_lshl_b64 s[0:1], s[8:9], 1
	v_add_nc_u64_e32 v[10:11], s[34:35], v[6:7]
	s_lshl_b64 s[6:7], s[20:21], 4
	s_lshl_b64 s[8:9], s[14:15], 4
	;; [unrolled: 1-line block ×3, first 2 shown]
	v_lshlrev_b64_e32 v[6:7], 1, v[8:9]
	s_lshl_b64 s[20:21], s[22:23], 1
	s_lshl_b64 s[16:17], s[16:17], 1
	v_lshlrev_b64_e32 v[10:11], 1, v[10:11]
	v_lshl_add_u64 v[8:9], v[12:13], 1, s[0:1]
	s_wait_kmcnt 0x0
	v_cmp_gt_i64_e64 s0, s[28:29], 0
	v_cndmask_b32_e64 v13, 0, 1, s36
	v_lshl_add_u64 v[6:7], s[26:27], 1, v[6:7]
	v_add_nc_u64_e32 v[8:9], v[8:9], v[2:3]
	s_delay_alu instid0(VALU_DEP_3) | instskip(SKIP_1) | instid1(VALU_DEP_1)
	v_cmp_ne_u32_e64 s1, 1, v13
	v_cndmask_b32_e64 v12, 0, 1, s0
	v_cmp_ne_u32_e64 s0, 1, v12
	s_branch .LBB70_3
.LBB70_2:                               ;   in Loop: Header=BB70_3 Depth=1
	s_add_co_i32 s2, s2, 0x10000
	s_delay_alu instid0(SALU_CYCLE_1)
	s_cmp_lt_i32 s2, s31
	s_cbranch_scc0 .LBB70_11
.LBB70_3:                               ; =>This Loop Header: Depth=1
                                        ;     Child Loop BB70_5 Depth 2
	v_mov_b32_e32 v2, s2
	s_delay_alu instid0(VALU_DEP_2)
	s_and_b32 vcc_lo, exec_lo, s0
	s_clause 0x1
	global_load_b64 v[12:13], v2, s[12:13] scale_offset
	global_load_b64 v[14:15], v2, s[18:19] scale_offset
	s_cbranch_vccnz .LBB70_6
; %bb.4:                                ;   in Loop: Header=BB70_3 Depth=1
	s_lshl_b64 s[22:23], s[2:3], 3
	s_wait_xcnt 0x0
	v_dual_mov_b32 v2, 0 :: v_dual_mov_b32 v24, 0
	s_add_nc_u64 s[24:25], s[10:11], s[22:23]
	s_add_nc_u64 s[22:23], s[4:5], s[22:23]
	s_clause 0x1
	global_load_b64 v[16:17], v3, s[24:25]
	global_load_b64 v[18:19], v3, s[22:23]
	s_wait_xcnt 0x0
	s_mov_b64 s[22:23], 0
	s_wait_loadcnt 0x1
	v_add_nc_u64_e32 v[16:17], v[16:17], v[6:7]
	s_wait_loadcnt 0x0
	v_add_nc_u64_e32 v[18:19], v[18:19], v[8:9]
.LBB70_5:                               ;   Parent Loop BB70_3 Depth=1
                                        ; =>  This Inner Loop Header: Depth=2
	flat_load_u16 v25, v[18:19]
	s_add_nc_u64 s[22:23], s[22:23], 8
	s_wait_xcnt 0x0
	v_add_nc_u64_e32 v[18:19], 16, v[18:19]
	v_cmp_lt_i64_e64 s24, s[22:23], s[28:29]
	s_and_b32 vcc_lo, exec_lo, s24
	s_wait_loadcnt_dscnt 0x0
	ds_store_b16 v20, v25
	flat_load_u16 v25, v[16:17]
	s_wait_xcnt 0x0
	v_add_nc_u64_e32 v[16:17], s[14:15], v[16:17]
	s_wait_loadcnt_dscnt 0x0
	ds_store_b16 v21, v25
	s_wait_dscnt 0x0
	s_barrier_signal -1
	s_barrier_wait -1
	ds_load_u16 v25, v22
	ds_load_u16 v34, v22 offset:32
	ds_load_u16 v35, v22 offset:64
	;; [unrolled: 1-line block ×3, first 2 shown]
	ds_load_b128 v[26:29], v23
	ds_load_b128 v[30:33], v23 offset:256
	ds_load_u16 v37, v22 offset:128
	ds_load_u16 v38, v22 offset:160
	;; [unrolled: 1-line block ×12, first 2 shown]
	s_wait_dscnt 0x0
	s_barrier_signal -1
	s_barrier_wait -1
	v_perm_b32 v25, v25, v34, 0x5040100
	v_perm_b32 v34, v35, v36, 0x5040100
	s_delay_alu instid0(VALU_DEP_2) | instskip(SKIP_2) | instid1(VALU_DEP_3)
	v_pk_fma_f16 v24, v25, v26, v24 op_sel_hi:[1,0,1]
	v_pk_fma_f16 v2, v25, v30, v2 op_sel_hi:[1,0,1]
	v_perm_b32 v25, v37, v38, 0x5040100
	v_pk_fma_f16 v24, v34, v26, v24 op_sel:[0,1,0]
	s_delay_alu instid0(VALU_DEP_3) | instskip(SKIP_1) | instid1(VALU_DEP_3)
	v_pk_fma_f16 v2, v34, v30, v2 op_sel:[0,1,0]
	v_perm_b32 v26, v39, v40, 0x5040100
	v_pk_fma_f16 v24, v25, v27, v24 op_sel_hi:[1,0,1]
	s_delay_alu instid0(VALU_DEP_3) | instskip(SKIP_1) | instid1(VALU_DEP_3)
	v_pk_fma_f16 v2, v25, v31, v2 op_sel_hi:[1,0,1]
	v_perm_b32 v25, v41, v42, 0x5040100
	v_pk_fma_f16 v24, v26, v27, v24 op_sel:[0,1,0]
	s_delay_alu instid0(VALU_DEP_3) | instskip(SKIP_1) | instid1(VALU_DEP_3)
	v_pk_fma_f16 v2, v26, v31, v2 op_sel:[0,1,0]
	v_perm_b32 v26, v43, v44, 0x5040100
	v_pk_fma_f16 v24, v25, v28, v24 op_sel_hi:[1,0,1]
	s_delay_alu instid0(VALU_DEP_3) | instskip(SKIP_1) | instid1(VALU_DEP_3)
	v_pk_fma_f16 v2, v25, v32, v2 op_sel_hi:[1,0,1]
	v_perm_b32 v25, v45, v46, 0x5040100
	v_pk_fma_f16 v24, v26, v28, v24 op_sel:[0,1,0]
	s_delay_alu instid0(VALU_DEP_3) | instskip(SKIP_1) | instid1(VALU_DEP_3)
	v_pk_fma_f16 v2, v26, v32, v2 op_sel:[0,1,0]
	v_perm_b32 v26, v47, v48, 0x5040100
	v_pk_fma_f16 v24, v25, v29, v24 op_sel_hi:[1,0,1]
	s_delay_alu instid0(VALU_DEP_3) | instskip(NEXT) | instid1(VALU_DEP_2)
	v_pk_fma_f16 v2, v25, v33, v2 op_sel_hi:[1,0,1]
	v_pk_fma_f16 v24, v26, v29, v24 op_sel:[0,1,0]
	s_delay_alu instid0(VALU_DEP_2)
	v_pk_fma_f16 v2, v26, v33, v2 op_sel:[0,1,0]
	s_cbranch_vccnz .LBB70_5
	s_branch .LBB70_7
.LBB70_6:                               ;   in Loop: Header=BB70_3 Depth=1
	s_wait_xcnt 0x0
	v_dual_mov_b32 v24, 0 :: v_dual_mov_b32 v2, 0
.LBB70_7:                               ;   in Loop: Header=BB70_3 Depth=1
	s_wait_loadcnt 0x0
	v_add_nc_u64_e32 v[14:15], s[20:21], v[14:15]
	s_delay_alu instid0(VALU_DEP_2) | instskip(SKIP_1) | instid1(VALU_DEP_2)
	v_dual_lshrrev_b32 v19, 16, v24 :: v_dual_lshrrev_b32 v18, 16, v2
	s_and_b32 vcc_lo, exec_lo, s1
	v_lshl_add_u64 v[14:15], v[0:1], 1, v[14:15]
	s_delay_alu instid0(VALU_DEP_1)
	v_add_nc_u64_e32 v[16:17], v[14:15], v[10:11]
	v_lshl_add_u64 v[14:15], s[6:7], 1, v[14:15]
	s_cbranch_vccnz .LBB70_9
; %bb.8:                                ;   in Loop: Header=BB70_3 Depth=1
	s_delay_alu instid0(VALU_DEP_1)
	v_add_nc_u64_e32 v[26:27], v[14:15], v[10:11]
	v_mul_f16_e32 v25, s30, v19
	v_mul_f16_e32 v29, s30, v18
	;; [unrolled: 1-line block ×4, first 2 shown]
	s_clause 0x3
	flat_store_b16 v[16:17], v25
	flat_store_b16 v[16:17], v28 offset:32
	flat_store_b16 v[26:27], v29
	flat_store_b16 v[26:27], v30 offset:32
	s_cbranch_execnz .LBB70_2
	s_branch .LBB70_10
.LBB70_9:                               ;   in Loop: Header=BB70_3 Depth=1
.LBB70_10:                              ;   in Loop: Header=BB70_3 Depth=1
	v_add_nc_u64_e32 v[12:13], s[16:17], v[12:13]
	s_delay_alu instid0(VALU_DEP_2) | instskip(NEXT) | instid1(VALU_DEP_2)
	v_add_nc_u64_e32 v[14:15], v[14:15], v[10:11]
	v_lshl_add_u64 v[12:13], v[4:5], 1, v[12:13]
	s_wait_xcnt 0x0
	s_delay_alu instid0(VALU_DEP_1) | instskip(SKIP_1) | instid1(VALU_DEP_1)
	v_add_nc_u64_e32 v[26:27], v[12:13], v[10:11]
	v_lshl_add_u64 v[12:13], s[8:9], 1, v[12:13]
	v_add_nc_u64_e32 v[12:13], v[12:13], v[10:11]
	flat_load_u16 v25, v[26:27]
	s_wait_loadcnt_dscnt 0x0
	v_mul_f16_e32 v25, s33, v25
	s_delay_alu instid0(VALU_DEP_1) | instskip(SKIP_4) | instid1(VALU_DEP_1)
	v_fmac_f16_e32 v25, s30, v19
	flat_store_b16 v[16:17], v25
	flat_load_u16 v19, v[26:27] offset:32
	s_wait_loadcnt_dscnt 0x0
	v_mul_f16_e32 v19, s33, v19
	v_fmac_f16_e32 v19, s30, v24
	flat_store_b16 v[16:17], v19 offset:32
	flat_load_u16 v16, v[12:13]
	s_wait_loadcnt_dscnt 0x0
	v_mul_f16_e32 v16, s33, v16
	s_delay_alu instid0(VALU_DEP_1)
	v_fmac_f16_e32 v16, s30, v18
	flat_store_b16 v[14:15], v16
	flat_load_u16 v12, v[12:13] offset:32
	s_wait_loadcnt_dscnt 0x0
	s_wait_xcnt 0x0
	v_mul_f16_e32 v12, s33, v12
	s_delay_alu instid0(VALU_DEP_1)
	v_fmac_f16_e32 v12, s30, v2
	flat_store_b16 v[14:15], v12 offset:32
	s_branch .LBB70_2
.LBB70_11:
	s_endpgm
	.section	.rodata,"a",@progbits
	.p2align	6, 0x0
	.amdhsa_kernel _ZN12_GLOBAL__N_127rocblas_gemm_batched_kernelIDF16_Li16ELi16ELi32ELi32ELi8ELi32ELi8ELi8ELi32ELc67ELc67EKPKDF16_S3_KPDF16_EEvlllT_PT11_llS8_llS6_PT12_llPT13_lli
		.amdhsa_group_segment_fixed_size 1024
		.amdhsa_private_segment_fixed_size 0
		.amdhsa_kernarg_size 140
		.amdhsa_user_sgpr_count 2
		.amdhsa_user_sgpr_dispatch_ptr 0
		.amdhsa_user_sgpr_queue_ptr 0
		.amdhsa_user_sgpr_kernarg_segment_ptr 1
		.amdhsa_user_sgpr_dispatch_id 0
		.amdhsa_user_sgpr_kernarg_preload_length 0
		.amdhsa_user_sgpr_kernarg_preload_offset 0
		.amdhsa_user_sgpr_private_segment_size 0
		.amdhsa_wavefront_size32 1
		.amdhsa_uses_dynamic_stack 0
		.amdhsa_enable_private_segment 0
		.amdhsa_system_sgpr_workgroup_id_x 1
		.amdhsa_system_sgpr_workgroup_id_y 1
		.amdhsa_system_sgpr_workgroup_id_z 1
		.amdhsa_system_sgpr_workgroup_info 0
		.amdhsa_system_vgpr_workitem_id 1
		.amdhsa_next_free_vgpr 49
		.amdhsa_next_free_sgpr 37
		.amdhsa_named_barrier_count 0
		.amdhsa_reserve_vcc 1
		.amdhsa_float_round_mode_32 0
		.amdhsa_float_round_mode_16_64 0
		.amdhsa_float_denorm_mode_32 3
		.amdhsa_float_denorm_mode_16_64 3
		.amdhsa_fp16_overflow 0
		.amdhsa_memory_ordered 1
		.amdhsa_forward_progress 1
		.amdhsa_inst_pref_size 12
		.amdhsa_round_robin_scheduling 0
		.amdhsa_exception_fp_ieee_invalid_op 0
		.amdhsa_exception_fp_denorm_src 0
		.amdhsa_exception_fp_ieee_div_zero 0
		.amdhsa_exception_fp_ieee_overflow 0
		.amdhsa_exception_fp_ieee_underflow 0
		.amdhsa_exception_fp_ieee_inexact 0
		.amdhsa_exception_int_div_zero 0
	.end_amdhsa_kernel
	.section	.text._ZN12_GLOBAL__N_127rocblas_gemm_batched_kernelIDF16_Li16ELi16ELi32ELi32ELi8ELi32ELi8ELi8ELi32ELc67ELc67EKPKDF16_S3_KPDF16_EEvlllT_PT11_llS8_llS6_PT12_llPT13_lli,"axG",@progbits,_ZN12_GLOBAL__N_127rocblas_gemm_batched_kernelIDF16_Li16ELi16ELi32ELi32ELi8ELi32ELi8ELi8ELi32ELc67ELc67EKPKDF16_S3_KPDF16_EEvlllT_PT11_llS8_llS6_PT12_llPT13_lli,comdat
.Lfunc_end70:
	.size	_ZN12_GLOBAL__N_127rocblas_gemm_batched_kernelIDF16_Li16ELi16ELi32ELi32ELi8ELi32ELi8ELi8ELi32ELc67ELc67EKPKDF16_S3_KPDF16_EEvlllT_PT11_llS8_llS6_PT12_llPT13_lli, .Lfunc_end70-_ZN12_GLOBAL__N_127rocblas_gemm_batched_kernelIDF16_Li16ELi16ELi32ELi32ELi8ELi32ELi8ELi8ELi32ELc67ELc67EKPKDF16_S3_KPDF16_EEvlllT_PT11_llS8_llS6_PT12_llPT13_lli
                                        ; -- End function
	.set _ZN12_GLOBAL__N_127rocblas_gemm_batched_kernelIDF16_Li16ELi16ELi32ELi32ELi8ELi32ELi8ELi8ELi32ELc67ELc67EKPKDF16_S3_KPDF16_EEvlllT_PT11_llS8_llS6_PT12_llPT13_lli.num_vgpr, 49
	.set _ZN12_GLOBAL__N_127rocblas_gemm_batched_kernelIDF16_Li16ELi16ELi32ELi32ELi8ELi32ELi8ELi8ELi32ELc67ELc67EKPKDF16_S3_KPDF16_EEvlllT_PT11_llS8_llS6_PT12_llPT13_lli.num_agpr, 0
	.set _ZN12_GLOBAL__N_127rocblas_gemm_batched_kernelIDF16_Li16ELi16ELi32ELi32ELi8ELi32ELi8ELi8ELi32ELc67ELc67EKPKDF16_S3_KPDF16_EEvlllT_PT11_llS8_llS6_PT12_llPT13_lli.numbered_sgpr, 37
	.set _ZN12_GLOBAL__N_127rocblas_gemm_batched_kernelIDF16_Li16ELi16ELi32ELi32ELi8ELi32ELi8ELi8ELi32ELc67ELc67EKPKDF16_S3_KPDF16_EEvlllT_PT11_llS8_llS6_PT12_llPT13_lli.num_named_barrier, 0
	.set _ZN12_GLOBAL__N_127rocblas_gemm_batched_kernelIDF16_Li16ELi16ELi32ELi32ELi8ELi32ELi8ELi8ELi32ELc67ELc67EKPKDF16_S3_KPDF16_EEvlllT_PT11_llS8_llS6_PT12_llPT13_lli.private_seg_size, 0
	.set _ZN12_GLOBAL__N_127rocblas_gemm_batched_kernelIDF16_Li16ELi16ELi32ELi32ELi8ELi32ELi8ELi8ELi32ELc67ELc67EKPKDF16_S3_KPDF16_EEvlllT_PT11_llS8_llS6_PT12_llPT13_lli.uses_vcc, 1
	.set _ZN12_GLOBAL__N_127rocblas_gemm_batched_kernelIDF16_Li16ELi16ELi32ELi32ELi8ELi32ELi8ELi8ELi32ELc67ELc67EKPKDF16_S3_KPDF16_EEvlllT_PT11_llS8_llS6_PT12_llPT13_lli.uses_flat_scratch, 1
	.set _ZN12_GLOBAL__N_127rocblas_gemm_batched_kernelIDF16_Li16ELi16ELi32ELi32ELi8ELi32ELi8ELi8ELi32ELc67ELc67EKPKDF16_S3_KPDF16_EEvlllT_PT11_llS8_llS6_PT12_llPT13_lli.has_dyn_sized_stack, 0
	.set _ZN12_GLOBAL__N_127rocblas_gemm_batched_kernelIDF16_Li16ELi16ELi32ELi32ELi8ELi32ELi8ELi8ELi32ELc67ELc67EKPKDF16_S3_KPDF16_EEvlllT_PT11_llS8_llS6_PT12_llPT13_lli.has_recursion, 0
	.set _ZN12_GLOBAL__N_127rocblas_gemm_batched_kernelIDF16_Li16ELi16ELi32ELi32ELi8ELi32ELi8ELi8ELi32ELc67ELc67EKPKDF16_S3_KPDF16_EEvlllT_PT11_llS8_llS6_PT12_llPT13_lli.has_indirect_call, 0
	.section	.AMDGPU.csdata,"",@progbits
; Kernel info:
; codeLenInByte = 1532
; TotalNumSgprs: 39
; NumVgprs: 49
; ScratchSize: 0
; MemoryBound: 0
; FloatMode: 240
; IeeeMode: 1
; LDSByteSize: 1024 bytes/workgroup (compile time only)
; SGPRBlocks: 0
; VGPRBlocks: 3
; NumSGPRsForWavesPerEU: 39
; NumVGPRsForWavesPerEU: 49
; NamedBarCnt: 0
; Occupancy: 16
; WaveLimiterHint : 1
; COMPUTE_PGM_RSRC2:SCRATCH_EN: 0
; COMPUTE_PGM_RSRC2:USER_SGPR: 2
; COMPUTE_PGM_RSRC2:TRAP_HANDLER: 0
; COMPUTE_PGM_RSRC2:TGID_X_EN: 1
; COMPUTE_PGM_RSRC2:TGID_Y_EN: 1
; COMPUTE_PGM_RSRC2:TGID_Z_EN: 1
; COMPUTE_PGM_RSRC2:TIDIG_COMP_CNT: 1
	.section	.text._ZN12_GLOBAL__N_127rocblas_gemm_batched_kernelIDF16_Li16ELi16ELi32ELi32ELi8ELi32ELi8ELi8ELi32ELc67ELc78EKPKDF16_S3_KPDF16_EEvlllT_PT11_llS8_llS6_PT12_llPT13_lli,"axG",@progbits,_ZN12_GLOBAL__N_127rocblas_gemm_batched_kernelIDF16_Li16ELi16ELi32ELi32ELi8ELi32ELi8ELi8ELi32ELc67ELc78EKPKDF16_S3_KPDF16_EEvlllT_PT11_llS8_llS6_PT12_llPT13_lli,comdat
	.globl	_ZN12_GLOBAL__N_127rocblas_gemm_batched_kernelIDF16_Li16ELi16ELi32ELi32ELi8ELi32ELi8ELi8ELi32ELc67ELc78EKPKDF16_S3_KPDF16_EEvlllT_PT11_llS8_llS6_PT12_llPT13_lli ; -- Begin function _ZN12_GLOBAL__N_127rocblas_gemm_batched_kernelIDF16_Li16ELi16ELi32ELi32ELi8ELi32ELi8ELi8ELi32ELc67ELc78EKPKDF16_S3_KPDF16_EEvlllT_PT11_llS8_llS6_PT12_llPT13_lli
	.p2align	8
	.type	_ZN12_GLOBAL__N_127rocblas_gemm_batched_kernelIDF16_Li16ELi16ELi32ELi32ELi8ELi32ELi8ELi8ELi32ELc67ELc78EKPKDF16_S3_KPDF16_EEvlllT_PT11_llS8_llS6_PT12_llPT13_lli,@function
_ZN12_GLOBAL__N_127rocblas_gemm_batched_kernelIDF16_Li16ELi16ELi32ELi32ELi8ELi32ELi8ELi8ELi32ELc67ELc78EKPKDF16_S3_KPDF16_EEvlllT_PT11_llS8_llS6_PT12_llPT13_lli: ; @_ZN12_GLOBAL__N_127rocblas_gemm_batched_kernelIDF16_Li16ELi16ELi32ELi32ELi8ELi32ELi8ELi8ELi32ELc67ELc78EKPKDF16_S3_KPDF16_EEvlllT_PT11_llS8_llS6_PT12_llPT13_lli
; %bb.0:
	s_load_b32 s31, s[0:1], 0x88
	s_bfe_u32 s2, ttmp6, 0x40014
	s_lshr_b32 s3, ttmp7, 16
	s_add_co_i32 s2, s2, 1
	s_bfe_u32 s4, ttmp6, 0x40008
	s_mul_i32 s2, s3, s2
	s_getreg_b32 s28, hwreg(HW_REG_IB_STS2, 6, 4)
	s_add_co_i32 s4, s4, s2
	s_cmp_eq_u32 s28, 0
	s_cselect_b32 s2, s3, s4
	s_mov_b32 s3, 0
	s_wait_kmcnt 0x0
	s_cmp_ge_i32 s2, s31
	s_cbranch_scc1 .LBB71_11
; %bb.1:
	v_bfe_u32 v2, v0, 10, 10
	v_and_b32_e32 v6, 0x3ff, v0
	s_clause 0x1
	s_load_b256 s[4:11], s[0:1], 0x20
	s_load_b128 s[24:27], s[0:1], 0x40
	s_bfe_u32 s30, ttmp6, 0x4000c
	s_bfe_u32 s34, ttmp6, 0x40010
	v_dual_mov_b32 v3, 0 :: v_dual_lshlrev_b32 v16, 4, v2
	s_and_b32 s33, ttmp7, 0xffff
	s_add_co_i32 s30, s30, 1
	s_add_co_i32 s34, s34, 1
	s_delay_alu instid0(VALU_DEP_1)
	v_dual_add_nc_u32 v17, v16, v6 :: v_dual_mov_b32 v9, v3
	s_and_b32 s29, ttmp6, 15
	s_mul_i32 s30, ttmp9, s30
	s_mul_i32 s34, s33, s34
	s_bfe_u32 s35, ttmp6, 0x40004
	s_add_co_i32 s29, s29, s30
	s_add_co_i32 s35, s35, s34
	s_cmp_eq_u32 s28, 0
	v_dual_lshrrev_b32 v8, 3, v17 :: v_dual_bitop2_b32 v18, 31, v17 bitop3:0x40
	s_cselect_b32 s28, ttmp9, s29
	s_cselect_b32 s30, s33, s35
	s_ashr_i32 s29, s28, 31
	s_lshl_b32 s34, s30, 5
	s_mov_b32 s35, s3
	s_clause 0x1
	s_load_b128 s[20:23], s[0:1], 0x78
	s_load_b256 s[12:19], s[0:1], 0x58
	s_lshl_b64 s[36:37], s[28:29], 5
	v_add_nc_u64_e32 v[4:5], s[34:35], v[8:9]
	v_dual_mov_b32 v11, s37 :: v_dual_bitop2_b32 v10, s36, v18 bitop3:0x54
	s_clause 0x1
	s_load_b32 s33, s[0:1], 0x50
	s_load_b96 s[28:30], s[0:1], 0x10
	v_dual_mov_b32 v7, v3 :: v_dual_lshlrev_b32 v20, 1, v6
	v_lshrrev_b32_e32 v19, 5, v17
	s_wait_kmcnt 0x0
	v_mul_u64_e32 v[10:11], s[6:7], v[10:11]
	v_mul_u64_e32 v[12:13], s[24:25], v[4:5]
	v_add_nc_u64_e32 v[4:5], s[34:35], v[2:3]
	v_lshlrev_b32_e32 v2, 1, v0
	v_add_nc_u32_e32 v21, 0x200, v16
	v_add_nc_u64_e32 v[16:17], s[36:37], v[6:7]
	v_dual_mov_b32 v15, v3 :: v_dual_lshlrev_b32 v18, 1, v18
	s_delay_alu instid0(VALU_DEP_4)
	v_and_b32_e32 v14, 14, v2
	v_mul_u64_e32 v[0:1], s[20:21], v[4:5]
	v_mul_u64_e32 v[4:5], s[14:15], v[4:5]
	v_lshlrev_b32_e32 v2, 1, v19
	v_lshl_or_b32 v22, v19, 6, v18
	v_lshl_or_b32 v23, v8, 4, v14
	s_cmp_eq_f16 s33, 0
	v_cmp_gt_i64_e64 s0, s[28:29], 0
	s_delay_alu instid0(VALU_DEP_2)
	v_add_nc_u32_e32 v23, 0x200, v23
	s_cselect_b32 s24, -1, 0
	s_lshl_b64 s[6:7], s[20:21], 4
	s_lshl_b64 s[16:17], s[16:17], 1
	v_cndmask_b32_e64 v24, 0, 1, s0
	s_lshl_b64 s[0:1], s[8:9], 1
	s_lshl_b64 s[8:9], s[26:27], 1
	v_lshl_add_u64 v[6:7], v[10:11], 1, s[0:1]
	v_lshl_add_u64 v[8:9], v[12:13], 1, s[8:9]
	v_cndmask_b32_e64 v12, 0, 1, s24
	v_lshlrev_b64_e32 v[10:11], 1, v[16:17]
	v_cmp_ne_u32_e64 s0, 1, v24
	v_add_nc_u64_e32 v[6:7], v[6:7], v[2:3]
	v_add_nc_u64_e32 v[8:9], v[8:9], v[14:15]
	v_cmp_ne_u32_e64 s1, 1, v12
	s_lshl_b64 s[8:9], s[14:15], 4
	s_lshl_b64 s[14:15], s[22:23], 1
	s_branch .LBB71_3
.LBB71_2:                               ;   in Loop: Header=BB71_3 Depth=1
	s_add_co_i32 s2, s2, 0x10000
	s_delay_alu instid0(SALU_CYCLE_1)
	s_cmp_lt_i32 s2, s31
	s_cbranch_scc0 .LBB71_11
.LBB71_3:                               ; =>This Loop Header: Depth=1
                                        ;     Child Loop BB71_5 Depth 2
	v_mov_b32_e32 v2, s2
	s_and_b32 vcc_lo, exec_lo, s0
	s_clause 0x1
	global_load_b64 v[12:13], v2, s[12:13] scale_offset
	global_load_b64 v[14:15], v2, s[18:19] scale_offset
	s_cbranch_vccnz .LBB71_6
; %bb.4:                                ;   in Loop: Header=BB71_3 Depth=1
	s_lshl_b64 s[20:21], s[2:3], 3
	s_wait_xcnt 0x0
	v_dual_mov_b32 v2, 0 :: v_dual_mov_b32 v24, 0
	s_add_nc_u64 s[22:23], s[10:11], s[20:21]
	s_add_nc_u64 s[20:21], s[4:5], s[20:21]
	s_clause 0x1
	global_load_b64 v[16:17], v3, s[22:23]
	global_load_b64 v[18:19], v3, s[20:21]
	s_wait_xcnt 0x0
	s_mov_b64 s[20:21], 0
	s_wait_loadcnt 0x1
	v_add_nc_u64_e32 v[16:17], v[16:17], v[8:9]
	s_wait_loadcnt 0x0
	v_add_nc_u64_e32 v[18:19], v[18:19], v[6:7]
.LBB71_5:                               ;   Parent Loop BB71_3 Depth=1
                                        ; =>  This Inner Loop Header: Depth=2
	flat_load_u16 v25, v[18:19]
	s_add_nc_u64 s[20:21], s[20:21], 8
	s_wait_xcnt 0x0
	v_add_nc_u64_e32 v[18:19], 16, v[18:19]
	v_cmp_lt_i64_e64 s22, s[20:21], s[28:29]
	s_and_b32 vcc_lo, exec_lo, s22
	s_wait_loadcnt_dscnt 0x0
	ds_store_b16 v22, v25
	flat_load_u16 v25, v[16:17]
	s_wait_xcnt 0x0
	v_add_nc_u64_e32 v[16:17], 16, v[16:17]
	s_wait_loadcnt_dscnt 0x0
	ds_store_b16 v23, v25
	s_wait_dscnt 0x0
	s_barrier_signal -1
	s_barrier_wait -1
	ds_load_u16 v25, v20
	ds_load_u16 v34, v20 offset:32
	ds_load_u16 v35, v20 offset:64
	ds_load_u16 v36, v20 offset:96
	ds_load_b128 v[26:29], v21
	ds_load_b128 v[30:33], v21 offset:256
	ds_load_u16 v37, v20 offset:128
	ds_load_u16 v38, v20 offset:160
	;; [unrolled: 1-line block ×12, first 2 shown]
	s_wait_dscnt 0x0
	s_barrier_signal -1
	s_barrier_wait -1
	v_perm_b32 v25, v25, v34, 0x5040100
	v_perm_b32 v34, v35, v36, 0x5040100
	s_delay_alu instid0(VALU_DEP_2) | instskip(SKIP_2) | instid1(VALU_DEP_3)
	v_pk_fma_f16 v24, v25, v26, v24 op_sel_hi:[1,0,1]
	v_pk_fma_f16 v2, v25, v30, v2 op_sel_hi:[1,0,1]
	v_perm_b32 v25, v37, v38, 0x5040100
	v_pk_fma_f16 v24, v34, v26, v24 op_sel:[0,1,0]
	s_delay_alu instid0(VALU_DEP_3) | instskip(SKIP_1) | instid1(VALU_DEP_3)
	v_pk_fma_f16 v2, v34, v30, v2 op_sel:[0,1,0]
	v_perm_b32 v26, v39, v40, 0x5040100
	v_pk_fma_f16 v24, v25, v27, v24 op_sel_hi:[1,0,1]
	s_delay_alu instid0(VALU_DEP_3) | instskip(SKIP_1) | instid1(VALU_DEP_3)
	v_pk_fma_f16 v2, v25, v31, v2 op_sel_hi:[1,0,1]
	v_perm_b32 v25, v41, v42, 0x5040100
	v_pk_fma_f16 v24, v26, v27, v24 op_sel:[0,1,0]
	s_delay_alu instid0(VALU_DEP_3) | instskip(SKIP_1) | instid1(VALU_DEP_3)
	v_pk_fma_f16 v2, v26, v31, v2 op_sel:[0,1,0]
	v_perm_b32 v26, v43, v44, 0x5040100
	v_pk_fma_f16 v24, v25, v28, v24 op_sel_hi:[1,0,1]
	s_delay_alu instid0(VALU_DEP_3) | instskip(SKIP_1) | instid1(VALU_DEP_3)
	v_pk_fma_f16 v2, v25, v32, v2 op_sel_hi:[1,0,1]
	v_perm_b32 v25, v45, v46, 0x5040100
	v_pk_fma_f16 v24, v26, v28, v24 op_sel:[0,1,0]
	s_delay_alu instid0(VALU_DEP_3) | instskip(SKIP_1) | instid1(VALU_DEP_3)
	v_pk_fma_f16 v2, v26, v32, v2 op_sel:[0,1,0]
	v_perm_b32 v26, v47, v48, 0x5040100
	v_pk_fma_f16 v24, v25, v29, v24 op_sel_hi:[1,0,1]
	s_delay_alu instid0(VALU_DEP_3) | instskip(NEXT) | instid1(VALU_DEP_2)
	v_pk_fma_f16 v2, v25, v33, v2 op_sel_hi:[1,0,1]
	v_pk_fma_f16 v24, v26, v29, v24 op_sel:[0,1,0]
	s_delay_alu instid0(VALU_DEP_2)
	v_pk_fma_f16 v2, v26, v33, v2 op_sel:[0,1,0]
	s_cbranch_vccnz .LBB71_5
	s_branch .LBB71_7
.LBB71_6:                               ;   in Loop: Header=BB71_3 Depth=1
	s_wait_xcnt 0x0
	v_dual_mov_b32 v24, 0 :: v_dual_mov_b32 v2, 0
.LBB71_7:                               ;   in Loop: Header=BB71_3 Depth=1
	s_wait_loadcnt 0x0
	v_add_nc_u64_e32 v[14:15], s[14:15], v[14:15]
	s_delay_alu instid0(VALU_DEP_2) | instskip(SKIP_1) | instid1(VALU_DEP_2)
	v_dual_lshrrev_b32 v19, 16, v24 :: v_dual_lshrrev_b32 v18, 16, v2
	s_and_b32 vcc_lo, exec_lo, s1
	v_lshl_add_u64 v[14:15], v[0:1], 1, v[14:15]
	s_delay_alu instid0(VALU_DEP_1)
	v_add_nc_u64_e32 v[16:17], v[14:15], v[10:11]
	v_lshl_add_u64 v[14:15], s[6:7], 1, v[14:15]
	s_cbranch_vccnz .LBB71_9
; %bb.8:                                ;   in Loop: Header=BB71_3 Depth=1
	s_delay_alu instid0(VALU_DEP_1)
	v_add_nc_u64_e32 v[26:27], v[14:15], v[10:11]
	v_mul_f16_e32 v25, s30, v19
	v_mul_f16_e32 v29, s30, v18
	;; [unrolled: 1-line block ×4, first 2 shown]
	s_clause 0x3
	flat_store_b16 v[16:17], v25
	flat_store_b16 v[16:17], v28 offset:32
	flat_store_b16 v[26:27], v29
	flat_store_b16 v[26:27], v30 offset:32
	s_cbranch_execnz .LBB71_2
	s_branch .LBB71_10
.LBB71_9:                               ;   in Loop: Header=BB71_3 Depth=1
.LBB71_10:                              ;   in Loop: Header=BB71_3 Depth=1
	v_add_nc_u64_e32 v[12:13], s[16:17], v[12:13]
	s_delay_alu instid0(VALU_DEP_2) | instskip(NEXT) | instid1(VALU_DEP_2)
	v_add_nc_u64_e32 v[14:15], v[14:15], v[10:11]
	v_lshl_add_u64 v[12:13], v[4:5], 1, v[12:13]
	s_wait_xcnt 0x0
	s_delay_alu instid0(VALU_DEP_1) | instskip(SKIP_1) | instid1(VALU_DEP_1)
	v_add_nc_u64_e32 v[26:27], v[12:13], v[10:11]
	v_lshl_add_u64 v[12:13], s[8:9], 1, v[12:13]
	v_add_nc_u64_e32 v[12:13], v[12:13], v[10:11]
	flat_load_u16 v25, v[26:27]
	s_wait_loadcnt_dscnt 0x0
	v_mul_f16_e32 v25, s33, v25
	s_delay_alu instid0(VALU_DEP_1) | instskip(SKIP_4) | instid1(VALU_DEP_1)
	v_fmac_f16_e32 v25, s30, v19
	flat_store_b16 v[16:17], v25
	flat_load_u16 v19, v[26:27] offset:32
	s_wait_loadcnt_dscnt 0x0
	v_mul_f16_e32 v19, s33, v19
	v_fmac_f16_e32 v19, s30, v24
	flat_store_b16 v[16:17], v19 offset:32
	flat_load_u16 v16, v[12:13]
	s_wait_loadcnt_dscnt 0x0
	v_mul_f16_e32 v16, s33, v16
	s_delay_alu instid0(VALU_DEP_1)
	v_fmac_f16_e32 v16, s30, v18
	flat_store_b16 v[14:15], v16
	flat_load_u16 v12, v[12:13] offset:32
	s_wait_loadcnt_dscnt 0x0
	s_wait_xcnt 0x0
	v_mul_f16_e32 v12, s33, v12
	s_delay_alu instid0(VALU_DEP_1)
	v_fmac_f16_e32 v12, s30, v2
	flat_store_b16 v[14:15], v12 offset:32
	s_branch .LBB71_2
.LBB71_11:
	s_endpgm
	.section	.rodata,"a",@progbits
	.p2align	6, 0x0
	.amdhsa_kernel _ZN12_GLOBAL__N_127rocblas_gemm_batched_kernelIDF16_Li16ELi16ELi32ELi32ELi8ELi32ELi8ELi8ELi32ELc67ELc78EKPKDF16_S3_KPDF16_EEvlllT_PT11_llS8_llS6_PT12_llPT13_lli
		.amdhsa_group_segment_fixed_size 1024
		.amdhsa_private_segment_fixed_size 0
		.amdhsa_kernarg_size 140
		.amdhsa_user_sgpr_count 2
		.amdhsa_user_sgpr_dispatch_ptr 0
		.amdhsa_user_sgpr_queue_ptr 0
		.amdhsa_user_sgpr_kernarg_segment_ptr 1
		.amdhsa_user_sgpr_dispatch_id 0
		.amdhsa_user_sgpr_kernarg_preload_length 0
		.amdhsa_user_sgpr_kernarg_preload_offset 0
		.amdhsa_user_sgpr_private_segment_size 0
		.amdhsa_wavefront_size32 1
		.amdhsa_uses_dynamic_stack 0
		.amdhsa_enable_private_segment 0
		.amdhsa_system_sgpr_workgroup_id_x 1
		.amdhsa_system_sgpr_workgroup_id_y 1
		.amdhsa_system_sgpr_workgroup_id_z 1
		.amdhsa_system_sgpr_workgroup_info 0
		.amdhsa_system_vgpr_workitem_id 1
		.amdhsa_next_free_vgpr 49
		.amdhsa_next_free_sgpr 38
		.amdhsa_named_barrier_count 0
		.amdhsa_reserve_vcc 1
		.amdhsa_float_round_mode_32 0
		.amdhsa_float_round_mode_16_64 0
		.amdhsa_float_denorm_mode_32 3
		.amdhsa_float_denorm_mode_16_64 3
		.amdhsa_fp16_overflow 0
		.amdhsa_memory_ordered 1
		.amdhsa_forward_progress 1
		.amdhsa_inst_pref_size 12
		.amdhsa_round_robin_scheduling 0
		.amdhsa_exception_fp_ieee_invalid_op 0
		.amdhsa_exception_fp_denorm_src 0
		.amdhsa_exception_fp_ieee_div_zero 0
		.amdhsa_exception_fp_ieee_overflow 0
		.amdhsa_exception_fp_ieee_underflow 0
		.amdhsa_exception_fp_ieee_inexact 0
		.amdhsa_exception_int_div_zero 0
	.end_amdhsa_kernel
	.section	.text._ZN12_GLOBAL__N_127rocblas_gemm_batched_kernelIDF16_Li16ELi16ELi32ELi32ELi8ELi32ELi8ELi8ELi32ELc67ELc78EKPKDF16_S3_KPDF16_EEvlllT_PT11_llS8_llS6_PT12_llPT13_lli,"axG",@progbits,_ZN12_GLOBAL__N_127rocblas_gemm_batched_kernelIDF16_Li16ELi16ELi32ELi32ELi8ELi32ELi8ELi8ELi32ELc67ELc78EKPKDF16_S3_KPDF16_EEvlllT_PT11_llS8_llS6_PT12_llPT13_lli,comdat
.Lfunc_end71:
	.size	_ZN12_GLOBAL__N_127rocblas_gemm_batched_kernelIDF16_Li16ELi16ELi32ELi32ELi8ELi32ELi8ELi8ELi32ELc67ELc78EKPKDF16_S3_KPDF16_EEvlllT_PT11_llS8_llS6_PT12_llPT13_lli, .Lfunc_end71-_ZN12_GLOBAL__N_127rocblas_gemm_batched_kernelIDF16_Li16ELi16ELi32ELi32ELi8ELi32ELi8ELi8ELi32ELc67ELc78EKPKDF16_S3_KPDF16_EEvlllT_PT11_llS8_llS6_PT12_llPT13_lli
                                        ; -- End function
	.set _ZN12_GLOBAL__N_127rocblas_gemm_batched_kernelIDF16_Li16ELi16ELi32ELi32ELi8ELi32ELi8ELi8ELi32ELc67ELc78EKPKDF16_S3_KPDF16_EEvlllT_PT11_llS8_llS6_PT12_llPT13_lli.num_vgpr, 49
	.set _ZN12_GLOBAL__N_127rocblas_gemm_batched_kernelIDF16_Li16ELi16ELi32ELi32ELi8ELi32ELi8ELi8ELi32ELc67ELc78EKPKDF16_S3_KPDF16_EEvlllT_PT11_llS8_llS6_PT12_llPT13_lli.num_agpr, 0
	.set _ZN12_GLOBAL__N_127rocblas_gemm_batched_kernelIDF16_Li16ELi16ELi32ELi32ELi8ELi32ELi8ELi8ELi32ELc67ELc78EKPKDF16_S3_KPDF16_EEvlllT_PT11_llS8_llS6_PT12_llPT13_lli.numbered_sgpr, 38
	.set _ZN12_GLOBAL__N_127rocblas_gemm_batched_kernelIDF16_Li16ELi16ELi32ELi32ELi8ELi32ELi8ELi8ELi32ELc67ELc78EKPKDF16_S3_KPDF16_EEvlllT_PT11_llS8_llS6_PT12_llPT13_lli.num_named_barrier, 0
	.set _ZN12_GLOBAL__N_127rocblas_gemm_batched_kernelIDF16_Li16ELi16ELi32ELi32ELi8ELi32ELi8ELi8ELi32ELc67ELc78EKPKDF16_S3_KPDF16_EEvlllT_PT11_llS8_llS6_PT12_llPT13_lli.private_seg_size, 0
	.set _ZN12_GLOBAL__N_127rocblas_gemm_batched_kernelIDF16_Li16ELi16ELi32ELi32ELi8ELi32ELi8ELi8ELi32ELc67ELc78EKPKDF16_S3_KPDF16_EEvlllT_PT11_llS8_llS6_PT12_llPT13_lli.uses_vcc, 1
	.set _ZN12_GLOBAL__N_127rocblas_gemm_batched_kernelIDF16_Li16ELi16ELi32ELi32ELi8ELi32ELi8ELi8ELi32ELc67ELc78EKPKDF16_S3_KPDF16_EEvlllT_PT11_llS8_llS6_PT12_llPT13_lli.uses_flat_scratch, 1
	.set _ZN12_GLOBAL__N_127rocblas_gemm_batched_kernelIDF16_Li16ELi16ELi32ELi32ELi8ELi32ELi8ELi8ELi32ELc67ELc78EKPKDF16_S3_KPDF16_EEvlllT_PT11_llS8_llS6_PT12_llPT13_lli.has_dyn_sized_stack, 0
	.set _ZN12_GLOBAL__N_127rocblas_gemm_batched_kernelIDF16_Li16ELi16ELi32ELi32ELi8ELi32ELi8ELi8ELi32ELc67ELc78EKPKDF16_S3_KPDF16_EEvlllT_PT11_llS8_llS6_PT12_llPT13_lli.has_recursion, 0
	.set _ZN12_GLOBAL__N_127rocblas_gemm_batched_kernelIDF16_Li16ELi16ELi32ELi32ELi8ELi32ELi8ELi8ELi32ELc67ELc78EKPKDF16_S3_KPDF16_EEvlllT_PT11_llS8_llS6_PT12_llPT13_lli.has_indirect_call, 0
	.section	.AMDGPU.csdata,"",@progbits
; Kernel info:
; codeLenInByte = 1508
; TotalNumSgprs: 40
; NumVgprs: 49
; ScratchSize: 0
; MemoryBound: 0
; FloatMode: 240
; IeeeMode: 1
; LDSByteSize: 1024 bytes/workgroup (compile time only)
; SGPRBlocks: 0
; VGPRBlocks: 3
; NumSGPRsForWavesPerEU: 40
; NumVGPRsForWavesPerEU: 49
; NamedBarCnt: 0
; Occupancy: 16
; WaveLimiterHint : 1
; COMPUTE_PGM_RSRC2:SCRATCH_EN: 0
; COMPUTE_PGM_RSRC2:USER_SGPR: 2
; COMPUTE_PGM_RSRC2:TRAP_HANDLER: 0
; COMPUTE_PGM_RSRC2:TGID_X_EN: 1
; COMPUTE_PGM_RSRC2:TGID_Y_EN: 1
; COMPUTE_PGM_RSRC2:TGID_Z_EN: 1
; COMPUTE_PGM_RSRC2:TIDIG_COMP_CNT: 1
	.section	.text._ZN12_GLOBAL__N_127rocblas_gemm_batched_kernelIDF16_Li16ELi16ELi32ELi32ELi8ELi32ELi8ELi8ELi32ELc67ELc84EKPKDF16_S3_KPDF16_EEvlllT_PT11_llS8_llS6_PT12_llPT13_lli,"axG",@progbits,_ZN12_GLOBAL__N_127rocblas_gemm_batched_kernelIDF16_Li16ELi16ELi32ELi32ELi8ELi32ELi8ELi8ELi32ELc67ELc84EKPKDF16_S3_KPDF16_EEvlllT_PT11_llS8_llS6_PT12_llPT13_lli,comdat
	.globl	_ZN12_GLOBAL__N_127rocblas_gemm_batched_kernelIDF16_Li16ELi16ELi32ELi32ELi8ELi32ELi8ELi8ELi32ELc67ELc84EKPKDF16_S3_KPDF16_EEvlllT_PT11_llS8_llS6_PT12_llPT13_lli ; -- Begin function _ZN12_GLOBAL__N_127rocblas_gemm_batched_kernelIDF16_Li16ELi16ELi32ELi32ELi8ELi32ELi8ELi8ELi32ELc67ELc84EKPKDF16_S3_KPDF16_EEvlllT_PT11_llS8_llS6_PT12_llPT13_lli
	.p2align	8
	.type	_ZN12_GLOBAL__N_127rocblas_gemm_batched_kernelIDF16_Li16ELi16ELi32ELi32ELi8ELi32ELi8ELi8ELi32ELc67ELc84EKPKDF16_S3_KPDF16_EEvlllT_PT11_llS8_llS6_PT12_llPT13_lli,@function
_ZN12_GLOBAL__N_127rocblas_gemm_batched_kernelIDF16_Li16ELi16ELi32ELi32ELi8ELi32ELi8ELi8ELi32ELc67ELc84EKPKDF16_S3_KPDF16_EEvlllT_PT11_llS8_llS6_PT12_llPT13_lli: ; @_ZN12_GLOBAL__N_127rocblas_gemm_batched_kernelIDF16_Li16ELi16ELi32ELi32ELi8ELi32ELi8ELi8ELi32ELc67ELc84EKPKDF16_S3_KPDF16_EEvlllT_PT11_llS8_llS6_PT12_llPT13_lli
; %bb.0:
	s_load_b32 s31, s[0:1], 0x88
	s_bfe_u32 s2, ttmp6, 0x40014
	s_lshr_b32 s3, ttmp7, 16
	s_add_co_i32 s2, s2, 1
	s_bfe_u32 s4, ttmp6, 0x40008
	s_mul_i32 s2, s3, s2
	s_getreg_b32 s28, hwreg(HW_REG_IB_STS2, 6, 4)
	s_add_co_i32 s4, s4, s2
	s_cmp_eq_u32 s28, 0
	s_cselect_b32 s2, s3, s4
	s_mov_b32 s3, 0
	s_wait_kmcnt 0x0
	s_cmp_ge_i32 s2, s31
	s_cbranch_scc1 .LBB72_11
; %bb.1:
	v_bfe_u32 v2, v0, 10, 10
	v_and_b32_e32 v6, 0x3ff, v0
	s_bfe_u32 s30, ttmp6, 0x4000c
	s_bfe_u32 s34, ttmp6, 0x40010
	s_clause 0x2
	s_load_b256 s[4:11], s[0:1], 0x20
	s_load_b128 s[24:27], s[0:1], 0x40
	s_load_b128 s[20:23], s[0:1], 0x78
	v_dual_mov_b32 v3, 0 :: v_dual_lshlrev_b32 v14, 4, v2
	s_and_b32 s33, ttmp7, 0xffff
	s_add_co_i32 s30, s30, 1
	s_add_co_i32 s34, s34, 1
	s_and_b32 s29, ttmp6, 15
	s_mul_i32 s30, ttmp9, s30
	s_mul_i32 s34, s33, s34
	s_bfe_u32 s35, ttmp6, 0x40004
	v_dual_add_nc_u32 v7, v14, v6 :: v_dual_bitop2_b32 v16, 7, v0 bitop3:0x40
	s_add_co_i32 s29, s29, s30
	s_add_co_i32 s35, s35, s34
	s_cmp_eq_u32 s28, 0
	s_delay_alu instid0(VALU_DEP_1)
	v_dual_lshrrev_b32 v8, 3, v7 :: v_dual_bitop2_b32 v15, 31, v7 bitop3:0x40
	s_cselect_b32 s28, ttmp9, s29
	s_cselect_b32 s30, s33, s35
	s_ashr_i32 s29, s28, 31
	s_load_b256 s[12:19], s[0:1], 0x58
	s_lshl_b64 s[34:35], s[28:29], 5
	s_delay_alu instid0(SALU_CYCLE_1)
	v_dual_mov_b32 v9, v3 :: v_dual_bitop2_b32 v0, s34, v15 bitop3:0x54
	v_mov_b32_e32 v1, s35
	s_load_b32 s33, s[0:1], 0x50
	v_add_nc_u32_e32 v23, 0x200, v14
	s_wait_kmcnt 0x0
	v_mad_nc_u64_u32 v[10:11], s24, v16, v[8:9]
	v_lshlrev_b32_e32 v9, 1, v15
	v_mul_u64_e32 v[12:13], s[6:7], v[0:1]
	s_lshl_b32 s6, s30, 5
	s_mov_b32 s7, s3
	s_load_b96 s[28:30], s[0:1], 0x10
	v_add_nc_u64_e32 v[4:5], s[6:7], v[2:3]
	v_dual_lshrrev_b32 v2, 5, v7 :: v_dual_lshlrev_b32 v7, 1, v16
	v_lshlrev_b32_e32 v22, 1, v6
	v_mad_u32 v11, s25, v16, v11
	s_delay_alu instid0(VALU_DEP_3)
	v_lshl_or_b32 v20, v2, 6, v9
	v_mul_u64_e32 v[0:1], s[20:21], v[4:5]
	v_mul_u64_e32 v[4:5], s[14:15], v[4:5]
	v_lshl_or_b32 v15, v8, 4, v7
	v_dual_mov_b32 v7, v3 :: v_dual_lshlrev_b32 v2, 1, v2
	s_cmp_eq_f16 s33, 0
	s_delay_alu instid0(VALU_DEP_2)
	v_add_nc_u32_e32 v21, 0x200, v15
	v_add_nc_u64_e32 v[8:9], s[6:7], v[10:11]
	s_cselect_b32 s36, -1, 0
	s_wait_xcnt 0x0
	s_lshl_b64 s[0:1], s[8:9], 1
	v_add_nc_u64_e32 v[10:11], s[34:35], v[6:7]
	s_lshl_b64 s[6:7], s[20:21], 4
	s_lshl_b64 s[8:9], s[14:15], 4
	;; [unrolled: 1-line block ×3, first 2 shown]
	v_lshlrev_b64_e32 v[6:7], 1, v[8:9]
	s_lshl_b64 s[20:21], s[22:23], 1
	s_lshl_b64 s[16:17], s[16:17], 1
	v_lshlrev_b64_e32 v[10:11], 1, v[10:11]
	v_lshl_add_u64 v[8:9], v[12:13], 1, s[0:1]
	s_wait_kmcnt 0x0
	v_cmp_gt_i64_e64 s0, s[28:29], 0
	v_cndmask_b32_e64 v13, 0, 1, s36
	v_lshl_add_u64 v[6:7], s[26:27], 1, v[6:7]
	v_add_nc_u64_e32 v[8:9], v[8:9], v[2:3]
	s_delay_alu instid0(VALU_DEP_3) | instskip(SKIP_1) | instid1(VALU_DEP_1)
	v_cmp_ne_u32_e64 s1, 1, v13
	v_cndmask_b32_e64 v12, 0, 1, s0
	v_cmp_ne_u32_e64 s0, 1, v12
	s_branch .LBB72_3
.LBB72_2:                               ;   in Loop: Header=BB72_3 Depth=1
	s_add_co_i32 s2, s2, 0x10000
	s_delay_alu instid0(SALU_CYCLE_1)
	s_cmp_lt_i32 s2, s31
	s_cbranch_scc0 .LBB72_11
.LBB72_3:                               ; =>This Loop Header: Depth=1
                                        ;     Child Loop BB72_5 Depth 2
	v_mov_b32_e32 v2, s2
	s_delay_alu instid0(VALU_DEP_2)
	s_and_b32 vcc_lo, exec_lo, s0
	s_clause 0x1
	global_load_b64 v[12:13], v2, s[12:13] scale_offset
	global_load_b64 v[14:15], v2, s[18:19] scale_offset
	s_cbranch_vccnz .LBB72_6
; %bb.4:                                ;   in Loop: Header=BB72_3 Depth=1
	s_lshl_b64 s[22:23], s[2:3], 3
	s_wait_xcnt 0x0
	v_dual_mov_b32 v2, 0 :: v_dual_mov_b32 v24, 0
	s_add_nc_u64 s[24:25], s[10:11], s[22:23]
	s_add_nc_u64 s[22:23], s[4:5], s[22:23]
	s_clause 0x1
	global_load_b64 v[16:17], v3, s[24:25]
	global_load_b64 v[18:19], v3, s[22:23]
	s_wait_xcnt 0x0
	s_mov_b64 s[22:23], 0
	s_wait_loadcnt 0x1
	v_add_nc_u64_e32 v[16:17], v[16:17], v[6:7]
	s_wait_loadcnt 0x0
	v_add_nc_u64_e32 v[18:19], v[18:19], v[8:9]
.LBB72_5:                               ;   Parent Loop BB72_3 Depth=1
                                        ; =>  This Inner Loop Header: Depth=2
	flat_load_u16 v25, v[18:19]
	s_add_nc_u64 s[22:23], s[22:23], 8
	s_wait_xcnt 0x0
	v_add_nc_u64_e32 v[18:19], 16, v[18:19]
	v_cmp_lt_i64_e64 s24, s[22:23], s[28:29]
	s_and_b32 vcc_lo, exec_lo, s24
	s_wait_loadcnt_dscnt 0x0
	ds_store_b16 v20, v25
	flat_load_u16 v25, v[16:17]
	s_wait_xcnt 0x0
	v_add_nc_u64_e32 v[16:17], s[14:15], v[16:17]
	s_wait_loadcnt_dscnt 0x0
	ds_store_b16 v21, v25
	s_wait_dscnt 0x0
	s_barrier_signal -1
	s_barrier_wait -1
	ds_load_u16 v25, v22
	ds_load_u16 v34, v22 offset:32
	ds_load_u16 v35, v22 offset:64
	;; [unrolled: 1-line block ×3, first 2 shown]
	ds_load_b128 v[26:29], v23
	ds_load_b128 v[30:33], v23 offset:256
	ds_load_u16 v37, v22 offset:128
	ds_load_u16 v38, v22 offset:160
	;; [unrolled: 1-line block ×12, first 2 shown]
	s_wait_dscnt 0x0
	s_barrier_signal -1
	s_barrier_wait -1
	v_perm_b32 v25, v25, v34, 0x5040100
	v_perm_b32 v34, v35, v36, 0x5040100
	s_delay_alu instid0(VALU_DEP_2) | instskip(SKIP_2) | instid1(VALU_DEP_3)
	v_pk_fma_f16 v24, v25, v26, v24 op_sel_hi:[1,0,1]
	v_pk_fma_f16 v2, v25, v30, v2 op_sel_hi:[1,0,1]
	v_perm_b32 v25, v37, v38, 0x5040100
	v_pk_fma_f16 v24, v34, v26, v24 op_sel:[0,1,0]
	s_delay_alu instid0(VALU_DEP_3) | instskip(SKIP_1) | instid1(VALU_DEP_3)
	v_pk_fma_f16 v2, v34, v30, v2 op_sel:[0,1,0]
	v_perm_b32 v26, v39, v40, 0x5040100
	v_pk_fma_f16 v24, v25, v27, v24 op_sel_hi:[1,0,1]
	s_delay_alu instid0(VALU_DEP_3) | instskip(SKIP_1) | instid1(VALU_DEP_3)
	v_pk_fma_f16 v2, v25, v31, v2 op_sel_hi:[1,0,1]
	v_perm_b32 v25, v41, v42, 0x5040100
	v_pk_fma_f16 v24, v26, v27, v24 op_sel:[0,1,0]
	s_delay_alu instid0(VALU_DEP_3) | instskip(SKIP_1) | instid1(VALU_DEP_3)
	v_pk_fma_f16 v2, v26, v31, v2 op_sel:[0,1,0]
	v_perm_b32 v26, v43, v44, 0x5040100
	v_pk_fma_f16 v24, v25, v28, v24 op_sel_hi:[1,0,1]
	s_delay_alu instid0(VALU_DEP_3) | instskip(SKIP_1) | instid1(VALU_DEP_3)
	v_pk_fma_f16 v2, v25, v32, v2 op_sel_hi:[1,0,1]
	v_perm_b32 v25, v45, v46, 0x5040100
	v_pk_fma_f16 v24, v26, v28, v24 op_sel:[0,1,0]
	s_delay_alu instid0(VALU_DEP_3) | instskip(SKIP_1) | instid1(VALU_DEP_3)
	v_pk_fma_f16 v2, v26, v32, v2 op_sel:[0,1,0]
	v_perm_b32 v26, v47, v48, 0x5040100
	v_pk_fma_f16 v24, v25, v29, v24 op_sel_hi:[1,0,1]
	s_delay_alu instid0(VALU_DEP_3) | instskip(NEXT) | instid1(VALU_DEP_2)
	v_pk_fma_f16 v2, v25, v33, v2 op_sel_hi:[1,0,1]
	v_pk_fma_f16 v24, v26, v29, v24 op_sel:[0,1,0]
	s_delay_alu instid0(VALU_DEP_2)
	v_pk_fma_f16 v2, v26, v33, v2 op_sel:[0,1,0]
	s_cbranch_vccnz .LBB72_5
	s_branch .LBB72_7
.LBB72_6:                               ;   in Loop: Header=BB72_3 Depth=1
	s_wait_xcnt 0x0
	v_dual_mov_b32 v24, 0 :: v_dual_mov_b32 v2, 0
.LBB72_7:                               ;   in Loop: Header=BB72_3 Depth=1
	s_wait_loadcnt 0x0
	v_add_nc_u64_e32 v[14:15], s[20:21], v[14:15]
	s_delay_alu instid0(VALU_DEP_2) | instskip(SKIP_1) | instid1(VALU_DEP_2)
	v_dual_lshrrev_b32 v19, 16, v24 :: v_dual_lshrrev_b32 v18, 16, v2
	s_and_b32 vcc_lo, exec_lo, s1
	v_lshl_add_u64 v[14:15], v[0:1], 1, v[14:15]
	s_delay_alu instid0(VALU_DEP_1)
	v_add_nc_u64_e32 v[16:17], v[14:15], v[10:11]
	v_lshl_add_u64 v[14:15], s[6:7], 1, v[14:15]
	s_cbranch_vccnz .LBB72_9
; %bb.8:                                ;   in Loop: Header=BB72_3 Depth=1
	s_delay_alu instid0(VALU_DEP_1)
	v_add_nc_u64_e32 v[26:27], v[14:15], v[10:11]
	v_mul_f16_e32 v25, s30, v19
	v_mul_f16_e32 v29, s30, v18
	;; [unrolled: 1-line block ×4, first 2 shown]
	s_clause 0x3
	flat_store_b16 v[16:17], v25
	flat_store_b16 v[16:17], v28 offset:32
	flat_store_b16 v[26:27], v29
	flat_store_b16 v[26:27], v30 offset:32
	s_cbranch_execnz .LBB72_2
	s_branch .LBB72_10
.LBB72_9:                               ;   in Loop: Header=BB72_3 Depth=1
.LBB72_10:                              ;   in Loop: Header=BB72_3 Depth=1
	v_add_nc_u64_e32 v[12:13], s[16:17], v[12:13]
	s_delay_alu instid0(VALU_DEP_2) | instskip(NEXT) | instid1(VALU_DEP_2)
	v_add_nc_u64_e32 v[14:15], v[14:15], v[10:11]
	v_lshl_add_u64 v[12:13], v[4:5], 1, v[12:13]
	s_wait_xcnt 0x0
	s_delay_alu instid0(VALU_DEP_1) | instskip(SKIP_1) | instid1(VALU_DEP_1)
	v_add_nc_u64_e32 v[26:27], v[12:13], v[10:11]
	v_lshl_add_u64 v[12:13], s[8:9], 1, v[12:13]
	v_add_nc_u64_e32 v[12:13], v[12:13], v[10:11]
	flat_load_u16 v25, v[26:27]
	s_wait_loadcnt_dscnt 0x0
	v_mul_f16_e32 v25, s33, v25
	s_delay_alu instid0(VALU_DEP_1) | instskip(SKIP_4) | instid1(VALU_DEP_1)
	v_fmac_f16_e32 v25, s30, v19
	flat_store_b16 v[16:17], v25
	flat_load_u16 v19, v[26:27] offset:32
	s_wait_loadcnt_dscnt 0x0
	v_mul_f16_e32 v19, s33, v19
	v_fmac_f16_e32 v19, s30, v24
	flat_store_b16 v[16:17], v19 offset:32
	flat_load_u16 v16, v[12:13]
	s_wait_loadcnt_dscnt 0x0
	v_mul_f16_e32 v16, s33, v16
	s_delay_alu instid0(VALU_DEP_1)
	v_fmac_f16_e32 v16, s30, v18
	flat_store_b16 v[14:15], v16
	flat_load_u16 v12, v[12:13] offset:32
	s_wait_loadcnt_dscnt 0x0
	s_wait_xcnt 0x0
	v_mul_f16_e32 v12, s33, v12
	s_delay_alu instid0(VALU_DEP_1)
	v_fmac_f16_e32 v12, s30, v2
	flat_store_b16 v[14:15], v12 offset:32
	s_branch .LBB72_2
.LBB72_11:
	s_endpgm
	.section	.rodata,"a",@progbits
	.p2align	6, 0x0
	.amdhsa_kernel _ZN12_GLOBAL__N_127rocblas_gemm_batched_kernelIDF16_Li16ELi16ELi32ELi32ELi8ELi32ELi8ELi8ELi32ELc67ELc84EKPKDF16_S3_KPDF16_EEvlllT_PT11_llS8_llS6_PT12_llPT13_lli
		.amdhsa_group_segment_fixed_size 1024
		.amdhsa_private_segment_fixed_size 0
		.amdhsa_kernarg_size 140
		.amdhsa_user_sgpr_count 2
		.amdhsa_user_sgpr_dispatch_ptr 0
		.amdhsa_user_sgpr_queue_ptr 0
		.amdhsa_user_sgpr_kernarg_segment_ptr 1
		.amdhsa_user_sgpr_dispatch_id 0
		.amdhsa_user_sgpr_kernarg_preload_length 0
		.amdhsa_user_sgpr_kernarg_preload_offset 0
		.amdhsa_user_sgpr_private_segment_size 0
		.amdhsa_wavefront_size32 1
		.amdhsa_uses_dynamic_stack 0
		.amdhsa_enable_private_segment 0
		.amdhsa_system_sgpr_workgroup_id_x 1
		.amdhsa_system_sgpr_workgroup_id_y 1
		.amdhsa_system_sgpr_workgroup_id_z 1
		.amdhsa_system_sgpr_workgroup_info 0
		.amdhsa_system_vgpr_workitem_id 1
		.amdhsa_next_free_vgpr 49
		.amdhsa_next_free_sgpr 37
		.amdhsa_named_barrier_count 0
		.amdhsa_reserve_vcc 1
		.amdhsa_float_round_mode_32 0
		.amdhsa_float_round_mode_16_64 0
		.amdhsa_float_denorm_mode_32 3
		.amdhsa_float_denorm_mode_16_64 3
		.amdhsa_fp16_overflow 0
		.amdhsa_memory_ordered 1
		.amdhsa_forward_progress 1
		.amdhsa_inst_pref_size 12
		.amdhsa_round_robin_scheduling 0
		.amdhsa_exception_fp_ieee_invalid_op 0
		.amdhsa_exception_fp_denorm_src 0
		.amdhsa_exception_fp_ieee_div_zero 0
		.amdhsa_exception_fp_ieee_overflow 0
		.amdhsa_exception_fp_ieee_underflow 0
		.amdhsa_exception_fp_ieee_inexact 0
		.amdhsa_exception_int_div_zero 0
	.end_amdhsa_kernel
	.section	.text._ZN12_GLOBAL__N_127rocblas_gemm_batched_kernelIDF16_Li16ELi16ELi32ELi32ELi8ELi32ELi8ELi8ELi32ELc67ELc84EKPKDF16_S3_KPDF16_EEvlllT_PT11_llS8_llS6_PT12_llPT13_lli,"axG",@progbits,_ZN12_GLOBAL__N_127rocblas_gemm_batched_kernelIDF16_Li16ELi16ELi32ELi32ELi8ELi32ELi8ELi8ELi32ELc67ELc84EKPKDF16_S3_KPDF16_EEvlllT_PT11_llS8_llS6_PT12_llPT13_lli,comdat
.Lfunc_end72:
	.size	_ZN12_GLOBAL__N_127rocblas_gemm_batched_kernelIDF16_Li16ELi16ELi32ELi32ELi8ELi32ELi8ELi8ELi32ELc67ELc84EKPKDF16_S3_KPDF16_EEvlllT_PT11_llS8_llS6_PT12_llPT13_lli, .Lfunc_end72-_ZN12_GLOBAL__N_127rocblas_gemm_batched_kernelIDF16_Li16ELi16ELi32ELi32ELi8ELi32ELi8ELi8ELi32ELc67ELc84EKPKDF16_S3_KPDF16_EEvlllT_PT11_llS8_llS6_PT12_llPT13_lli
                                        ; -- End function
	.set _ZN12_GLOBAL__N_127rocblas_gemm_batched_kernelIDF16_Li16ELi16ELi32ELi32ELi8ELi32ELi8ELi8ELi32ELc67ELc84EKPKDF16_S3_KPDF16_EEvlllT_PT11_llS8_llS6_PT12_llPT13_lli.num_vgpr, 49
	.set _ZN12_GLOBAL__N_127rocblas_gemm_batched_kernelIDF16_Li16ELi16ELi32ELi32ELi8ELi32ELi8ELi8ELi32ELc67ELc84EKPKDF16_S3_KPDF16_EEvlllT_PT11_llS8_llS6_PT12_llPT13_lli.num_agpr, 0
	.set _ZN12_GLOBAL__N_127rocblas_gemm_batched_kernelIDF16_Li16ELi16ELi32ELi32ELi8ELi32ELi8ELi8ELi32ELc67ELc84EKPKDF16_S3_KPDF16_EEvlllT_PT11_llS8_llS6_PT12_llPT13_lli.numbered_sgpr, 37
	.set _ZN12_GLOBAL__N_127rocblas_gemm_batched_kernelIDF16_Li16ELi16ELi32ELi32ELi8ELi32ELi8ELi8ELi32ELc67ELc84EKPKDF16_S3_KPDF16_EEvlllT_PT11_llS8_llS6_PT12_llPT13_lli.num_named_barrier, 0
	.set _ZN12_GLOBAL__N_127rocblas_gemm_batched_kernelIDF16_Li16ELi16ELi32ELi32ELi8ELi32ELi8ELi8ELi32ELc67ELc84EKPKDF16_S3_KPDF16_EEvlllT_PT11_llS8_llS6_PT12_llPT13_lli.private_seg_size, 0
	.set _ZN12_GLOBAL__N_127rocblas_gemm_batched_kernelIDF16_Li16ELi16ELi32ELi32ELi8ELi32ELi8ELi8ELi32ELc67ELc84EKPKDF16_S3_KPDF16_EEvlllT_PT11_llS8_llS6_PT12_llPT13_lli.uses_vcc, 1
	.set _ZN12_GLOBAL__N_127rocblas_gemm_batched_kernelIDF16_Li16ELi16ELi32ELi32ELi8ELi32ELi8ELi8ELi32ELc67ELc84EKPKDF16_S3_KPDF16_EEvlllT_PT11_llS8_llS6_PT12_llPT13_lli.uses_flat_scratch, 1
	.set _ZN12_GLOBAL__N_127rocblas_gemm_batched_kernelIDF16_Li16ELi16ELi32ELi32ELi8ELi32ELi8ELi8ELi32ELc67ELc84EKPKDF16_S3_KPDF16_EEvlllT_PT11_llS8_llS6_PT12_llPT13_lli.has_dyn_sized_stack, 0
	.set _ZN12_GLOBAL__N_127rocblas_gemm_batched_kernelIDF16_Li16ELi16ELi32ELi32ELi8ELi32ELi8ELi8ELi32ELc67ELc84EKPKDF16_S3_KPDF16_EEvlllT_PT11_llS8_llS6_PT12_llPT13_lli.has_recursion, 0
	.set _ZN12_GLOBAL__N_127rocblas_gemm_batched_kernelIDF16_Li16ELi16ELi32ELi32ELi8ELi32ELi8ELi8ELi32ELc67ELc84EKPKDF16_S3_KPDF16_EEvlllT_PT11_llS8_llS6_PT12_llPT13_lli.has_indirect_call, 0
	.section	.AMDGPU.csdata,"",@progbits
; Kernel info:
; codeLenInByte = 1532
; TotalNumSgprs: 39
; NumVgprs: 49
; ScratchSize: 0
; MemoryBound: 0
; FloatMode: 240
; IeeeMode: 1
; LDSByteSize: 1024 bytes/workgroup (compile time only)
; SGPRBlocks: 0
; VGPRBlocks: 3
; NumSGPRsForWavesPerEU: 39
; NumVGPRsForWavesPerEU: 49
; NamedBarCnt: 0
; Occupancy: 16
; WaveLimiterHint : 1
; COMPUTE_PGM_RSRC2:SCRATCH_EN: 0
; COMPUTE_PGM_RSRC2:USER_SGPR: 2
; COMPUTE_PGM_RSRC2:TRAP_HANDLER: 0
; COMPUTE_PGM_RSRC2:TGID_X_EN: 1
; COMPUTE_PGM_RSRC2:TGID_Y_EN: 1
; COMPUTE_PGM_RSRC2:TGID_Z_EN: 1
; COMPUTE_PGM_RSRC2:TIDIG_COMP_CNT: 1
	.section	.text._ZN12_GLOBAL__N_127rocblas_gemm_batched_kernelIDF16_Li16ELi16ELi32ELi32ELi8ELi32ELi8ELi8ELi32ELc78ELc67EKPKDF16_S3_KPDF16_EEvlllT_PT11_llS8_llS6_PT12_llPT13_lli,"axG",@progbits,_ZN12_GLOBAL__N_127rocblas_gemm_batched_kernelIDF16_Li16ELi16ELi32ELi32ELi8ELi32ELi8ELi8ELi32ELc78ELc67EKPKDF16_S3_KPDF16_EEvlllT_PT11_llS8_llS6_PT12_llPT13_lli,comdat
	.globl	_ZN12_GLOBAL__N_127rocblas_gemm_batched_kernelIDF16_Li16ELi16ELi32ELi32ELi8ELi32ELi8ELi8ELi32ELc78ELc67EKPKDF16_S3_KPDF16_EEvlllT_PT11_llS8_llS6_PT12_llPT13_lli ; -- Begin function _ZN12_GLOBAL__N_127rocblas_gemm_batched_kernelIDF16_Li16ELi16ELi32ELi32ELi8ELi32ELi8ELi8ELi32ELc78ELc67EKPKDF16_S3_KPDF16_EEvlllT_PT11_llS8_llS6_PT12_llPT13_lli
	.p2align	8
	.type	_ZN12_GLOBAL__N_127rocblas_gemm_batched_kernelIDF16_Li16ELi16ELi32ELi32ELi8ELi32ELi8ELi8ELi32ELc78ELc67EKPKDF16_S3_KPDF16_EEvlllT_PT11_llS8_llS6_PT12_llPT13_lli,@function
_ZN12_GLOBAL__N_127rocblas_gemm_batched_kernelIDF16_Li16ELi16ELi32ELi32ELi8ELi32ELi8ELi8ELi32ELc78ELc67EKPKDF16_S3_KPDF16_EEvlllT_PT11_llS8_llS6_PT12_llPT13_lli: ; @_ZN12_GLOBAL__N_127rocblas_gemm_batched_kernelIDF16_Li16ELi16ELi32ELi32ELi8ELi32ELi8ELi8ELi32ELc78ELc67EKPKDF16_S3_KPDF16_EEvlllT_PT11_llS8_llS6_PT12_llPT13_lli
; %bb.0:
	s_load_b32 s31, s[0:1], 0x88
	s_bfe_u32 s2, ttmp6, 0x40014
	s_lshr_b32 s3, ttmp7, 16
	s_add_co_i32 s2, s2, 1
	s_bfe_u32 s4, ttmp6, 0x40008
	s_mul_i32 s2, s3, s2
	s_getreg_b32 s28, hwreg(HW_REG_IB_STS2, 6, 4)
	s_add_co_i32 s4, s4, s2
	s_cmp_eq_u32 s28, 0
	s_cselect_b32 s2, s3, s4
	s_mov_b32 s3, 0
	s_wait_kmcnt 0x0
	s_cmp_ge_i32 s2, s31
	s_cbranch_scc1 .LBB73_11
; %bb.1:
	v_bfe_u32 v2, v0, 10, 10
	s_clause 0x2
	s_load_b256 s[4:11], s[0:1], 0x20
	s_load_b128 s[20:23], s[0:1], 0x40
	s_load_b32 s33, s[0:1], 0x50
	v_and_b32_e32 v6, 0x3ff, v0
	s_bfe_u32 s30, ttmp6, 0x4000c
	s_bfe_u32 s34, ttmp6, 0x40010
	v_dual_mov_b32 v3, 0 :: v_dual_lshlrev_b32 v16, 4, v2
	s_add_co_i32 s30, s30, 1
	s_and_b32 s35, ttmp7, 0xffff
	s_add_co_i32 s34, s34, 1
	s_delay_alu instid0(VALU_DEP_1)
	v_dual_add_nc_u32 v1, v16, v6 :: v_dual_bitop2_b32 v0, 7, v0 bitop3:0x40
	s_clause 0x1
	s_load_b128 s[24:27], s[0:1], 0x78
	s_load_b256 s[12:19], s[0:1], 0x58
	s_and_b32 s29, ttmp6, 15
	s_mul_i32 s30, ttmp9, s30
	s_mul_i32 s34, s35, s34
	s_bfe_u32 s36, ttmp6, 0x40004
	s_add_co_i32 s29, s29, s30
	s_add_co_i32 s36, s36, s34
	s_cmp_eq_u32 s28, 0
	v_dual_mov_b32 v9, v3 :: v_dual_lshrrev_b32 v8, 3, v1
	s_cselect_b32 s28, ttmp9, s29
	v_dual_lshrrev_b32 v17, 5, v1 :: v_dual_bitop2_b32 v14, 31, v1 bitop3:0x40
	s_cselect_b32 s30, s35, s36
	s_ashr_i32 s29, s28, 31
	s_wait_kmcnt 0x0
	v_mad_nc_u64_u32 v[10:11], s20, v0, v[8:9]
	s_lshl_b64 s[34:35], s[28:29], 5
	s_lshl_b32 s36, s30, 5
	s_mov_b32 s37, s3
	v_mad_nc_u64_u32 v[12:13], s6, v17, s[34:35]
	v_add_nc_u64_e32 v[4:5], s[36:37], v[2:3]
	s_load_b96 s[28:30], s[0:1], 0x10
	v_dual_lshlrev_b32 v2, 1, v0 :: v_dual_lshlrev_b32 v9, 1, v14
	v_dual_mov_b32 v7, v3 :: v_dual_mov_b32 v15, v3
	v_mad_u32 v11, s21, v0, v11
	s_delay_alu instid0(VALU_DEP_4)
	v_mul_u64_e32 v[0:1], s[24:25], v[4:5]
	v_mul_u64_e32 v[4:5], s[14:15], v[4:5]
	v_lshl_or_b32 v18, v8, 4, v2
	v_mad_u32 v13, s7, v17, v13
	v_lshl_or_b32 v2, v17, 6, v9
	v_lshlrev_b32_e32 v21, 1, v6
	s_cmp_eq_f16 s33, 0
	v_add_nc_u32_e32 v20, 0x200, v18
	v_add_nc_u32_e32 v22, 0x200, v16
	v_add_nc_u64_e32 v[8:9], s[36:37], v[10:11]
	s_wait_xcnt 0x0
	s_cselect_b32 s1, -1, 0
	s_lshl_b64 s[24:25], s[24:25], 4
	s_lshl_b64 s[14:15], s[14:15], 4
	v_add_nc_u64_e32 v[10:11], v[12:13], v[14:15]
	s_wait_kmcnt 0x0
	v_cmp_gt_i64_e64 s0, s[28:29], 0
	v_add_nc_u64_e32 v[12:13], s[34:35], v[6:7]
	v_lshlrev_b64_e32 v[8:9], 1, v[8:9]
	s_lshl_b64 s[20:21], s[20:21], 4
	s_lshl_b64 s[6:7], s[6:7], 4
	;; [unrolled: 1-line block ×3, first 2 shown]
	v_lshlrev_b64_e32 v[10:11], 1, v[10:11]
	v_cndmask_b32_e64 v14, 0, 1, s0
	s_delay_alu instid0(VALU_DEP_3) | instskip(SKIP_1) | instid1(VALU_DEP_3)
	v_lshl_add_u64 v[6:7], s[22:23], 1, v[8:9]
	v_lshlrev_b64_e32 v[8:9], 1, v[12:13]
	v_cmp_ne_u32_e64 s0, 1, v14
	v_lshl_add_u64 v[10:11], s[8:9], 1, v[10:11]
	s_lshl_b64 s[8:9], s[26:27], 1
	s_branch .LBB73_3
.LBB73_2:                               ;   in Loop: Header=BB73_3 Depth=1
	s_add_co_i32 s2, s2, 0x10000
	s_delay_alu instid0(SALU_CYCLE_1)
	s_cmp_lt_i32 s2, s31
	s_cbranch_scc0 .LBB73_11
.LBB73_3:                               ; =>This Loop Header: Depth=1
                                        ;     Child Loop BB73_5 Depth 2
	s_wait_xcnt 0x2
	v_mov_b32_e32 v16, s2
	s_and_b32 vcc_lo, exec_lo, s0
	s_clause 0x1
	global_load_b64 v[12:13], v16, s[12:13] scale_offset
	global_load_b64 v[14:15], v16, s[18:19] scale_offset
	s_cbranch_vccnz .LBB73_6
; %bb.4:                                ;   in Loop: Header=BB73_3 Depth=1
	s_lshl_b64 s[22:23], s[2:3], 3
	v_dual_mov_b32 v23, 0 :: v_dual_mov_b32 v24, 0
	s_add_nc_u64 s[26:27], s[10:11], s[22:23]
	s_add_nc_u64 s[22:23], s[4:5], s[22:23]
	s_clause 0x1
	global_load_b64 v[16:17], v3, s[26:27]
	global_load_b64 v[18:19], v3, s[22:23]
	s_wait_xcnt 0x0
	s_mov_b64 s[22:23], 0
	s_wait_loadcnt 0x1
	v_add_nc_u64_e32 v[16:17], v[16:17], v[6:7]
	s_wait_loadcnt 0x0
	v_add_nc_u64_e32 v[18:19], v[18:19], v[10:11]
.LBB73_5:                               ;   Parent Loop BB73_3 Depth=1
                                        ; =>  This Inner Loop Header: Depth=2
	flat_load_u16 v25, v[18:19]
	s_add_nc_u64 s[22:23], s[22:23], 8
	s_wait_xcnt 0x0
	v_add_nc_u64_e32 v[18:19], s[6:7], v[18:19]
	v_cmp_lt_i64_e64 s26, s[22:23], s[28:29]
	s_and_b32 vcc_lo, exec_lo, s26
	s_wait_loadcnt_dscnt 0x0
	ds_store_b16 v2, v25
	flat_load_u16 v25, v[16:17]
	s_wait_xcnt 0x0
	v_add_nc_u64_e32 v[16:17], s[20:21], v[16:17]
	s_wait_loadcnt_dscnt 0x0
	ds_store_b16 v20, v25
	s_wait_dscnt 0x0
	s_barrier_signal -1
	s_barrier_wait -1
	ds_load_u16 v25, v21
	ds_load_u16 v34, v21 offset:32
	ds_load_u16 v35, v21 offset:64
	;; [unrolled: 1-line block ×3, first 2 shown]
	ds_load_b128 v[26:29], v22
	ds_load_b128 v[30:33], v22 offset:256
	ds_load_u16 v37, v21 offset:128
	ds_load_u16 v38, v21 offset:160
	;; [unrolled: 1-line block ×12, first 2 shown]
	s_wait_dscnt 0x0
	s_barrier_signal -1
	s_barrier_wait -1
	v_perm_b32 v25, v25, v34, 0x5040100
	v_perm_b32 v34, v35, v36, 0x5040100
	s_delay_alu instid0(VALU_DEP_2) | instskip(SKIP_2) | instid1(VALU_DEP_3)
	v_pk_fma_f16 v24, v25, v26, v24 op_sel_hi:[1,0,1]
	v_pk_fma_f16 v23, v25, v30, v23 op_sel_hi:[1,0,1]
	v_perm_b32 v25, v37, v38, 0x5040100
	v_pk_fma_f16 v24, v34, v26, v24 op_sel:[0,1,0]
	s_delay_alu instid0(VALU_DEP_3) | instskip(SKIP_1) | instid1(VALU_DEP_3)
	v_pk_fma_f16 v23, v34, v30, v23 op_sel:[0,1,0]
	v_perm_b32 v26, v39, v40, 0x5040100
	v_pk_fma_f16 v24, v25, v27, v24 op_sel_hi:[1,0,1]
	s_delay_alu instid0(VALU_DEP_3) | instskip(SKIP_1) | instid1(VALU_DEP_3)
	v_pk_fma_f16 v23, v25, v31, v23 op_sel_hi:[1,0,1]
	v_perm_b32 v25, v41, v42, 0x5040100
	v_pk_fma_f16 v24, v26, v27, v24 op_sel:[0,1,0]
	s_delay_alu instid0(VALU_DEP_3) | instskip(SKIP_1) | instid1(VALU_DEP_3)
	v_pk_fma_f16 v23, v26, v31, v23 op_sel:[0,1,0]
	v_perm_b32 v26, v43, v44, 0x5040100
	v_pk_fma_f16 v24, v25, v28, v24 op_sel_hi:[1,0,1]
	s_delay_alu instid0(VALU_DEP_3) | instskip(SKIP_1) | instid1(VALU_DEP_3)
	v_pk_fma_f16 v23, v25, v32, v23 op_sel_hi:[1,0,1]
	v_perm_b32 v25, v45, v46, 0x5040100
	v_pk_fma_f16 v24, v26, v28, v24 op_sel:[0,1,0]
	s_delay_alu instid0(VALU_DEP_3) | instskip(SKIP_1) | instid1(VALU_DEP_3)
	v_pk_fma_f16 v23, v26, v32, v23 op_sel:[0,1,0]
	v_perm_b32 v26, v47, v48, 0x5040100
	v_pk_fma_f16 v24, v25, v29, v24 op_sel_hi:[1,0,1]
	s_delay_alu instid0(VALU_DEP_3) | instskip(NEXT) | instid1(VALU_DEP_2)
	v_pk_fma_f16 v23, v25, v33, v23 op_sel_hi:[1,0,1]
	v_pk_fma_f16 v24, v26, v29, v24 op_sel:[0,1,0]
	s_delay_alu instid0(VALU_DEP_2)
	v_pk_fma_f16 v23, v26, v33, v23 op_sel:[0,1,0]
	s_cbranch_vccnz .LBB73_5
	s_branch .LBB73_7
.LBB73_6:                               ;   in Loop: Header=BB73_3 Depth=1
	v_dual_mov_b32 v24, 0 :: v_dual_mov_b32 v23, 0
.LBB73_7:                               ;   in Loop: Header=BB73_3 Depth=1
	s_wait_loadcnt 0x0
	v_add_nc_u64_e32 v[14:15], s[8:9], v[14:15]
	s_delay_alu instid0(VALU_DEP_2) | instskip(SKIP_1) | instid1(VALU_DEP_2)
	v_dual_lshrrev_b32 v19, 16, v24 :: v_dual_lshrrev_b32 v18, 16, v23
	s_and_not1_b32 vcc_lo, exec_lo, s1
	v_lshl_add_u64 v[14:15], v[0:1], 1, v[14:15]
	s_wait_xcnt 0x0
	s_delay_alu instid0(VALU_DEP_1)
	v_add_nc_u64_e32 v[16:17], v[14:15], v[8:9]
	v_lshl_add_u64 v[14:15], s[24:25], 1, v[14:15]
	s_cbranch_vccnz .LBB73_9
; %bb.8:                                ;   in Loop: Header=BB73_3 Depth=1
	s_delay_alu instid0(VALU_DEP_1)
	v_add_nc_u64_e32 v[26:27], v[14:15], v[8:9]
	v_mul_f16_e32 v25, s30, v19
	v_mul_f16_e32 v29, s30, v18
	;; [unrolled: 1-line block ×4, first 2 shown]
	s_clause 0x3
	flat_store_b16 v[16:17], v25
	flat_store_b16 v[16:17], v28 offset:32
	flat_store_b16 v[26:27], v29
	flat_store_b16 v[26:27], v30 offset:32
	s_cbranch_execnz .LBB73_2
	s_branch .LBB73_10
.LBB73_9:                               ;   in Loop: Header=BB73_3 Depth=1
.LBB73_10:                              ;   in Loop: Header=BB73_3 Depth=1
	v_add_nc_u64_e32 v[12:13], s[16:17], v[12:13]
	s_delay_alu instid0(VALU_DEP_2) | instskip(NEXT) | instid1(VALU_DEP_2)
	v_add_nc_u64_e32 v[14:15], v[14:15], v[8:9]
	v_lshl_add_u64 v[12:13], v[4:5], 1, v[12:13]
	s_wait_xcnt 0x0
	s_delay_alu instid0(VALU_DEP_1) | instskip(SKIP_1) | instid1(VALU_DEP_1)
	v_add_nc_u64_e32 v[26:27], v[12:13], v[8:9]
	v_lshl_add_u64 v[12:13], s[14:15], 1, v[12:13]
	v_add_nc_u64_e32 v[12:13], v[12:13], v[8:9]
	flat_load_u16 v25, v[26:27]
	s_wait_loadcnt_dscnt 0x0
	v_mul_f16_e32 v25, s33, v25
	s_delay_alu instid0(VALU_DEP_1) | instskip(SKIP_4) | instid1(VALU_DEP_1)
	v_fmac_f16_e32 v25, s30, v19
	flat_store_b16 v[16:17], v25
	flat_load_u16 v19, v[26:27] offset:32
	s_wait_loadcnt_dscnt 0x0
	v_mul_f16_e32 v19, s33, v19
	v_fmac_f16_e32 v19, s30, v24
	flat_store_b16 v[16:17], v19 offset:32
	flat_load_u16 v16, v[12:13]
	s_wait_loadcnt_dscnt 0x0
	v_mul_f16_e32 v16, s33, v16
	s_delay_alu instid0(VALU_DEP_1)
	v_fmac_f16_e32 v16, s30, v18
	flat_store_b16 v[14:15], v16
	flat_load_u16 v12, v[12:13] offset:32
	s_wait_loadcnt_dscnt 0x0
	s_wait_xcnt 0x0
	v_mul_f16_e32 v12, s33, v12
	s_delay_alu instid0(VALU_DEP_1)
	v_fmac_f16_e32 v12, s30, v23
	flat_store_b16 v[14:15], v12 offset:32
	s_branch .LBB73_2
.LBB73_11:
	s_endpgm
	.section	.rodata,"a",@progbits
	.p2align	6, 0x0
	.amdhsa_kernel _ZN12_GLOBAL__N_127rocblas_gemm_batched_kernelIDF16_Li16ELi16ELi32ELi32ELi8ELi32ELi8ELi8ELi32ELc78ELc67EKPKDF16_S3_KPDF16_EEvlllT_PT11_llS8_llS6_PT12_llPT13_lli
		.amdhsa_group_segment_fixed_size 1024
		.amdhsa_private_segment_fixed_size 0
		.amdhsa_kernarg_size 140
		.amdhsa_user_sgpr_count 2
		.amdhsa_user_sgpr_dispatch_ptr 0
		.amdhsa_user_sgpr_queue_ptr 0
		.amdhsa_user_sgpr_kernarg_segment_ptr 1
		.amdhsa_user_sgpr_dispatch_id 0
		.amdhsa_user_sgpr_kernarg_preload_length 0
		.amdhsa_user_sgpr_kernarg_preload_offset 0
		.amdhsa_user_sgpr_private_segment_size 0
		.amdhsa_wavefront_size32 1
		.amdhsa_uses_dynamic_stack 0
		.amdhsa_enable_private_segment 0
		.amdhsa_system_sgpr_workgroup_id_x 1
		.amdhsa_system_sgpr_workgroup_id_y 1
		.amdhsa_system_sgpr_workgroup_id_z 1
		.amdhsa_system_sgpr_workgroup_info 0
		.amdhsa_system_vgpr_workitem_id 1
		.amdhsa_next_free_vgpr 49
		.amdhsa_next_free_sgpr 38
		.amdhsa_named_barrier_count 0
		.amdhsa_reserve_vcc 1
		.amdhsa_float_round_mode_32 0
		.amdhsa_float_round_mode_16_64 0
		.amdhsa_float_denorm_mode_32 3
		.amdhsa_float_denorm_mode_16_64 3
		.amdhsa_fp16_overflow 0
		.amdhsa_memory_ordered 1
		.amdhsa_forward_progress 1
		.amdhsa_inst_pref_size 12
		.amdhsa_round_robin_scheduling 0
		.amdhsa_exception_fp_ieee_invalid_op 0
		.amdhsa_exception_fp_denorm_src 0
		.amdhsa_exception_fp_ieee_div_zero 0
		.amdhsa_exception_fp_ieee_overflow 0
		.amdhsa_exception_fp_ieee_underflow 0
		.amdhsa_exception_fp_ieee_inexact 0
		.amdhsa_exception_int_div_zero 0
	.end_amdhsa_kernel
	.section	.text._ZN12_GLOBAL__N_127rocblas_gemm_batched_kernelIDF16_Li16ELi16ELi32ELi32ELi8ELi32ELi8ELi8ELi32ELc78ELc67EKPKDF16_S3_KPDF16_EEvlllT_PT11_llS8_llS6_PT12_llPT13_lli,"axG",@progbits,_ZN12_GLOBAL__N_127rocblas_gemm_batched_kernelIDF16_Li16ELi16ELi32ELi32ELi8ELi32ELi8ELi8ELi32ELc78ELc67EKPKDF16_S3_KPDF16_EEvlllT_PT11_llS8_llS6_PT12_llPT13_lli,comdat
.Lfunc_end73:
	.size	_ZN12_GLOBAL__N_127rocblas_gemm_batched_kernelIDF16_Li16ELi16ELi32ELi32ELi8ELi32ELi8ELi8ELi32ELc78ELc67EKPKDF16_S3_KPDF16_EEvlllT_PT11_llS8_llS6_PT12_llPT13_lli, .Lfunc_end73-_ZN12_GLOBAL__N_127rocblas_gemm_batched_kernelIDF16_Li16ELi16ELi32ELi32ELi8ELi32ELi8ELi8ELi32ELc78ELc67EKPKDF16_S3_KPDF16_EEvlllT_PT11_llS8_llS6_PT12_llPT13_lli
                                        ; -- End function
	.set _ZN12_GLOBAL__N_127rocblas_gemm_batched_kernelIDF16_Li16ELi16ELi32ELi32ELi8ELi32ELi8ELi8ELi32ELc78ELc67EKPKDF16_S3_KPDF16_EEvlllT_PT11_llS8_llS6_PT12_llPT13_lli.num_vgpr, 49
	.set _ZN12_GLOBAL__N_127rocblas_gemm_batched_kernelIDF16_Li16ELi16ELi32ELi32ELi8ELi32ELi8ELi8ELi32ELc78ELc67EKPKDF16_S3_KPDF16_EEvlllT_PT11_llS8_llS6_PT12_llPT13_lli.num_agpr, 0
	.set _ZN12_GLOBAL__N_127rocblas_gemm_batched_kernelIDF16_Li16ELi16ELi32ELi32ELi8ELi32ELi8ELi8ELi32ELc78ELc67EKPKDF16_S3_KPDF16_EEvlllT_PT11_llS8_llS6_PT12_llPT13_lli.numbered_sgpr, 38
	.set _ZN12_GLOBAL__N_127rocblas_gemm_batched_kernelIDF16_Li16ELi16ELi32ELi32ELi8ELi32ELi8ELi8ELi32ELc78ELc67EKPKDF16_S3_KPDF16_EEvlllT_PT11_llS8_llS6_PT12_llPT13_lli.num_named_barrier, 0
	.set _ZN12_GLOBAL__N_127rocblas_gemm_batched_kernelIDF16_Li16ELi16ELi32ELi32ELi8ELi32ELi8ELi8ELi32ELc78ELc67EKPKDF16_S3_KPDF16_EEvlllT_PT11_llS8_llS6_PT12_llPT13_lli.private_seg_size, 0
	.set _ZN12_GLOBAL__N_127rocblas_gemm_batched_kernelIDF16_Li16ELi16ELi32ELi32ELi8ELi32ELi8ELi8ELi32ELc78ELc67EKPKDF16_S3_KPDF16_EEvlllT_PT11_llS8_llS6_PT12_llPT13_lli.uses_vcc, 1
	.set _ZN12_GLOBAL__N_127rocblas_gemm_batched_kernelIDF16_Li16ELi16ELi32ELi32ELi8ELi32ELi8ELi8ELi32ELc78ELc67EKPKDF16_S3_KPDF16_EEvlllT_PT11_llS8_llS6_PT12_llPT13_lli.uses_flat_scratch, 1
	.set _ZN12_GLOBAL__N_127rocblas_gemm_batched_kernelIDF16_Li16ELi16ELi32ELi32ELi8ELi32ELi8ELi8ELi32ELc78ELc67EKPKDF16_S3_KPDF16_EEvlllT_PT11_llS8_llS6_PT12_llPT13_lli.has_dyn_sized_stack, 0
	.set _ZN12_GLOBAL__N_127rocblas_gemm_batched_kernelIDF16_Li16ELi16ELi32ELi32ELi8ELi32ELi8ELi8ELi32ELc78ELc67EKPKDF16_S3_KPDF16_EEvlllT_PT11_llS8_llS6_PT12_llPT13_lli.has_recursion, 0
	.set _ZN12_GLOBAL__N_127rocblas_gemm_batched_kernelIDF16_Li16ELi16ELi32ELi32ELi8ELi32ELi8ELi8ELi32ELc78ELc67EKPKDF16_S3_KPDF16_EEvlllT_PT11_llS8_llS6_PT12_llPT13_lli.has_indirect_call, 0
	.section	.AMDGPU.csdata,"",@progbits
; Kernel info:
; codeLenInByte = 1508
; TotalNumSgprs: 40
; NumVgprs: 49
; ScratchSize: 0
; MemoryBound: 0
; FloatMode: 240
; IeeeMode: 1
; LDSByteSize: 1024 bytes/workgroup (compile time only)
; SGPRBlocks: 0
; VGPRBlocks: 3
; NumSGPRsForWavesPerEU: 40
; NumVGPRsForWavesPerEU: 49
; NamedBarCnt: 0
; Occupancy: 16
; WaveLimiterHint : 1
; COMPUTE_PGM_RSRC2:SCRATCH_EN: 0
; COMPUTE_PGM_RSRC2:USER_SGPR: 2
; COMPUTE_PGM_RSRC2:TRAP_HANDLER: 0
; COMPUTE_PGM_RSRC2:TGID_X_EN: 1
; COMPUTE_PGM_RSRC2:TGID_Y_EN: 1
; COMPUTE_PGM_RSRC2:TGID_Z_EN: 1
; COMPUTE_PGM_RSRC2:TIDIG_COMP_CNT: 1
	.section	.text._ZN12_GLOBAL__N_127rocblas_gemm_batched_kernelIDF16_Li16ELi16ELi32ELi32ELi8ELi32ELi8ELi8ELi32ELc84ELc67EKPKDF16_S3_KPDF16_EEvlllT_PT11_llS8_llS6_PT12_llPT13_lli,"axG",@progbits,_ZN12_GLOBAL__N_127rocblas_gemm_batched_kernelIDF16_Li16ELi16ELi32ELi32ELi8ELi32ELi8ELi8ELi32ELc84ELc67EKPKDF16_S3_KPDF16_EEvlllT_PT11_llS8_llS6_PT12_llPT13_lli,comdat
	.globl	_ZN12_GLOBAL__N_127rocblas_gemm_batched_kernelIDF16_Li16ELi16ELi32ELi32ELi8ELi32ELi8ELi8ELi32ELc84ELc67EKPKDF16_S3_KPDF16_EEvlllT_PT11_llS8_llS6_PT12_llPT13_lli ; -- Begin function _ZN12_GLOBAL__N_127rocblas_gemm_batched_kernelIDF16_Li16ELi16ELi32ELi32ELi8ELi32ELi8ELi8ELi32ELc84ELc67EKPKDF16_S3_KPDF16_EEvlllT_PT11_llS8_llS6_PT12_llPT13_lli
	.p2align	8
	.type	_ZN12_GLOBAL__N_127rocblas_gemm_batched_kernelIDF16_Li16ELi16ELi32ELi32ELi8ELi32ELi8ELi8ELi32ELc84ELc67EKPKDF16_S3_KPDF16_EEvlllT_PT11_llS8_llS6_PT12_llPT13_lli,@function
_ZN12_GLOBAL__N_127rocblas_gemm_batched_kernelIDF16_Li16ELi16ELi32ELi32ELi8ELi32ELi8ELi8ELi32ELc84ELc67EKPKDF16_S3_KPDF16_EEvlllT_PT11_llS8_llS6_PT12_llPT13_lli: ; @_ZN12_GLOBAL__N_127rocblas_gemm_batched_kernelIDF16_Li16ELi16ELi32ELi32ELi8ELi32ELi8ELi8ELi32ELc84ELc67EKPKDF16_S3_KPDF16_EEvlllT_PT11_llS8_llS6_PT12_llPT13_lli
; %bb.0:
	s_load_b32 s31, s[0:1], 0x88
	s_bfe_u32 s2, ttmp6, 0x40014
	s_lshr_b32 s3, ttmp7, 16
	s_add_co_i32 s2, s2, 1
	s_bfe_u32 s4, ttmp6, 0x40008
	s_mul_i32 s2, s3, s2
	s_getreg_b32 s28, hwreg(HW_REG_IB_STS2, 6, 4)
	s_add_co_i32 s4, s4, s2
	s_cmp_eq_u32 s28, 0
	s_cselect_b32 s2, s3, s4
	s_mov_b32 s3, 0
	s_wait_kmcnt 0x0
	s_cmp_ge_i32 s2, s31
	s_cbranch_scc1 .LBB74_11
; %bb.1:
	v_bfe_u32 v2, v0, 10, 10
	v_and_b32_e32 v6, 0x3ff, v0
	s_bfe_u32 s30, ttmp6, 0x4000c
	s_bfe_u32 s34, ttmp6, 0x40010
	s_clause 0x2
	s_load_b256 s[4:11], s[0:1], 0x20
	s_load_b128 s[24:27], s[0:1], 0x40
	s_load_b128 s[20:23], s[0:1], 0x78
	v_dual_mov_b32 v3, 0 :: v_dual_lshlrev_b32 v14, 4, v2
	s_and_b32 s33, ttmp7, 0xffff
	s_add_co_i32 s30, s30, 1
	s_add_co_i32 s34, s34, 1
	s_and_b32 s29, ttmp6, 15
	s_mul_i32 s30, ttmp9, s30
	s_mul_i32 s34, s33, s34
	s_bfe_u32 s35, ttmp6, 0x40004
	v_dual_add_nc_u32 v7, v14, v6 :: v_dual_bitop2_b32 v16, 7, v0 bitop3:0x40
	s_add_co_i32 s29, s29, s30
	s_add_co_i32 s35, s35, s34
	s_cmp_eq_u32 s28, 0
	s_delay_alu instid0(VALU_DEP_1)
	v_dual_lshrrev_b32 v8, 3, v7 :: v_dual_bitop2_b32 v15, 31, v7 bitop3:0x40
	s_cselect_b32 s28, ttmp9, s29
	s_cselect_b32 s30, s33, s35
	s_ashr_i32 s29, s28, 31
	s_load_b256 s[12:19], s[0:1], 0x58
	s_lshl_b64 s[34:35], s[28:29], 5
	s_delay_alu instid0(SALU_CYCLE_1)
	v_dual_mov_b32 v9, v3 :: v_dual_bitop2_b32 v0, s34, v15 bitop3:0x54
	v_mov_b32_e32 v1, s35
	s_load_b32 s33, s[0:1], 0x50
	v_add_nc_u32_e32 v23, 0x200, v14
	s_wait_kmcnt 0x0
	v_mad_nc_u64_u32 v[10:11], s24, v16, v[8:9]
	v_lshlrev_b32_e32 v9, 1, v15
	v_mul_u64_e32 v[12:13], s[6:7], v[0:1]
	s_lshl_b32 s6, s30, 5
	s_mov_b32 s7, s3
	s_load_b96 s[28:30], s[0:1], 0x10
	v_add_nc_u64_e32 v[4:5], s[6:7], v[2:3]
	v_dual_lshrrev_b32 v2, 5, v7 :: v_dual_lshlrev_b32 v7, 1, v16
	v_lshlrev_b32_e32 v22, 1, v6
	v_mad_u32 v11, s25, v16, v11
	s_delay_alu instid0(VALU_DEP_3)
	v_lshl_or_b32 v20, v2, 6, v9
	v_mul_u64_e32 v[0:1], s[20:21], v[4:5]
	v_mul_u64_e32 v[4:5], s[14:15], v[4:5]
	v_lshl_or_b32 v15, v8, 4, v7
	v_dual_mov_b32 v7, v3 :: v_dual_lshlrev_b32 v2, 1, v2
	s_cmp_eq_f16 s33, 0
	s_delay_alu instid0(VALU_DEP_2)
	v_add_nc_u32_e32 v21, 0x200, v15
	v_add_nc_u64_e32 v[8:9], s[6:7], v[10:11]
	s_cselect_b32 s36, -1, 0
	s_wait_xcnt 0x0
	s_lshl_b64 s[0:1], s[8:9], 1
	v_add_nc_u64_e32 v[10:11], s[34:35], v[6:7]
	s_lshl_b64 s[6:7], s[20:21], 4
	s_lshl_b64 s[8:9], s[14:15], 4
	;; [unrolled: 1-line block ×3, first 2 shown]
	v_lshlrev_b64_e32 v[6:7], 1, v[8:9]
	s_lshl_b64 s[20:21], s[22:23], 1
	s_lshl_b64 s[16:17], s[16:17], 1
	v_lshlrev_b64_e32 v[10:11], 1, v[10:11]
	v_lshl_add_u64 v[8:9], v[12:13], 1, s[0:1]
	s_wait_kmcnt 0x0
	v_cmp_gt_i64_e64 s0, s[28:29], 0
	v_cndmask_b32_e64 v13, 0, 1, s36
	v_lshl_add_u64 v[6:7], s[26:27], 1, v[6:7]
	v_add_nc_u64_e32 v[8:9], v[8:9], v[2:3]
	s_delay_alu instid0(VALU_DEP_3) | instskip(SKIP_1) | instid1(VALU_DEP_1)
	v_cmp_ne_u32_e64 s1, 1, v13
	v_cndmask_b32_e64 v12, 0, 1, s0
	v_cmp_ne_u32_e64 s0, 1, v12
	s_branch .LBB74_3
.LBB74_2:                               ;   in Loop: Header=BB74_3 Depth=1
	s_add_co_i32 s2, s2, 0x10000
	s_delay_alu instid0(SALU_CYCLE_1)
	s_cmp_lt_i32 s2, s31
	s_cbranch_scc0 .LBB74_11
.LBB74_3:                               ; =>This Loop Header: Depth=1
                                        ;     Child Loop BB74_5 Depth 2
	v_mov_b32_e32 v2, s2
	s_delay_alu instid0(VALU_DEP_2)
	s_and_b32 vcc_lo, exec_lo, s0
	s_clause 0x1
	global_load_b64 v[12:13], v2, s[12:13] scale_offset
	global_load_b64 v[14:15], v2, s[18:19] scale_offset
	s_cbranch_vccnz .LBB74_6
; %bb.4:                                ;   in Loop: Header=BB74_3 Depth=1
	s_lshl_b64 s[22:23], s[2:3], 3
	s_wait_xcnt 0x0
	v_dual_mov_b32 v2, 0 :: v_dual_mov_b32 v24, 0
	s_add_nc_u64 s[24:25], s[10:11], s[22:23]
	s_add_nc_u64 s[22:23], s[4:5], s[22:23]
	s_clause 0x1
	global_load_b64 v[16:17], v3, s[24:25]
	global_load_b64 v[18:19], v3, s[22:23]
	s_wait_xcnt 0x0
	s_mov_b64 s[22:23], 0
	s_wait_loadcnt 0x1
	v_add_nc_u64_e32 v[16:17], v[16:17], v[6:7]
	s_wait_loadcnt 0x0
	v_add_nc_u64_e32 v[18:19], v[18:19], v[8:9]
.LBB74_5:                               ;   Parent Loop BB74_3 Depth=1
                                        ; =>  This Inner Loop Header: Depth=2
	flat_load_u16 v25, v[18:19]
	s_add_nc_u64 s[22:23], s[22:23], 8
	s_wait_xcnt 0x0
	v_add_nc_u64_e32 v[18:19], 16, v[18:19]
	v_cmp_lt_i64_e64 s24, s[22:23], s[28:29]
	s_and_b32 vcc_lo, exec_lo, s24
	s_wait_loadcnt_dscnt 0x0
	ds_store_b16 v20, v25
	flat_load_u16 v25, v[16:17]
	s_wait_xcnt 0x0
	v_add_nc_u64_e32 v[16:17], s[14:15], v[16:17]
	s_wait_loadcnt_dscnt 0x0
	ds_store_b16 v21, v25
	s_wait_dscnt 0x0
	s_barrier_signal -1
	s_barrier_wait -1
	ds_load_u16 v25, v22
	ds_load_u16 v34, v22 offset:32
	ds_load_u16 v35, v22 offset:64
	;; [unrolled: 1-line block ×3, first 2 shown]
	ds_load_b128 v[26:29], v23
	ds_load_b128 v[30:33], v23 offset:256
	ds_load_u16 v37, v22 offset:128
	ds_load_u16 v38, v22 offset:160
	;; [unrolled: 1-line block ×12, first 2 shown]
	s_wait_dscnt 0x0
	s_barrier_signal -1
	s_barrier_wait -1
	v_perm_b32 v25, v25, v34, 0x5040100
	v_perm_b32 v34, v35, v36, 0x5040100
	s_delay_alu instid0(VALU_DEP_2) | instskip(SKIP_2) | instid1(VALU_DEP_3)
	v_pk_fma_f16 v24, v25, v26, v24 op_sel_hi:[1,0,1]
	v_pk_fma_f16 v2, v25, v30, v2 op_sel_hi:[1,0,1]
	v_perm_b32 v25, v37, v38, 0x5040100
	v_pk_fma_f16 v24, v34, v26, v24 op_sel:[0,1,0]
	s_delay_alu instid0(VALU_DEP_3) | instskip(SKIP_1) | instid1(VALU_DEP_3)
	v_pk_fma_f16 v2, v34, v30, v2 op_sel:[0,1,0]
	v_perm_b32 v26, v39, v40, 0x5040100
	v_pk_fma_f16 v24, v25, v27, v24 op_sel_hi:[1,0,1]
	s_delay_alu instid0(VALU_DEP_3) | instskip(SKIP_1) | instid1(VALU_DEP_3)
	v_pk_fma_f16 v2, v25, v31, v2 op_sel_hi:[1,0,1]
	v_perm_b32 v25, v41, v42, 0x5040100
	v_pk_fma_f16 v24, v26, v27, v24 op_sel:[0,1,0]
	s_delay_alu instid0(VALU_DEP_3) | instskip(SKIP_1) | instid1(VALU_DEP_3)
	v_pk_fma_f16 v2, v26, v31, v2 op_sel:[0,1,0]
	v_perm_b32 v26, v43, v44, 0x5040100
	v_pk_fma_f16 v24, v25, v28, v24 op_sel_hi:[1,0,1]
	s_delay_alu instid0(VALU_DEP_3) | instskip(SKIP_1) | instid1(VALU_DEP_3)
	v_pk_fma_f16 v2, v25, v32, v2 op_sel_hi:[1,0,1]
	v_perm_b32 v25, v45, v46, 0x5040100
	v_pk_fma_f16 v24, v26, v28, v24 op_sel:[0,1,0]
	s_delay_alu instid0(VALU_DEP_3) | instskip(SKIP_1) | instid1(VALU_DEP_3)
	v_pk_fma_f16 v2, v26, v32, v2 op_sel:[0,1,0]
	v_perm_b32 v26, v47, v48, 0x5040100
	v_pk_fma_f16 v24, v25, v29, v24 op_sel_hi:[1,0,1]
	s_delay_alu instid0(VALU_DEP_3) | instskip(NEXT) | instid1(VALU_DEP_2)
	v_pk_fma_f16 v2, v25, v33, v2 op_sel_hi:[1,0,1]
	v_pk_fma_f16 v24, v26, v29, v24 op_sel:[0,1,0]
	s_delay_alu instid0(VALU_DEP_2)
	v_pk_fma_f16 v2, v26, v33, v2 op_sel:[0,1,0]
	s_cbranch_vccnz .LBB74_5
	s_branch .LBB74_7
.LBB74_6:                               ;   in Loop: Header=BB74_3 Depth=1
	s_wait_xcnt 0x0
	v_dual_mov_b32 v24, 0 :: v_dual_mov_b32 v2, 0
.LBB74_7:                               ;   in Loop: Header=BB74_3 Depth=1
	s_wait_loadcnt 0x0
	v_add_nc_u64_e32 v[14:15], s[20:21], v[14:15]
	s_delay_alu instid0(VALU_DEP_2) | instskip(SKIP_1) | instid1(VALU_DEP_2)
	v_dual_lshrrev_b32 v19, 16, v24 :: v_dual_lshrrev_b32 v18, 16, v2
	s_and_b32 vcc_lo, exec_lo, s1
	v_lshl_add_u64 v[14:15], v[0:1], 1, v[14:15]
	s_delay_alu instid0(VALU_DEP_1)
	v_add_nc_u64_e32 v[16:17], v[14:15], v[10:11]
	v_lshl_add_u64 v[14:15], s[6:7], 1, v[14:15]
	s_cbranch_vccnz .LBB74_9
; %bb.8:                                ;   in Loop: Header=BB74_3 Depth=1
	s_delay_alu instid0(VALU_DEP_1)
	v_add_nc_u64_e32 v[26:27], v[14:15], v[10:11]
	v_mul_f16_e32 v25, s30, v19
	v_mul_f16_e32 v29, s30, v18
	;; [unrolled: 1-line block ×4, first 2 shown]
	s_clause 0x3
	flat_store_b16 v[16:17], v25
	flat_store_b16 v[16:17], v28 offset:32
	flat_store_b16 v[26:27], v29
	flat_store_b16 v[26:27], v30 offset:32
	s_cbranch_execnz .LBB74_2
	s_branch .LBB74_10
.LBB74_9:                               ;   in Loop: Header=BB74_3 Depth=1
.LBB74_10:                              ;   in Loop: Header=BB74_3 Depth=1
	v_add_nc_u64_e32 v[12:13], s[16:17], v[12:13]
	s_delay_alu instid0(VALU_DEP_2) | instskip(NEXT) | instid1(VALU_DEP_2)
	v_add_nc_u64_e32 v[14:15], v[14:15], v[10:11]
	v_lshl_add_u64 v[12:13], v[4:5], 1, v[12:13]
	s_wait_xcnt 0x0
	s_delay_alu instid0(VALU_DEP_1) | instskip(SKIP_1) | instid1(VALU_DEP_1)
	v_add_nc_u64_e32 v[26:27], v[12:13], v[10:11]
	v_lshl_add_u64 v[12:13], s[8:9], 1, v[12:13]
	v_add_nc_u64_e32 v[12:13], v[12:13], v[10:11]
	flat_load_u16 v25, v[26:27]
	s_wait_loadcnt_dscnt 0x0
	v_mul_f16_e32 v25, s33, v25
	s_delay_alu instid0(VALU_DEP_1) | instskip(SKIP_4) | instid1(VALU_DEP_1)
	v_fmac_f16_e32 v25, s30, v19
	flat_store_b16 v[16:17], v25
	flat_load_u16 v19, v[26:27] offset:32
	s_wait_loadcnt_dscnt 0x0
	v_mul_f16_e32 v19, s33, v19
	v_fmac_f16_e32 v19, s30, v24
	flat_store_b16 v[16:17], v19 offset:32
	flat_load_u16 v16, v[12:13]
	s_wait_loadcnt_dscnt 0x0
	v_mul_f16_e32 v16, s33, v16
	s_delay_alu instid0(VALU_DEP_1)
	v_fmac_f16_e32 v16, s30, v18
	flat_store_b16 v[14:15], v16
	flat_load_u16 v12, v[12:13] offset:32
	s_wait_loadcnt_dscnt 0x0
	s_wait_xcnt 0x0
	v_mul_f16_e32 v12, s33, v12
	s_delay_alu instid0(VALU_DEP_1)
	v_fmac_f16_e32 v12, s30, v2
	flat_store_b16 v[14:15], v12 offset:32
	s_branch .LBB74_2
.LBB74_11:
	s_endpgm
	.section	.rodata,"a",@progbits
	.p2align	6, 0x0
	.amdhsa_kernel _ZN12_GLOBAL__N_127rocblas_gemm_batched_kernelIDF16_Li16ELi16ELi32ELi32ELi8ELi32ELi8ELi8ELi32ELc84ELc67EKPKDF16_S3_KPDF16_EEvlllT_PT11_llS8_llS6_PT12_llPT13_lli
		.amdhsa_group_segment_fixed_size 1024
		.amdhsa_private_segment_fixed_size 0
		.amdhsa_kernarg_size 140
		.amdhsa_user_sgpr_count 2
		.amdhsa_user_sgpr_dispatch_ptr 0
		.amdhsa_user_sgpr_queue_ptr 0
		.amdhsa_user_sgpr_kernarg_segment_ptr 1
		.amdhsa_user_sgpr_dispatch_id 0
		.amdhsa_user_sgpr_kernarg_preload_length 0
		.amdhsa_user_sgpr_kernarg_preload_offset 0
		.amdhsa_user_sgpr_private_segment_size 0
		.amdhsa_wavefront_size32 1
		.amdhsa_uses_dynamic_stack 0
		.amdhsa_enable_private_segment 0
		.amdhsa_system_sgpr_workgroup_id_x 1
		.amdhsa_system_sgpr_workgroup_id_y 1
		.amdhsa_system_sgpr_workgroup_id_z 1
		.amdhsa_system_sgpr_workgroup_info 0
		.amdhsa_system_vgpr_workitem_id 1
		.amdhsa_next_free_vgpr 49
		.amdhsa_next_free_sgpr 37
		.amdhsa_named_barrier_count 0
		.amdhsa_reserve_vcc 1
		.amdhsa_float_round_mode_32 0
		.amdhsa_float_round_mode_16_64 0
		.amdhsa_float_denorm_mode_32 3
		.amdhsa_float_denorm_mode_16_64 3
		.amdhsa_fp16_overflow 0
		.amdhsa_memory_ordered 1
		.amdhsa_forward_progress 1
		.amdhsa_inst_pref_size 12
		.amdhsa_round_robin_scheduling 0
		.amdhsa_exception_fp_ieee_invalid_op 0
		.amdhsa_exception_fp_denorm_src 0
		.amdhsa_exception_fp_ieee_div_zero 0
		.amdhsa_exception_fp_ieee_overflow 0
		.amdhsa_exception_fp_ieee_underflow 0
		.amdhsa_exception_fp_ieee_inexact 0
		.amdhsa_exception_int_div_zero 0
	.end_amdhsa_kernel
	.section	.text._ZN12_GLOBAL__N_127rocblas_gemm_batched_kernelIDF16_Li16ELi16ELi32ELi32ELi8ELi32ELi8ELi8ELi32ELc84ELc67EKPKDF16_S3_KPDF16_EEvlllT_PT11_llS8_llS6_PT12_llPT13_lli,"axG",@progbits,_ZN12_GLOBAL__N_127rocblas_gemm_batched_kernelIDF16_Li16ELi16ELi32ELi32ELi8ELi32ELi8ELi8ELi32ELc84ELc67EKPKDF16_S3_KPDF16_EEvlllT_PT11_llS8_llS6_PT12_llPT13_lli,comdat
.Lfunc_end74:
	.size	_ZN12_GLOBAL__N_127rocblas_gemm_batched_kernelIDF16_Li16ELi16ELi32ELi32ELi8ELi32ELi8ELi8ELi32ELc84ELc67EKPKDF16_S3_KPDF16_EEvlllT_PT11_llS8_llS6_PT12_llPT13_lli, .Lfunc_end74-_ZN12_GLOBAL__N_127rocblas_gemm_batched_kernelIDF16_Li16ELi16ELi32ELi32ELi8ELi32ELi8ELi8ELi32ELc84ELc67EKPKDF16_S3_KPDF16_EEvlllT_PT11_llS8_llS6_PT12_llPT13_lli
                                        ; -- End function
	.set _ZN12_GLOBAL__N_127rocblas_gemm_batched_kernelIDF16_Li16ELi16ELi32ELi32ELi8ELi32ELi8ELi8ELi32ELc84ELc67EKPKDF16_S3_KPDF16_EEvlllT_PT11_llS8_llS6_PT12_llPT13_lli.num_vgpr, 49
	.set _ZN12_GLOBAL__N_127rocblas_gemm_batched_kernelIDF16_Li16ELi16ELi32ELi32ELi8ELi32ELi8ELi8ELi32ELc84ELc67EKPKDF16_S3_KPDF16_EEvlllT_PT11_llS8_llS6_PT12_llPT13_lli.num_agpr, 0
	.set _ZN12_GLOBAL__N_127rocblas_gemm_batched_kernelIDF16_Li16ELi16ELi32ELi32ELi8ELi32ELi8ELi8ELi32ELc84ELc67EKPKDF16_S3_KPDF16_EEvlllT_PT11_llS8_llS6_PT12_llPT13_lli.numbered_sgpr, 37
	.set _ZN12_GLOBAL__N_127rocblas_gemm_batched_kernelIDF16_Li16ELi16ELi32ELi32ELi8ELi32ELi8ELi8ELi32ELc84ELc67EKPKDF16_S3_KPDF16_EEvlllT_PT11_llS8_llS6_PT12_llPT13_lli.num_named_barrier, 0
	.set _ZN12_GLOBAL__N_127rocblas_gemm_batched_kernelIDF16_Li16ELi16ELi32ELi32ELi8ELi32ELi8ELi8ELi32ELc84ELc67EKPKDF16_S3_KPDF16_EEvlllT_PT11_llS8_llS6_PT12_llPT13_lli.private_seg_size, 0
	.set _ZN12_GLOBAL__N_127rocblas_gemm_batched_kernelIDF16_Li16ELi16ELi32ELi32ELi8ELi32ELi8ELi8ELi32ELc84ELc67EKPKDF16_S3_KPDF16_EEvlllT_PT11_llS8_llS6_PT12_llPT13_lli.uses_vcc, 1
	.set _ZN12_GLOBAL__N_127rocblas_gemm_batched_kernelIDF16_Li16ELi16ELi32ELi32ELi8ELi32ELi8ELi8ELi32ELc84ELc67EKPKDF16_S3_KPDF16_EEvlllT_PT11_llS8_llS6_PT12_llPT13_lli.uses_flat_scratch, 1
	.set _ZN12_GLOBAL__N_127rocblas_gemm_batched_kernelIDF16_Li16ELi16ELi32ELi32ELi8ELi32ELi8ELi8ELi32ELc84ELc67EKPKDF16_S3_KPDF16_EEvlllT_PT11_llS8_llS6_PT12_llPT13_lli.has_dyn_sized_stack, 0
	.set _ZN12_GLOBAL__N_127rocblas_gemm_batched_kernelIDF16_Li16ELi16ELi32ELi32ELi8ELi32ELi8ELi8ELi32ELc84ELc67EKPKDF16_S3_KPDF16_EEvlllT_PT11_llS8_llS6_PT12_llPT13_lli.has_recursion, 0
	.set _ZN12_GLOBAL__N_127rocblas_gemm_batched_kernelIDF16_Li16ELi16ELi32ELi32ELi8ELi32ELi8ELi8ELi32ELc84ELc67EKPKDF16_S3_KPDF16_EEvlllT_PT11_llS8_llS6_PT12_llPT13_lli.has_indirect_call, 0
	.section	.AMDGPU.csdata,"",@progbits
; Kernel info:
; codeLenInByte = 1532
; TotalNumSgprs: 39
; NumVgprs: 49
; ScratchSize: 0
; MemoryBound: 0
; FloatMode: 240
; IeeeMode: 1
; LDSByteSize: 1024 bytes/workgroup (compile time only)
; SGPRBlocks: 0
; VGPRBlocks: 3
; NumSGPRsForWavesPerEU: 39
; NumVGPRsForWavesPerEU: 49
; NamedBarCnt: 0
; Occupancy: 16
; WaveLimiterHint : 1
; COMPUTE_PGM_RSRC2:SCRATCH_EN: 0
; COMPUTE_PGM_RSRC2:USER_SGPR: 2
; COMPUTE_PGM_RSRC2:TRAP_HANDLER: 0
; COMPUTE_PGM_RSRC2:TGID_X_EN: 1
; COMPUTE_PGM_RSRC2:TGID_Y_EN: 1
; COMPUTE_PGM_RSRC2:TGID_Z_EN: 1
; COMPUTE_PGM_RSRC2:TIDIG_COMP_CNT: 1
	.section	.text._ZN12_GLOBAL__N_135rocblas_gemm_batched_general_kernelIDF16_Li16ELi16ELi32ELi32ELi8ELi32ELi8ELi8ELi32ELc78ELc78EKPKDF16_S3_KPDF16_EEvlllT_PT11_llS8_llS6_PT12_llPT13_lli,"axG",@progbits,_ZN12_GLOBAL__N_135rocblas_gemm_batched_general_kernelIDF16_Li16ELi16ELi32ELi32ELi8ELi32ELi8ELi8ELi32ELc78ELc78EKPKDF16_S3_KPDF16_EEvlllT_PT11_llS8_llS6_PT12_llPT13_lli,comdat
	.globl	_ZN12_GLOBAL__N_135rocblas_gemm_batched_general_kernelIDF16_Li16ELi16ELi32ELi32ELi8ELi32ELi8ELi8ELi32ELc78ELc78EKPKDF16_S3_KPDF16_EEvlllT_PT11_llS8_llS6_PT12_llPT13_lli ; -- Begin function _ZN12_GLOBAL__N_135rocblas_gemm_batched_general_kernelIDF16_Li16ELi16ELi32ELi32ELi8ELi32ELi8ELi8ELi32ELc78ELc78EKPKDF16_S3_KPDF16_EEvlllT_PT11_llS8_llS6_PT12_llPT13_lli
	.p2align	8
	.type	_ZN12_GLOBAL__N_135rocblas_gemm_batched_general_kernelIDF16_Li16ELi16ELi32ELi32ELi8ELi32ELi8ELi8ELi32ELc78ELc78EKPKDF16_S3_KPDF16_EEvlllT_PT11_llS8_llS6_PT12_llPT13_lli,@function
_ZN12_GLOBAL__N_135rocblas_gemm_batched_general_kernelIDF16_Li16ELi16ELi32ELi32ELi8ELi32ELi8ELi8ELi32ELc78ELc78EKPKDF16_S3_KPDF16_EEvlllT_PT11_llS8_llS6_PT12_llPT13_lli: ; @_ZN12_GLOBAL__N_135rocblas_gemm_batched_general_kernelIDF16_Li16ELi16ELi32ELi32ELi8ELi32ELi8ELi8ELi32ELc78ELc78EKPKDF16_S3_KPDF16_EEvlllT_PT11_llS8_llS6_PT12_llPT13_lli
; %bb.0:
	s_load_b32 s33, s[0:1], 0x88
	s_bfe_u32 s2, ttmp6, 0x40014
	s_lshr_b32 s3, ttmp7, 16
	s_add_co_i32 s2, s2, 1
	s_bfe_u32 s5, ttmp6, 0x40008
	s_mul_i32 s4, s3, s2
	s_getreg_b32 s2, hwreg(HW_REG_IB_STS2, 6, 4)
	s_add_co_i32 s5, s5, s4
	s_cmp_eq_u32 s2, 0
	s_mov_b32 s35, 0
	s_cselect_b32 s34, s3, s5
	s_wait_kmcnt 0x0
	s_cmp_ge_i32 s34, s33
	s_cbranch_scc1 .LBB75_35
; %bb.1:
	v_bfe_u32 v4, v0, 10, 10
	v_mov_b32_e32 v3, 0
	v_and_b32_e32 v10, 0x3ff, v0
	s_clause 0x1
	s_load_b256 s[8:15], s[0:1], 0x20
	s_load_b128 s[4:7], s[0:1], 0x40
	s_bfe_u32 s16, ttmp6, 0x4000c
	v_lshlrev_b32_e32 v21, 4, v4
	s_bfe_u32 s18, ttmp6, 0x40010
	s_and_b32 s17, ttmp7, 0xffff
	s_add_co_i32 s16, s16, 1
	s_add_co_i32 s18, s18, 1
	v_dual_add_nc_u32 v1, v21, v10 :: v_dual_mov_b32 v7, v3
	s_and_b32 s3, ttmp6, 15
	s_mul_i32 s16, ttmp9, s16
	s_mul_i32 s18, s17, s18
	s_bfe_u32 s19, ttmp6, 0x40004
	s_add_co_i32 s3, s3, s16
	s_add_co_i32 s19, s19, s18
	s_cmp_eq_u32 s2, 0
	v_lshrrev_b32_e32 v6, 3, v1
	s_cselect_b32 s2, s17, s19
	s_cselect_b32 s42, ttmp9, s3
	s_lshl_b32 s2, s2, 5
	s_mov_b32 s3, s35
	s_clause 0x1
	s_load_b128 s[28:31], s[0:1], 0x0
	s_load_b96 s[36:38], s[0:1], 0x10
	v_add_nc_u64_e32 v[12:13], s[2:3], v[6:7]
	s_clause 0x2
	s_load_b32 s39, s[0:1], 0x50
	s_load_b128 s[24:27], s[0:1], 0x78
	s_load_b256 s[16:23], s[0:1], 0x58
	v_dual_mov_b32 v5, v3 :: v_dual_lshrrev_b32 v2, 5, v1
	s_ashr_i32 s43, s42, 31
	v_dual_mov_b32 v11, v3 :: v_dual_bitop2_b32 v7, 31, v1 bitop3:0x40
	s_wait_kmcnt 0x0
	v_mul_u64_e32 v[14:15], s[4:5], v[12:13]
	v_mul_u64_e32 v[16:17], s[10:11], v[2:3]
	s_lshl_b64 s[4:5], s[42:43], 5
	s_delay_alu instid0(SALU_CYCLE_1) | instskip(SKIP_2) | instid1(VALU_DEP_3)
	v_dual_mov_b32 v9, s5 :: v_dual_bitop2_b32 v0, 7, v0 bitop3:0x40
	v_add_nc_u64_e32 v[18:19], s[2:3], v[4:5]
	v_dual_mov_b32 v1, v3 :: v_dual_bitop2_b32 v8, s4, v7 bitop3:0x54
	v_dual_lshlrev_b32 v20, 1, v0 :: v_dual_lshlrev_b32 v22, 1, v7
	v_lshlrev_b32_e32 v26, 1, v10
	s_delay_alu instid0(VALU_DEP_3) | instskip(SKIP_1) | instid1(VALU_DEP_4)
	v_cmp_gt_i64_e64 s0, s[28:29], v[8:9]
	v_add_nc_u64_e32 v[4:5], s[4:5], v[10:11]
	v_lshl_or_b32 v11, v6, 4, v20
	v_mul_u64_e32 v[6:7], s[24:25], v[18:19]
	v_mul_u64_e32 v[8:9], s[18:19], v[18:19]
	v_cmp_gt_i64_e64 s1, s[30:31], v[12:13]
	s_cmp_eq_f16 s39, 0
	v_add_nc_u32_e32 v25, 0x200, v11
	v_add_nc_u64_e32 v[12:13], 16, v[4:5]
	v_cmp_gt_i64_e64 s3, s[28:29], v[4:5]
	s_cselect_b32 s40, -1, 0
	s_lshl_b64 s[6:7], s[6:7], 1
	s_lshl_b64 s[12:13], s[12:13], 1
	v_add_nc_u64_e32 v[10:11], 16, v[18:19]
	v_add_nc_u32_e32 v27, 0x200, v21
	v_cmp_gt_i64_e64 s4, s[28:29], v[12:13]
	s_lshl_b64 s[28:29], s[42:43], 6
	v_dual_mov_b32 v21, v3 :: v_dual_mov_b32 v23, v3
	v_cmp_gt_i64_e64 s2, s[30:31], v[18:19]
	v_cmp_gt_i64_e64 s5, s[30:31], v[10:11]
	v_lshl_add_u64 v[12:13], v[14:15], 1, s[6:7]
	s_add_nc_u64 s[6:7], s[12:13], s[28:29]
	v_cmp_gt_i64_e64 s28, s[36:37], 0
	v_lshl_add_u64 v[14:15], v[16:17], 1, s[6:7]
	v_lshl_or_b32 v24, v2, 6, v22
	v_add_nc_u64_e32 v[10:11], v[12:13], v[20:21]
	s_lshl_b64 s[6:7], s[24:25], 4
	s_lshl_b64 s[12:13], s[18:19], 4
	v_add_nc_u64_e32 v[12:13], v[14:15], v[22:23]
	s_lshl_b64 s[10:11], s[10:11], 4
	s_lshl_b64 s[18:19], s[26:27], 1
	;; [unrolled: 1-line block ×3, first 2 shown]
	s_branch .LBB75_4
.LBB75_2:                               ;   in Loop: Header=BB75_4 Depth=1
	s_wait_xcnt 0x0
	s_or_b32 exec_lo, exec_lo, s24
.LBB75_3:                               ;   in Loop: Header=BB75_4 Depth=1
	s_add_co_i32 s34, s34, 0x10000
	s_delay_alu instid0(SALU_CYCLE_1)
	s_cmp_lt_i32 s34, s33
	s_cbranch_scc0 .LBB75_35
.LBB75_4:                               ; =>This Loop Header: Depth=1
                                        ;     Child Loop BB75_7 Depth 2
	s_wait_xcnt 0x0
	v_mov_b32_e32 v18, s34
	s_and_not1_b32 vcc_lo, exec_lo, s28
	s_clause 0x1
	global_load_b64 v[14:15], v18, s[16:17] scale_offset
	global_load_b64 v[16:17], v18, s[22:23] scale_offset
	s_cbranch_vccnz .LBB75_11
; %bb.5:                                ;   in Loop: Header=BB75_4 Depth=1
	s_lshl_b64 s[24:25], s[34:35], 3
	v_dual_mov_b32 v29, 0 :: v_dual_mov_b32 v28, 0
	s_add_nc_u64 s[26:27], s[14:15], s[24:25]
	s_add_nc_u64 s[24:25], s[8:9], s[24:25]
	s_clause 0x1
	global_load_b64 v[18:19], v3, s[26:27]
	global_load_b64 v[20:21], v3, s[24:25]
	s_wait_xcnt 0x0
	s_mov_b64 s[24:25], 0
	s_wait_loadcnt 0x1
	v_add_nc_u64_e32 v[18:19], v[18:19], v[10:11]
	s_wait_loadcnt 0x0
	v_add_nc_u64_e32 v[20:21], v[20:21], v[12:13]
	s_branch .LBB75_7
.LBB75_6:                               ;   in Loop: Header=BB75_7 Depth=2
	s_wait_xcnt 0x0
	s_or_b32 exec_lo, exec_lo, s26
	s_wait_loadcnt_dscnt 0x0
	ds_store_b16 v25, v23
	s_wait_dscnt 0x0
	s_barrier_signal -1
	s_barrier_wait -1
	ds_load_u16 v22, v26
	ds_load_u16 v23, v26 offset:32
	ds_load_u16 v38, v26 offset:64
	;; [unrolled: 1-line block ×3, first 2 shown]
	ds_load_b128 v[30:33], v27
	ds_load_b128 v[34:37], v27 offset:256
	ds_load_u16 v40, v26 offset:128
	ds_load_u16 v41, v26 offset:160
	;; [unrolled: 1-line block ×6, first 2 shown]
	s_add_nc_u64 s[24:25], s[24:25], 8
	v_add_nc_u64_e32 v[18:19], 16, v[18:19]
	v_cmp_lt_i64_e64 s26, s[24:25], s[36:37]
	v_add_nc_u64_e32 v[20:21], s[10:11], v[20:21]
	s_wait_dscnt 0xa
	v_perm_b32 v22, v23, v22, 0x5040100
	ds_load_u16 v23, v26 offset:320
	ds_load_u16 v46, v26 offset:352
	s_wait_dscnt 0xa
	v_perm_b32 v38, v39, v38, 0x5040100
	s_and_b32 vcc_lo, exec_lo, s26
	s_wait_dscnt 0x9
	v_pk_fma_f16 v29, v22, v30, v29 op_sel_hi:[1,0,1]
	s_wait_dscnt 0x8
	v_pk_fma_f16 v22, v22, v34, v28 op_sel_hi:[1,0,1]
	ds_load_u16 v28, v26 offset:384
	ds_load_u16 v39, v26 offset:416
	s_wait_dscnt 0x8
	v_perm_b32 v40, v41, v40, 0x5040100
	v_pk_fma_f16 v29, v38, v30, v29 op_sel:[0,1,0]
	v_pk_fma_f16 v22, v38, v34, v22 op_sel:[0,1,0]
	ds_load_u16 v30, v26 offset:448
	ds_load_u16 v34, v26 offset:480
	s_wait_dscnt 0x8
	v_perm_b32 v38, v43, v42, 0x5040100
	s_wait_dscnt 0x0
	v_pk_fma_f16 v29, v40, v31, v29 op_sel_hi:[1,0,1]
	v_pk_fma_f16 v22, v40, v35, v22 op_sel_hi:[1,0,1]
	v_perm_b32 v40, v45, v44, 0x5040100
	s_barrier_signal -1
	s_barrier_wait -1
	v_pk_fma_f16 v29, v38, v31, v29 op_sel:[0,1,0]
	v_pk_fma_f16 v22, v38, v35, v22 op_sel:[0,1,0]
	v_perm_b32 v23, v46, v23, 0x5040100
	s_delay_alu instid0(VALU_DEP_3) | instskip(NEXT) | instid1(VALU_DEP_3)
	v_pk_fma_f16 v29, v40, v32, v29 op_sel_hi:[1,0,1]
	v_pk_fma_f16 v22, v40, v36, v22 op_sel_hi:[1,0,1]
	v_perm_b32 v28, v39, v28, 0x5040100
	s_delay_alu instid0(VALU_DEP_3) | instskip(NEXT) | instid1(VALU_DEP_3)
	v_pk_fma_f16 v29, v23, v32, v29 op_sel:[0,1,0]
	v_pk_fma_f16 v22, v23, v36, v22 op_sel:[0,1,0]
	v_perm_b32 v23, v34, v30, 0x5040100
	s_delay_alu instid0(VALU_DEP_3) | instskip(NEXT) | instid1(VALU_DEP_3)
	v_pk_fma_f16 v29, v28, v33, v29 op_sel_hi:[1,0,1]
	v_pk_fma_f16 v22, v28, v37, v22 op_sel_hi:[1,0,1]
	s_delay_alu instid0(VALU_DEP_2) | instskip(NEXT) | instid1(VALU_DEP_2)
	v_pk_fma_f16 v29, v23, v33, v29 op_sel:[0,1,0]
	v_pk_fma_f16 v28, v23, v37, v22 op_sel:[0,1,0]
	s_cbranch_vccz .LBB75_12
.LBB75_7:                               ;   Parent Loop BB75_4 Depth=1
                                        ; =>  This Inner Loop Header: Depth=2
	v_add_nc_u64_e32 v[22:23], s[24:25], v[2:3]
	s_delay_alu instid0(VALU_DEP_1) | instskip(SKIP_2) | instid1(SALU_CYCLE_1)
	v_cmp_gt_i64_e32 vcc_lo, s[36:37], v[22:23]
	v_mov_b32_e32 v22, 0
	s_and_b32 s27, s0, vcc_lo
	s_and_saveexec_b32 s26, s27
	s_cbranch_execz .LBB75_9
; %bb.8:                                ;   in Loop: Header=BB75_7 Depth=2
	flat_load_u16 v22, v[20:21]
.LBB75_9:                               ;   in Loop: Header=BB75_7 Depth=2
	s_wait_xcnt 0x0
	s_or_b32 exec_lo, exec_lo, s26
	v_add_nc_u64_e32 v[30:31], s[24:25], v[0:1]
	v_mov_b32_e32 v23, 0
	s_wait_loadcnt_dscnt 0x0
	ds_store_b16 v24, v22
	v_cmp_gt_i64_e32 vcc_lo, s[36:37], v[30:31]
	s_and_b32 s27, vcc_lo, s1
	s_delay_alu instid0(SALU_CYCLE_1)
	s_and_saveexec_b32 s26, s27
	s_cbranch_execz .LBB75_6
; %bb.10:                               ;   in Loop: Header=BB75_7 Depth=2
	flat_load_u16 v23, v[18:19]
	s_branch .LBB75_6
.LBB75_11:                              ;   in Loop: Header=BB75_4 Depth=1
	v_dual_mov_b32 v28, 0 :: v_dual_mov_b32 v29, 0
.LBB75_12:                              ;   in Loop: Header=BB75_4 Depth=1
	s_wait_loadcnt 0x0
	v_add_nc_u64_e32 v[16:17], s[18:19], v[16:17]
	s_and_not1_b32 vcc_lo, exec_lo, s40
	s_cbranch_vccnz .LBB75_17
; %bb.13:                               ;   in Loop: Header=BB75_4 Depth=1
	s_wait_xcnt 0x0
	s_and_saveexec_b32 s24, s2
	s_cbranch_execz .LBB75_24
; %bb.14:                               ;   in Loop: Header=BB75_4 Depth=1
	s_delay_alu instid0(VALU_DEP_1) | instskip(NEXT) | instid1(VALU_DEP_1)
	v_lshl_add_u64 v[18:19], v[6:7], 1, v[16:17]
	v_lshl_add_u64 v[20:21], v[4:5], 1, v[18:19]
	s_and_saveexec_b32 s25, s3
	s_cbranch_execnz .LBB75_18
; %bb.15:                               ;   in Loop: Header=BB75_4 Depth=1
	s_or_b32 exec_lo, exec_lo, s25
	s_and_saveexec_b32 s25, s4
	s_cbranch_execnz .LBB75_19
.LBB75_16:                              ;   in Loop: Header=BB75_4 Depth=1
	s_or_b32 exec_lo, exec_lo, s25
	s_delay_alu instid0(SALU_CYCLE_1)
	s_and_b32 exec_lo, exec_lo, s5
	s_cbranch_execnz .LBB75_20
	s_branch .LBB75_24
.LBB75_17:                              ;   in Loop: Header=BB75_4 Depth=1
	s_branch .LBB75_25
.LBB75_18:                              ;   in Loop: Header=BB75_4 Depth=1
	v_mul_f16_e32 v22, s38, v29
	flat_store_b16 v[20:21], v22
	s_wait_xcnt 0x0
	s_or_b32 exec_lo, exec_lo, s25
	s_and_saveexec_b32 s25, s4
	s_cbranch_execz .LBB75_16
.LBB75_19:                              ;   in Loop: Header=BB75_4 Depth=1
	v_lshrrev_b32_e32 v22, 16, v29
	s_delay_alu instid0(VALU_DEP_1) | instskip(SKIP_3) | instid1(SALU_CYCLE_1)
	v_mul_f16_e32 v22, s38, v22
	flat_store_b16 v[20:21], v22 offset:32
	s_wait_xcnt 0x0
	s_or_b32 exec_lo, exec_lo, s25
	s_and_b32 exec_lo, exec_lo, s5
	s_cbranch_execz .LBB75_24
.LBB75_20:                              ;   in Loop: Header=BB75_4 Depth=1
	v_lshl_add_u64 v[18:19], s[6:7], 1, v[18:19]
	s_delay_alu instid0(VALU_DEP_1)
	v_lshl_add_u64 v[18:19], v[4:5], 1, v[18:19]
	s_and_saveexec_b32 s25, s3
	s_cbranch_execz .LBB75_22
; %bb.21:                               ;   in Loop: Header=BB75_4 Depth=1
	v_mul_f16_e32 v20, s38, v28
	flat_store_b16 v[18:19], v20
.LBB75_22:                              ;   in Loop: Header=BB75_4 Depth=1
	s_wait_xcnt 0x0
	s_or_b32 exec_lo, exec_lo, s25
	s_delay_alu instid0(SALU_CYCLE_1)
	s_and_b32 exec_lo, exec_lo, s4
	s_cbranch_execz .LBB75_24
; %bb.23:                               ;   in Loop: Header=BB75_4 Depth=1
	v_lshrrev_b32_e32 v20, 16, v28
	s_delay_alu instid0(VALU_DEP_1)
	v_mul_f16_e32 v20, s38, v20
	flat_store_b16 v[18:19], v20 offset:32
.LBB75_24:                              ;   in Loop: Header=BB75_4 Depth=1
	s_wait_xcnt 0x0
	s_or_b32 exec_lo, exec_lo, s24
	s_cbranch_execnz .LBB75_3
.LBB75_25:                              ;   in Loop: Header=BB75_4 Depth=1
	s_wait_xcnt 0x0
	s_and_saveexec_b32 s24, s2
	s_cbranch_execz .LBB75_2
; %bb.26:                               ;   in Loop: Header=BB75_4 Depth=1
	v_add_nc_u64_e32 v[18:19], s[20:21], v[14:15]
	v_lshlrev_b64_e32 v[14:15], 1, v[4:5]
	v_lshl_add_u64 v[16:17], v[6:7], 1, v[16:17]
	s_delay_alu instid0(VALU_DEP_3) | instskip(NEXT) | instid1(VALU_DEP_2)
	v_lshl_add_u64 v[18:19], v[8:9], 1, v[18:19]
	v_add_nc_u64_e32 v[20:21], v[16:17], v[14:15]
	s_delay_alu instid0(VALU_DEP_2)
	v_add_nc_u64_e32 v[22:23], v[18:19], v[14:15]
	s_and_saveexec_b32 s25, s3
	s_cbranch_execnz .LBB75_29
; %bb.27:                               ;   in Loop: Header=BB75_4 Depth=1
	s_or_b32 exec_lo, exec_lo, s25
	s_and_saveexec_b32 s25, s4
	s_cbranch_execnz .LBB75_30
.LBB75_28:                              ;   in Loop: Header=BB75_4 Depth=1
	s_or_b32 exec_lo, exec_lo, s25
	s_delay_alu instid0(SALU_CYCLE_1)
	s_and_b32 exec_lo, exec_lo, s5
	s_cbranch_execz .LBB75_2
	s_branch .LBB75_31
.LBB75_29:                              ;   in Loop: Header=BB75_4 Depth=1
	flat_load_u16 v30, v[22:23]
	s_wait_loadcnt_dscnt 0x0
	v_mul_f16_e32 v30, s39, v30
	s_delay_alu instid0(VALU_DEP_1)
	v_fmac_f16_e32 v30, s38, v29
	flat_store_b16 v[20:21], v30
	s_wait_xcnt 0x0
	s_or_b32 exec_lo, exec_lo, s25
	s_and_saveexec_b32 s25, s4
	s_cbranch_execz .LBB75_28
.LBB75_30:                              ;   in Loop: Header=BB75_4 Depth=1
	flat_load_u16 v22, v[22:23] offset:32
	s_wait_xcnt 0x0
	v_lshrrev_b32_e32 v23, 16, v29
	s_wait_loadcnt_dscnt 0x0
	v_mul_f16_e32 v22, s39, v22
	s_delay_alu instid0(VALU_DEP_1) | instskip(SKIP_3) | instid1(SALU_CYCLE_1)
	v_fmac_f16_e32 v22, s38, v23
	flat_store_b16 v[20:21], v22 offset:32
	s_wait_xcnt 0x0
	s_or_b32 exec_lo, exec_lo, s25
	s_and_b32 exec_lo, exec_lo, s5
	s_cbranch_execz .LBB75_2
.LBB75_31:                              ;   in Loop: Header=BB75_4 Depth=1
	v_lshl_add_u64 v[18:19], s[12:13], 1, v[18:19]
	v_lshl_add_u64 v[20:21], s[6:7], 1, v[16:17]
	s_delay_alu instid0(VALU_DEP_2) | instskip(NEXT) | instid1(VALU_DEP_2)
	v_add_nc_u64_e32 v[16:17], v[18:19], v[14:15]
	v_add_nc_u64_e32 v[14:15], v[20:21], v[14:15]
	s_and_saveexec_b32 s25, s3
	s_cbranch_execz .LBB75_33
; %bb.32:                               ;   in Loop: Header=BB75_4 Depth=1
	flat_load_u16 v18, v[16:17]
	s_wait_loadcnt_dscnt 0x0
	v_mul_f16_e32 v18, s39, v18
	s_delay_alu instid0(VALU_DEP_1)
	v_fmac_f16_e32 v18, s38, v28
	flat_store_b16 v[14:15], v18
.LBB75_33:                              ;   in Loop: Header=BB75_4 Depth=1
	s_wait_xcnt 0x0
	s_or_b32 exec_lo, exec_lo, s25
	s_delay_alu instid0(SALU_CYCLE_1)
	s_and_b32 exec_lo, exec_lo, s4
	s_cbranch_execz .LBB75_2
; %bb.34:                               ;   in Loop: Header=BB75_4 Depth=1
	flat_load_u16 v16, v[16:17] offset:32
	s_wait_xcnt 0x0
	v_lshrrev_b32_e32 v17, 16, v28
	s_wait_loadcnt_dscnt 0x0
	v_mul_f16_e32 v16, s39, v16
	s_delay_alu instid0(VALU_DEP_1)
	v_fmac_f16_e32 v16, s38, v17
	flat_store_b16 v[14:15], v16 offset:32
	s_branch .LBB75_2
.LBB75_35:
	s_endpgm
	.section	.rodata,"a",@progbits
	.p2align	6, 0x0
	.amdhsa_kernel _ZN12_GLOBAL__N_135rocblas_gemm_batched_general_kernelIDF16_Li16ELi16ELi32ELi32ELi8ELi32ELi8ELi8ELi32ELc78ELc78EKPKDF16_S3_KPDF16_EEvlllT_PT11_llS8_llS6_PT12_llPT13_lli
		.amdhsa_group_segment_fixed_size 1024
		.amdhsa_private_segment_fixed_size 0
		.amdhsa_kernarg_size 140
		.amdhsa_user_sgpr_count 2
		.amdhsa_user_sgpr_dispatch_ptr 0
		.amdhsa_user_sgpr_queue_ptr 0
		.amdhsa_user_sgpr_kernarg_segment_ptr 1
		.amdhsa_user_sgpr_dispatch_id 0
		.amdhsa_user_sgpr_kernarg_preload_length 0
		.amdhsa_user_sgpr_kernarg_preload_offset 0
		.amdhsa_user_sgpr_private_segment_size 0
		.amdhsa_wavefront_size32 1
		.amdhsa_uses_dynamic_stack 0
		.amdhsa_enable_private_segment 0
		.amdhsa_system_sgpr_workgroup_id_x 1
		.amdhsa_system_sgpr_workgroup_id_y 1
		.amdhsa_system_sgpr_workgroup_id_z 1
		.amdhsa_system_sgpr_workgroup_info 0
		.amdhsa_system_vgpr_workitem_id 1
		.amdhsa_next_free_vgpr 47
		.amdhsa_next_free_sgpr 44
		.amdhsa_named_barrier_count 0
		.amdhsa_reserve_vcc 1
		.amdhsa_float_round_mode_32 0
		.amdhsa_float_round_mode_16_64 0
		.amdhsa_float_denorm_mode_32 3
		.amdhsa_float_denorm_mode_16_64 3
		.amdhsa_fp16_overflow 0
		.amdhsa_memory_ordered 1
		.amdhsa_forward_progress 1
		.amdhsa_inst_pref_size 15
		.amdhsa_round_robin_scheduling 0
		.amdhsa_exception_fp_ieee_invalid_op 0
		.amdhsa_exception_fp_denorm_src 0
		.amdhsa_exception_fp_ieee_div_zero 0
		.amdhsa_exception_fp_ieee_overflow 0
		.amdhsa_exception_fp_ieee_underflow 0
		.amdhsa_exception_fp_ieee_inexact 0
		.amdhsa_exception_int_div_zero 0
	.end_amdhsa_kernel
	.section	.text._ZN12_GLOBAL__N_135rocblas_gemm_batched_general_kernelIDF16_Li16ELi16ELi32ELi32ELi8ELi32ELi8ELi8ELi32ELc78ELc78EKPKDF16_S3_KPDF16_EEvlllT_PT11_llS8_llS6_PT12_llPT13_lli,"axG",@progbits,_ZN12_GLOBAL__N_135rocblas_gemm_batched_general_kernelIDF16_Li16ELi16ELi32ELi32ELi8ELi32ELi8ELi8ELi32ELc78ELc78EKPKDF16_S3_KPDF16_EEvlllT_PT11_llS8_llS6_PT12_llPT13_lli,comdat
.Lfunc_end75:
	.size	_ZN12_GLOBAL__N_135rocblas_gemm_batched_general_kernelIDF16_Li16ELi16ELi32ELi32ELi8ELi32ELi8ELi8ELi32ELc78ELc78EKPKDF16_S3_KPDF16_EEvlllT_PT11_llS8_llS6_PT12_llPT13_lli, .Lfunc_end75-_ZN12_GLOBAL__N_135rocblas_gemm_batched_general_kernelIDF16_Li16ELi16ELi32ELi32ELi8ELi32ELi8ELi8ELi32ELc78ELc78EKPKDF16_S3_KPDF16_EEvlllT_PT11_llS8_llS6_PT12_llPT13_lli
                                        ; -- End function
	.set _ZN12_GLOBAL__N_135rocblas_gemm_batched_general_kernelIDF16_Li16ELi16ELi32ELi32ELi8ELi32ELi8ELi8ELi32ELc78ELc78EKPKDF16_S3_KPDF16_EEvlllT_PT11_llS8_llS6_PT12_llPT13_lli.num_vgpr, 47
	.set _ZN12_GLOBAL__N_135rocblas_gemm_batched_general_kernelIDF16_Li16ELi16ELi32ELi32ELi8ELi32ELi8ELi8ELi32ELc78ELc78EKPKDF16_S3_KPDF16_EEvlllT_PT11_llS8_llS6_PT12_llPT13_lli.num_agpr, 0
	.set _ZN12_GLOBAL__N_135rocblas_gemm_batched_general_kernelIDF16_Li16ELi16ELi32ELi32ELi8ELi32ELi8ELi8ELi32ELc78ELc78EKPKDF16_S3_KPDF16_EEvlllT_PT11_llS8_llS6_PT12_llPT13_lli.numbered_sgpr, 44
	.set _ZN12_GLOBAL__N_135rocblas_gemm_batched_general_kernelIDF16_Li16ELi16ELi32ELi32ELi8ELi32ELi8ELi8ELi32ELc78ELc78EKPKDF16_S3_KPDF16_EEvlllT_PT11_llS8_llS6_PT12_llPT13_lli.num_named_barrier, 0
	.set _ZN12_GLOBAL__N_135rocblas_gemm_batched_general_kernelIDF16_Li16ELi16ELi32ELi32ELi8ELi32ELi8ELi8ELi32ELc78ELc78EKPKDF16_S3_KPDF16_EEvlllT_PT11_llS8_llS6_PT12_llPT13_lli.private_seg_size, 0
	.set _ZN12_GLOBAL__N_135rocblas_gemm_batched_general_kernelIDF16_Li16ELi16ELi32ELi32ELi8ELi32ELi8ELi8ELi32ELc78ELc78EKPKDF16_S3_KPDF16_EEvlllT_PT11_llS8_llS6_PT12_llPT13_lli.uses_vcc, 1
	.set _ZN12_GLOBAL__N_135rocblas_gemm_batched_general_kernelIDF16_Li16ELi16ELi32ELi32ELi8ELi32ELi8ELi8ELi32ELc78ELc78EKPKDF16_S3_KPDF16_EEvlllT_PT11_llS8_llS6_PT12_llPT13_lli.uses_flat_scratch, 0
	.set _ZN12_GLOBAL__N_135rocblas_gemm_batched_general_kernelIDF16_Li16ELi16ELi32ELi32ELi8ELi32ELi8ELi8ELi32ELc78ELc78EKPKDF16_S3_KPDF16_EEvlllT_PT11_llS8_llS6_PT12_llPT13_lli.has_dyn_sized_stack, 0
	.set _ZN12_GLOBAL__N_135rocblas_gemm_batched_general_kernelIDF16_Li16ELi16ELi32ELi32ELi8ELi32ELi8ELi8ELi32ELc78ELc78EKPKDF16_S3_KPDF16_EEvlllT_PT11_llS8_llS6_PT12_llPT13_lli.has_recursion, 0
	.set _ZN12_GLOBAL__N_135rocblas_gemm_batched_general_kernelIDF16_Li16ELi16ELi32ELi32ELi8ELi32ELi8ELi8ELi32ELc78ELc78EKPKDF16_S3_KPDF16_EEvlllT_PT11_llS8_llS6_PT12_llPT13_lli.has_indirect_call, 0
	.section	.AMDGPU.csdata,"",@progbits
; Kernel info:
; codeLenInByte = 1912
; TotalNumSgprs: 46
; NumVgprs: 47
; ScratchSize: 0
; MemoryBound: 0
; FloatMode: 240
; IeeeMode: 1
; LDSByteSize: 1024 bytes/workgroup (compile time only)
; SGPRBlocks: 0
; VGPRBlocks: 2
; NumSGPRsForWavesPerEU: 46
; NumVGPRsForWavesPerEU: 47
; NamedBarCnt: 0
; Occupancy: 16
; WaveLimiterHint : 1
; COMPUTE_PGM_RSRC2:SCRATCH_EN: 0
; COMPUTE_PGM_RSRC2:USER_SGPR: 2
; COMPUTE_PGM_RSRC2:TRAP_HANDLER: 0
; COMPUTE_PGM_RSRC2:TGID_X_EN: 1
; COMPUTE_PGM_RSRC2:TGID_Y_EN: 1
; COMPUTE_PGM_RSRC2:TGID_Z_EN: 1
; COMPUTE_PGM_RSRC2:TIDIG_COMP_CNT: 1
	.section	.text._ZN12_GLOBAL__N_135rocblas_gemm_batched_general_kernelIDF16_Li16ELi16ELi32ELi32ELi8ELi32ELi8ELi8ELi32ELc84ELc78EKPKDF16_S3_KPDF16_EEvlllT_PT11_llS8_llS6_PT12_llPT13_lli,"axG",@progbits,_ZN12_GLOBAL__N_135rocblas_gemm_batched_general_kernelIDF16_Li16ELi16ELi32ELi32ELi8ELi32ELi8ELi8ELi32ELc84ELc78EKPKDF16_S3_KPDF16_EEvlllT_PT11_llS8_llS6_PT12_llPT13_lli,comdat
	.globl	_ZN12_GLOBAL__N_135rocblas_gemm_batched_general_kernelIDF16_Li16ELi16ELi32ELi32ELi8ELi32ELi8ELi8ELi32ELc84ELc78EKPKDF16_S3_KPDF16_EEvlllT_PT11_llS8_llS6_PT12_llPT13_lli ; -- Begin function _ZN12_GLOBAL__N_135rocblas_gemm_batched_general_kernelIDF16_Li16ELi16ELi32ELi32ELi8ELi32ELi8ELi8ELi32ELc84ELc78EKPKDF16_S3_KPDF16_EEvlllT_PT11_llS8_llS6_PT12_llPT13_lli
	.p2align	8
	.type	_ZN12_GLOBAL__N_135rocblas_gemm_batched_general_kernelIDF16_Li16ELi16ELi32ELi32ELi8ELi32ELi8ELi8ELi32ELc84ELc78EKPKDF16_S3_KPDF16_EEvlllT_PT11_llS8_llS6_PT12_llPT13_lli,@function
_ZN12_GLOBAL__N_135rocblas_gemm_batched_general_kernelIDF16_Li16ELi16ELi32ELi32ELi8ELi32ELi8ELi8ELi32ELc84ELc78EKPKDF16_S3_KPDF16_EEvlllT_PT11_llS8_llS6_PT12_llPT13_lli: ; @_ZN12_GLOBAL__N_135rocblas_gemm_batched_general_kernelIDF16_Li16ELi16ELi32ELi32ELi8ELi32ELi8ELi8ELi32ELc84ELc78EKPKDF16_S3_KPDF16_EEvlllT_PT11_llS8_llS6_PT12_llPT13_lli
; %bb.0:
	s_load_b32 s33, s[0:1], 0x88
	s_bfe_u32 s2, ttmp6, 0x40014
	s_lshr_b32 s3, ttmp7, 16
	s_add_co_i32 s2, s2, 1
	s_bfe_u32 s5, ttmp6, 0x40008
	s_mul_i32 s4, s3, s2
	s_getreg_b32 s2, hwreg(HW_REG_IB_STS2, 6, 4)
	s_add_co_i32 s5, s5, s4
	s_cmp_eq_u32 s2, 0
	s_mov_b32 s35, 0
	s_cselect_b32 s34, s3, s5
	s_wait_kmcnt 0x0
	s_cmp_ge_i32 s34, s33
	s_cbranch_scc1 .LBB76_35
; %bb.1:
	s_bfe_u32 s16, ttmp6, 0x4000c
	s_bfe_u32 s18, ttmp6, 0x40010
	s_and_b32 s17, ttmp7, 0xffff
	s_add_co_i32 s16, s16, 1
	s_add_co_i32 s18, s18, 1
	v_bfe_u32 v4, v0, 10, 10
	s_and_b32 s3, ttmp6, 15
	s_mul_i32 s16, ttmp9, s16
	s_mul_i32 s18, s17, s18
	s_bfe_u32 s19, ttmp6, 0x40004
	s_add_co_i32 s3, s3, s16
	s_add_co_i32 s19, s19, s18
	s_cmp_eq_u32 s2, 0
	v_and_b32_e32 v10, 0x3ff, v0
	v_dual_lshlrev_b32 v21, 4, v4 :: v_dual_mov_b32 v1, 0
	s_cselect_b32 s2, ttmp9, s3
	s_clause 0x1
	s_load_b128 s[24:27], s[0:1], 0x40
	s_load_b96 s[36:38], s[0:1], 0x10
	s_cselect_b32 s16, s17, s19
	s_ashr_i32 s3, s2, 31
	s_clause 0x1
	s_load_b128 s[4:7], s[0:1], 0x0
	s_load_b256 s[8:15], s[0:1], 0x20
	s_lshl_b64 s[2:3], s[2:3], 5
	s_delay_alu instid0(SALU_CYCLE_1) | instskip(SKIP_3) | instid1(VALU_DEP_1)
	v_dual_add_nc_u32 v3, v21, v10 :: v_dual_mov_b32 v7, s3
	s_lshl_b32 s40, s16, 5
	s_mov_b32 s41, s35
	s_load_b128 s[28:31], s[0:1], 0x78
	v_dual_lshrrev_b32 v8, 3, v3 :: v_dual_bitop2_b32 v22, 31, v3 bitop3:0x40
	v_mov_b32_e32 v9, v1
	s_load_b256 s[16:23], s[0:1], 0x58
	v_dual_mov_b32 v5, v1 :: v_dual_bitop2_b32 v2, 7, v0 bitop3:0x40
	s_delay_alu instid0(VALU_DEP_3) | instskip(NEXT) | instid1(VALU_DEP_3)
	v_or_b32_e32 v6, s2, v22
	v_add_nc_u64_e32 v[12:13], s[40:41], v[8:9]
	s_load_b32 s39, s[0:1], 0x50
	s_delay_alu instid0(VALU_DEP_3)
	v_add_nc_u64_e32 v[18:19], s[40:41], v[4:5]
	v_dual_mov_b32 v11, v1 :: v_dual_lshrrev_b32 v0, 5, v3
	s_wait_kmcnt 0x0
	v_cmp_gt_i64_e64 s0, s[4:5], v[6:7]
	v_mul_u64_e32 v[16:17], s[10:11], v[6:7]
	v_mul_u64_e32 v[14:15], s[24:25], v[12:13]
	v_dual_mov_b32 v3, v1 :: v_dual_lshlrev_b32 v20, 1, v2
	v_lshlrev_b32_e32 v9, 1, v22
	v_add_nc_u32_e32 v27, 0x200, v21
	v_mul_u64_e32 v[4:5], s[28:29], v[18:19]
	v_mov_b32_e32 v21, v1
	v_lshl_or_b32 v22, v8, 4, v20
	v_lshl_or_b32 v24, v0, 6, v9
	v_mul_u64_e32 v[6:7], s[18:19], v[18:19]
	v_add_nc_u64_e32 v[8:9], s[2:3], v[10:11]
	v_cmp_gt_i64_e64 s1, s[6:7], v[12:13]
	v_lshlrev_b32_e32 v26, 1, v10
	v_add_nc_u64_e32 v[12:13], 16, v[18:19]
	s_cmp_eq_f16 s39, 0
	v_cmp_gt_i64_e64 s2, s[6:7], v[18:19]
	v_lshlrev_b32_e32 v18, 1, v0
	v_add_nc_u64_e32 v[10:11], 16, v[8:9]
	s_cselect_b32 s24, -1, 0
	s_lshl_b64 s[10:11], s[26:27], 1
	v_mov_b32_e32 v19, v1
	v_cmp_gt_i64_e64 s3, s[4:5], v[8:9]
	v_cmp_gt_i64_e64 s25, s[36:37], 0
	v_add_nc_u32_e32 v25, 0x200, v22
	v_cmp_gt_i64_e64 s4, s[4:5], v[10:11]
	v_cmp_gt_i64_e64 s5, s[6:7], v[12:13]
	s_lshl_b64 s[6:7], s[28:29], 4
	v_lshl_add_u64 v[14:15], v[14:15], 1, s[10:11]
	s_lshl_b64 s[10:11], s[12:13], 1
	s_lshl_b64 s[12:13], s[30:31], 1
	v_lshl_add_u64 v[16:17], v[16:17], 1, s[10:11]
	s_lshl_b64 s[10:11], s[18:19], 4
	v_add_nc_u64_e32 v[10:11], v[14:15], v[20:21]
	s_lshl_b64 s[18:19], s[20:21], 1
	s_delay_alu instid0(VALU_DEP_2)
	v_add_nc_u64_e32 v[12:13], v[16:17], v[18:19]
	s_branch .LBB76_4
.LBB76_2:                               ;   in Loop: Header=BB76_4 Depth=1
	s_wait_xcnt 0x0
	s_or_b32 exec_lo, exec_lo, s20
.LBB76_3:                               ;   in Loop: Header=BB76_4 Depth=1
	s_add_co_i32 s34, s34, 0x10000
	s_delay_alu instid0(SALU_CYCLE_1)
	s_cmp_lt_i32 s34, s33
	s_cbranch_scc0 .LBB76_35
.LBB76_4:                               ; =>This Loop Header: Depth=1
                                        ;     Child Loop BB76_7 Depth 2
	s_wait_xcnt 0x0
	v_mov_b32_e32 v18, s34
	s_and_not1_b32 vcc_lo, exec_lo, s25
	s_clause 0x1
	global_load_b64 v[14:15], v18, s[16:17] scale_offset
	global_load_b64 v[16:17], v18, s[22:23] scale_offset
	s_cbranch_vccnz .LBB76_11
; %bb.5:                                ;   in Loop: Header=BB76_4 Depth=1
	s_lshl_b64 s[20:21], s[34:35], 3
	v_dual_mov_b32 v29, 0 :: v_dual_mov_b32 v28, 0
	s_add_nc_u64 s[26:27], s[14:15], s[20:21]
	s_add_nc_u64 s[20:21], s[8:9], s[20:21]
	s_clause 0x1
	global_load_b64 v[18:19], v1, s[26:27]
	global_load_b64 v[20:21], v1, s[20:21]
	s_wait_xcnt 0x0
	s_mov_b64 s[20:21], 0
	s_wait_loadcnt 0x1
	v_add_nc_u64_e32 v[18:19], v[18:19], v[10:11]
	s_wait_loadcnt 0x0
	v_add_nc_u64_e32 v[20:21], v[20:21], v[12:13]
	s_branch .LBB76_7
.LBB76_6:                               ;   in Loop: Header=BB76_7 Depth=2
	s_wait_xcnt 0x0
	s_or_b32 exec_lo, exec_lo, s26
	s_wait_loadcnt_dscnt 0x0
	ds_store_b16 v25, v23
	s_wait_dscnt 0x0
	s_barrier_signal -1
	s_barrier_wait -1
	ds_load_u16 v22, v26
	ds_load_u16 v23, v26 offset:32
	ds_load_u16 v38, v26 offset:64
	;; [unrolled: 1-line block ×3, first 2 shown]
	ds_load_b128 v[30:33], v27
	ds_load_b128 v[34:37], v27 offset:256
	ds_load_u16 v40, v26 offset:128
	ds_load_u16 v41, v26 offset:160
	;; [unrolled: 1-line block ×6, first 2 shown]
	s_add_nc_u64 s[20:21], s[20:21], 8
	v_add_nc_u64_e32 v[18:19], 16, v[18:19]
	v_cmp_lt_i64_e64 s26, s[20:21], s[36:37]
	v_add_nc_u64_e32 v[20:21], 16, v[20:21]
	s_wait_dscnt 0xa
	v_perm_b32 v22, v23, v22, 0x5040100
	ds_load_u16 v23, v26 offset:320
	ds_load_u16 v46, v26 offset:352
	s_wait_dscnt 0xa
	v_perm_b32 v38, v39, v38, 0x5040100
	s_and_b32 vcc_lo, exec_lo, s26
	s_wait_dscnt 0x9
	v_pk_fma_f16 v29, v22, v30, v29 op_sel_hi:[1,0,1]
	s_wait_dscnt 0x8
	v_pk_fma_f16 v22, v22, v34, v28 op_sel_hi:[1,0,1]
	ds_load_u16 v28, v26 offset:384
	ds_load_u16 v39, v26 offset:416
	s_wait_dscnt 0x8
	v_perm_b32 v40, v41, v40, 0x5040100
	v_pk_fma_f16 v29, v38, v30, v29 op_sel:[0,1,0]
	v_pk_fma_f16 v22, v38, v34, v22 op_sel:[0,1,0]
	ds_load_u16 v30, v26 offset:448
	ds_load_u16 v34, v26 offset:480
	s_wait_dscnt 0x8
	v_perm_b32 v38, v43, v42, 0x5040100
	s_wait_dscnt 0x0
	v_pk_fma_f16 v29, v40, v31, v29 op_sel_hi:[1,0,1]
	v_pk_fma_f16 v22, v40, v35, v22 op_sel_hi:[1,0,1]
	v_perm_b32 v40, v45, v44, 0x5040100
	s_barrier_signal -1
	s_barrier_wait -1
	v_pk_fma_f16 v29, v38, v31, v29 op_sel:[0,1,0]
	v_pk_fma_f16 v22, v38, v35, v22 op_sel:[0,1,0]
	v_perm_b32 v23, v46, v23, 0x5040100
	s_delay_alu instid0(VALU_DEP_3) | instskip(NEXT) | instid1(VALU_DEP_3)
	v_pk_fma_f16 v29, v40, v32, v29 op_sel_hi:[1,0,1]
	v_pk_fma_f16 v22, v40, v36, v22 op_sel_hi:[1,0,1]
	v_perm_b32 v28, v39, v28, 0x5040100
	s_delay_alu instid0(VALU_DEP_3) | instskip(NEXT) | instid1(VALU_DEP_3)
	v_pk_fma_f16 v29, v23, v32, v29 op_sel:[0,1,0]
	v_pk_fma_f16 v22, v23, v36, v22 op_sel:[0,1,0]
	v_perm_b32 v23, v34, v30, 0x5040100
	s_delay_alu instid0(VALU_DEP_3) | instskip(NEXT) | instid1(VALU_DEP_3)
	v_pk_fma_f16 v29, v28, v33, v29 op_sel_hi:[1,0,1]
	v_pk_fma_f16 v22, v28, v37, v22 op_sel_hi:[1,0,1]
	s_delay_alu instid0(VALU_DEP_2) | instskip(NEXT) | instid1(VALU_DEP_2)
	v_pk_fma_f16 v29, v23, v33, v29 op_sel:[0,1,0]
	v_pk_fma_f16 v28, v23, v37, v22 op_sel:[0,1,0]
	s_cbranch_vccz .LBB76_12
.LBB76_7:                               ;   Parent Loop BB76_4 Depth=1
                                        ; =>  This Inner Loop Header: Depth=2
	v_add_nc_u64_e32 v[22:23], s[20:21], v[0:1]
	s_delay_alu instid0(VALU_DEP_1) | instskip(SKIP_2) | instid1(SALU_CYCLE_1)
	v_cmp_gt_i64_e32 vcc_lo, s[36:37], v[22:23]
	v_mov_b32_e32 v22, 0
	s_and_b32 s27, s0, vcc_lo
	s_and_saveexec_b32 s26, s27
	s_cbranch_execz .LBB76_9
; %bb.8:                                ;   in Loop: Header=BB76_7 Depth=2
	flat_load_u16 v22, v[20:21]
.LBB76_9:                               ;   in Loop: Header=BB76_7 Depth=2
	s_wait_xcnt 0x0
	s_or_b32 exec_lo, exec_lo, s26
	v_add_nc_u64_e32 v[30:31], s[20:21], v[2:3]
	v_mov_b32_e32 v23, 0
	s_wait_loadcnt_dscnt 0x0
	ds_store_b16 v24, v22
	v_cmp_gt_i64_e32 vcc_lo, s[36:37], v[30:31]
	s_and_b32 s27, vcc_lo, s1
	s_delay_alu instid0(SALU_CYCLE_1)
	s_and_saveexec_b32 s26, s27
	s_cbranch_execz .LBB76_6
; %bb.10:                               ;   in Loop: Header=BB76_7 Depth=2
	flat_load_u16 v23, v[18:19]
	s_branch .LBB76_6
.LBB76_11:                              ;   in Loop: Header=BB76_4 Depth=1
	v_dual_mov_b32 v28, 0 :: v_dual_mov_b32 v29, 0
.LBB76_12:                              ;   in Loop: Header=BB76_4 Depth=1
	s_wait_loadcnt 0x0
	v_add_nc_u64_e32 v[16:17], s[12:13], v[16:17]
	s_and_not1_b32 vcc_lo, exec_lo, s24
	s_cbranch_vccnz .LBB76_17
; %bb.13:                               ;   in Loop: Header=BB76_4 Depth=1
	s_wait_xcnt 0x0
	s_and_saveexec_b32 s20, s2
	s_cbranch_execz .LBB76_24
; %bb.14:                               ;   in Loop: Header=BB76_4 Depth=1
	s_delay_alu instid0(VALU_DEP_1) | instskip(NEXT) | instid1(VALU_DEP_1)
	v_lshl_add_u64 v[18:19], v[4:5], 1, v[16:17]
	v_lshl_add_u64 v[20:21], v[8:9], 1, v[18:19]
	s_and_saveexec_b32 s21, s3
	s_cbranch_execnz .LBB76_18
; %bb.15:                               ;   in Loop: Header=BB76_4 Depth=1
	s_or_b32 exec_lo, exec_lo, s21
	s_and_saveexec_b32 s21, s4
	s_cbranch_execnz .LBB76_19
.LBB76_16:                              ;   in Loop: Header=BB76_4 Depth=1
	s_or_b32 exec_lo, exec_lo, s21
	s_delay_alu instid0(SALU_CYCLE_1)
	s_and_b32 exec_lo, exec_lo, s5
	s_cbranch_execnz .LBB76_20
	s_branch .LBB76_24
.LBB76_17:                              ;   in Loop: Header=BB76_4 Depth=1
	s_branch .LBB76_25
.LBB76_18:                              ;   in Loop: Header=BB76_4 Depth=1
	v_mul_f16_e32 v22, s38, v29
	flat_store_b16 v[20:21], v22
	s_wait_xcnt 0x0
	s_or_b32 exec_lo, exec_lo, s21
	s_and_saveexec_b32 s21, s4
	s_cbranch_execz .LBB76_16
.LBB76_19:                              ;   in Loop: Header=BB76_4 Depth=1
	v_lshrrev_b32_e32 v22, 16, v29
	s_delay_alu instid0(VALU_DEP_1) | instskip(SKIP_3) | instid1(SALU_CYCLE_1)
	v_mul_f16_e32 v22, s38, v22
	flat_store_b16 v[20:21], v22 offset:32
	s_wait_xcnt 0x0
	s_or_b32 exec_lo, exec_lo, s21
	s_and_b32 exec_lo, exec_lo, s5
	s_cbranch_execz .LBB76_24
.LBB76_20:                              ;   in Loop: Header=BB76_4 Depth=1
	v_lshl_add_u64 v[18:19], s[6:7], 1, v[18:19]
	s_delay_alu instid0(VALU_DEP_1)
	v_lshl_add_u64 v[18:19], v[8:9], 1, v[18:19]
	s_and_saveexec_b32 s21, s3
	s_cbranch_execz .LBB76_22
; %bb.21:                               ;   in Loop: Header=BB76_4 Depth=1
	v_mul_f16_e32 v20, s38, v28
	flat_store_b16 v[18:19], v20
.LBB76_22:                              ;   in Loop: Header=BB76_4 Depth=1
	s_wait_xcnt 0x0
	s_or_b32 exec_lo, exec_lo, s21
	s_delay_alu instid0(SALU_CYCLE_1)
	s_and_b32 exec_lo, exec_lo, s4
	s_cbranch_execz .LBB76_24
; %bb.23:                               ;   in Loop: Header=BB76_4 Depth=1
	v_lshrrev_b32_e32 v20, 16, v28
	s_delay_alu instid0(VALU_DEP_1)
	v_mul_f16_e32 v20, s38, v20
	flat_store_b16 v[18:19], v20 offset:32
.LBB76_24:                              ;   in Loop: Header=BB76_4 Depth=1
	s_wait_xcnt 0x0
	s_or_b32 exec_lo, exec_lo, s20
	s_cbranch_execnz .LBB76_3
.LBB76_25:                              ;   in Loop: Header=BB76_4 Depth=1
	s_wait_xcnt 0x0
	s_and_saveexec_b32 s20, s2
	s_cbranch_execz .LBB76_2
; %bb.26:                               ;   in Loop: Header=BB76_4 Depth=1
	v_add_nc_u64_e32 v[18:19], s[18:19], v[14:15]
	v_lshlrev_b64_e32 v[14:15], 1, v[8:9]
	v_lshl_add_u64 v[16:17], v[4:5], 1, v[16:17]
	s_delay_alu instid0(VALU_DEP_3) | instskip(NEXT) | instid1(VALU_DEP_2)
	v_lshl_add_u64 v[18:19], v[6:7], 1, v[18:19]
	v_add_nc_u64_e32 v[20:21], v[16:17], v[14:15]
	s_delay_alu instid0(VALU_DEP_2)
	v_add_nc_u64_e32 v[22:23], v[18:19], v[14:15]
	s_and_saveexec_b32 s21, s3
	s_cbranch_execnz .LBB76_29
; %bb.27:                               ;   in Loop: Header=BB76_4 Depth=1
	s_or_b32 exec_lo, exec_lo, s21
	s_and_saveexec_b32 s21, s4
	s_cbranch_execnz .LBB76_30
.LBB76_28:                              ;   in Loop: Header=BB76_4 Depth=1
	s_or_b32 exec_lo, exec_lo, s21
	s_delay_alu instid0(SALU_CYCLE_1)
	s_and_b32 exec_lo, exec_lo, s5
	s_cbranch_execz .LBB76_2
	s_branch .LBB76_31
.LBB76_29:                              ;   in Loop: Header=BB76_4 Depth=1
	flat_load_u16 v30, v[22:23]
	s_wait_loadcnt_dscnt 0x0
	v_mul_f16_e32 v30, s39, v30
	s_delay_alu instid0(VALU_DEP_1)
	v_fmac_f16_e32 v30, s38, v29
	flat_store_b16 v[20:21], v30
	s_wait_xcnt 0x0
	s_or_b32 exec_lo, exec_lo, s21
	s_and_saveexec_b32 s21, s4
	s_cbranch_execz .LBB76_28
.LBB76_30:                              ;   in Loop: Header=BB76_4 Depth=1
	flat_load_u16 v22, v[22:23] offset:32
	s_wait_xcnt 0x0
	v_lshrrev_b32_e32 v23, 16, v29
	s_wait_loadcnt_dscnt 0x0
	v_mul_f16_e32 v22, s39, v22
	s_delay_alu instid0(VALU_DEP_1) | instskip(SKIP_3) | instid1(SALU_CYCLE_1)
	v_fmac_f16_e32 v22, s38, v23
	flat_store_b16 v[20:21], v22 offset:32
	s_wait_xcnt 0x0
	s_or_b32 exec_lo, exec_lo, s21
	s_and_b32 exec_lo, exec_lo, s5
	s_cbranch_execz .LBB76_2
.LBB76_31:                              ;   in Loop: Header=BB76_4 Depth=1
	v_lshl_add_u64 v[18:19], s[10:11], 1, v[18:19]
	v_lshl_add_u64 v[20:21], s[6:7], 1, v[16:17]
	s_delay_alu instid0(VALU_DEP_2) | instskip(NEXT) | instid1(VALU_DEP_2)
	v_add_nc_u64_e32 v[16:17], v[18:19], v[14:15]
	v_add_nc_u64_e32 v[14:15], v[20:21], v[14:15]
	s_and_saveexec_b32 s21, s3
	s_cbranch_execz .LBB76_33
; %bb.32:                               ;   in Loop: Header=BB76_4 Depth=1
	flat_load_u16 v18, v[16:17]
	s_wait_loadcnt_dscnt 0x0
	v_mul_f16_e32 v18, s39, v18
	s_delay_alu instid0(VALU_DEP_1)
	v_fmac_f16_e32 v18, s38, v28
	flat_store_b16 v[14:15], v18
.LBB76_33:                              ;   in Loop: Header=BB76_4 Depth=1
	s_wait_xcnt 0x0
	s_or_b32 exec_lo, exec_lo, s21
	s_delay_alu instid0(SALU_CYCLE_1)
	s_and_b32 exec_lo, exec_lo, s4
	s_cbranch_execz .LBB76_2
; %bb.34:                               ;   in Loop: Header=BB76_4 Depth=1
	flat_load_u16 v16, v[16:17] offset:32
	s_wait_xcnt 0x0
	v_lshrrev_b32_e32 v17, 16, v28
	s_wait_loadcnt_dscnt 0x0
	v_mul_f16_e32 v16, s39, v16
	s_delay_alu instid0(VALU_DEP_1)
	v_fmac_f16_e32 v16, s38, v17
	flat_store_b16 v[14:15], v16 offset:32
	s_branch .LBB76_2
.LBB76_35:
	s_endpgm
	.section	.rodata,"a",@progbits
	.p2align	6, 0x0
	.amdhsa_kernel _ZN12_GLOBAL__N_135rocblas_gemm_batched_general_kernelIDF16_Li16ELi16ELi32ELi32ELi8ELi32ELi8ELi8ELi32ELc84ELc78EKPKDF16_S3_KPDF16_EEvlllT_PT11_llS8_llS6_PT12_llPT13_lli
		.amdhsa_group_segment_fixed_size 1024
		.amdhsa_private_segment_fixed_size 0
		.amdhsa_kernarg_size 140
		.amdhsa_user_sgpr_count 2
		.amdhsa_user_sgpr_dispatch_ptr 0
		.amdhsa_user_sgpr_queue_ptr 0
		.amdhsa_user_sgpr_kernarg_segment_ptr 1
		.amdhsa_user_sgpr_dispatch_id 0
		.amdhsa_user_sgpr_kernarg_preload_length 0
		.amdhsa_user_sgpr_kernarg_preload_offset 0
		.amdhsa_user_sgpr_private_segment_size 0
		.amdhsa_wavefront_size32 1
		.amdhsa_uses_dynamic_stack 0
		.amdhsa_enable_private_segment 0
		.amdhsa_system_sgpr_workgroup_id_x 1
		.amdhsa_system_sgpr_workgroup_id_y 1
		.amdhsa_system_sgpr_workgroup_id_z 1
		.amdhsa_system_sgpr_workgroup_info 0
		.amdhsa_system_vgpr_workitem_id 1
		.amdhsa_next_free_vgpr 47
		.amdhsa_next_free_sgpr 42
		.amdhsa_named_barrier_count 0
		.amdhsa_reserve_vcc 1
		.amdhsa_float_round_mode_32 0
		.amdhsa_float_round_mode_16_64 0
		.amdhsa_float_denorm_mode_32 3
		.amdhsa_float_denorm_mode_16_64 3
		.amdhsa_fp16_overflow 0
		.amdhsa_memory_ordered 1
		.amdhsa_forward_progress 1
		.amdhsa_inst_pref_size 15
		.amdhsa_round_robin_scheduling 0
		.amdhsa_exception_fp_ieee_invalid_op 0
		.amdhsa_exception_fp_denorm_src 0
		.amdhsa_exception_fp_ieee_div_zero 0
		.amdhsa_exception_fp_ieee_overflow 0
		.amdhsa_exception_fp_ieee_underflow 0
		.amdhsa_exception_fp_ieee_inexact 0
		.amdhsa_exception_int_div_zero 0
	.end_amdhsa_kernel
	.section	.text._ZN12_GLOBAL__N_135rocblas_gemm_batched_general_kernelIDF16_Li16ELi16ELi32ELi32ELi8ELi32ELi8ELi8ELi32ELc84ELc78EKPKDF16_S3_KPDF16_EEvlllT_PT11_llS8_llS6_PT12_llPT13_lli,"axG",@progbits,_ZN12_GLOBAL__N_135rocblas_gemm_batched_general_kernelIDF16_Li16ELi16ELi32ELi32ELi8ELi32ELi8ELi8ELi32ELc84ELc78EKPKDF16_S3_KPDF16_EEvlllT_PT11_llS8_llS6_PT12_llPT13_lli,comdat
.Lfunc_end76:
	.size	_ZN12_GLOBAL__N_135rocblas_gemm_batched_general_kernelIDF16_Li16ELi16ELi32ELi32ELi8ELi32ELi8ELi8ELi32ELc84ELc78EKPKDF16_S3_KPDF16_EEvlllT_PT11_llS8_llS6_PT12_llPT13_lli, .Lfunc_end76-_ZN12_GLOBAL__N_135rocblas_gemm_batched_general_kernelIDF16_Li16ELi16ELi32ELi32ELi8ELi32ELi8ELi8ELi32ELc84ELc78EKPKDF16_S3_KPDF16_EEvlllT_PT11_llS8_llS6_PT12_llPT13_lli
                                        ; -- End function
	.set _ZN12_GLOBAL__N_135rocblas_gemm_batched_general_kernelIDF16_Li16ELi16ELi32ELi32ELi8ELi32ELi8ELi8ELi32ELc84ELc78EKPKDF16_S3_KPDF16_EEvlllT_PT11_llS8_llS6_PT12_llPT13_lli.num_vgpr, 47
	.set _ZN12_GLOBAL__N_135rocblas_gemm_batched_general_kernelIDF16_Li16ELi16ELi32ELi32ELi8ELi32ELi8ELi8ELi32ELc84ELc78EKPKDF16_S3_KPDF16_EEvlllT_PT11_llS8_llS6_PT12_llPT13_lli.num_agpr, 0
	.set _ZN12_GLOBAL__N_135rocblas_gemm_batched_general_kernelIDF16_Li16ELi16ELi32ELi32ELi8ELi32ELi8ELi8ELi32ELc84ELc78EKPKDF16_S3_KPDF16_EEvlllT_PT11_llS8_llS6_PT12_llPT13_lli.numbered_sgpr, 42
	.set _ZN12_GLOBAL__N_135rocblas_gemm_batched_general_kernelIDF16_Li16ELi16ELi32ELi32ELi8ELi32ELi8ELi8ELi32ELc84ELc78EKPKDF16_S3_KPDF16_EEvlllT_PT11_llS8_llS6_PT12_llPT13_lli.num_named_barrier, 0
	.set _ZN12_GLOBAL__N_135rocblas_gemm_batched_general_kernelIDF16_Li16ELi16ELi32ELi32ELi8ELi32ELi8ELi8ELi32ELc84ELc78EKPKDF16_S3_KPDF16_EEvlllT_PT11_llS8_llS6_PT12_llPT13_lli.private_seg_size, 0
	.set _ZN12_GLOBAL__N_135rocblas_gemm_batched_general_kernelIDF16_Li16ELi16ELi32ELi32ELi8ELi32ELi8ELi8ELi32ELc84ELc78EKPKDF16_S3_KPDF16_EEvlllT_PT11_llS8_llS6_PT12_llPT13_lli.uses_vcc, 1
	.set _ZN12_GLOBAL__N_135rocblas_gemm_batched_general_kernelIDF16_Li16ELi16ELi32ELi32ELi8ELi32ELi8ELi8ELi32ELc84ELc78EKPKDF16_S3_KPDF16_EEvlllT_PT11_llS8_llS6_PT12_llPT13_lli.uses_flat_scratch, 0
	.set _ZN12_GLOBAL__N_135rocblas_gemm_batched_general_kernelIDF16_Li16ELi16ELi32ELi32ELi8ELi32ELi8ELi8ELi32ELc84ELc78EKPKDF16_S3_KPDF16_EEvlllT_PT11_llS8_llS6_PT12_llPT13_lli.has_dyn_sized_stack, 0
	.set _ZN12_GLOBAL__N_135rocblas_gemm_batched_general_kernelIDF16_Li16ELi16ELi32ELi32ELi8ELi32ELi8ELi8ELi32ELc84ELc78EKPKDF16_S3_KPDF16_EEvlllT_PT11_llS8_llS6_PT12_llPT13_lli.has_recursion, 0
	.set _ZN12_GLOBAL__N_135rocblas_gemm_batched_general_kernelIDF16_Li16ELi16ELi32ELi32ELi8ELi32ELi8ELi8ELi32ELc84ELc78EKPKDF16_S3_KPDF16_EEvlllT_PT11_llS8_llS6_PT12_llPT13_lli.has_indirect_call, 0
	.section	.AMDGPU.csdata,"",@progbits
; Kernel info:
; codeLenInByte = 1900
; TotalNumSgprs: 44
; NumVgprs: 47
; ScratchSize: 0
; MemoryBound: 0
; FloatMode: 240
; IeeeMode: 1
; LDSByteSize: 1024 bytes/workgroup (compile time only)
; SGPRBlocks: 0
; VGPRBlocks: 2
; NumSGPRsForWavesPerEU: 44
; NumVGPRsForWavesPerEU: 47
; NamedBarCnt: 0
; Occupancy: 16
; WaveLimiterHint : 1
; COMPUTE_PGM_RSRC2:SCRATCH_EN: 0
; COMPUTE_PGM_RSRC2:USER_SGPR: 2
; COMPUTE_PGM_RSRC2:TRAP_HANDLER: 0
; COMPUTE_PGM_RSRC2:TGID_X_EN: 1
; COMPUTE_PGM_RSRC2:TGID_Y_EN: 1
; COMPUTE_PGM_RSRC2:TGID_Z_EN: 1
; COMPUTE_PGM_RSRC2:TIDIG_COMP_CNT: 1
	.section	.text._ZN12_GLOBAL__N_135rocblas_gemm_batched_general_kernelIDF16_Li16ELi16ELi32ELi32ELi8ELi32ELi8ELi8ELi32ELc78ELc84EKPKDF16_S3_KPDF16_EEvlllT_PT11_llS8_llS6_PT12_llPT13_lli,"axG",@progbits,_ZN12_GLOBAL__N_135rocblas_gemm_batched_general_kernelIDF16_Li16ELi16ELi32ELi32ELi8ELi32ELi8ELi8ELi32ELc78ELc84EKPKDF16_S3_KPDF16_EEvlllT_PT11_llS8_llS6_PT12_llPT13_lli,comdat
	.globl	_ZN12_GLOBAL__N_135rocblas_gemm_batched_general_kernelIDF16_Li16ELi16ELi32ELi32ELi8ELi32ELi8ELi8ELi32ELc78ELc84EKPKDF16_S3_KPDF16_EEvlllT_PT11_llS8_llS6_PT12_llPT13_lli ; -- Begin function _ZN12_GLOBAL__N_135rocblas_gemm_batched_general_kernelIDF16_Li16ELi16ELi32ELi32ELi8ELi32ELi8ELi8ELi32ELc78ELc84EKPKDF16_S3_KPDF16_EEvlllT_PT11_llS8_llS6_PT12_llPT13_lli
	.p2align	8
	.type	_ZN12_GLOBAL__N_135rocblas_gemm_batched_general_kernelIDF16_Li16ELi16ELi32ELi32ELi8ELi32ELi8ELi8ELi32ELc78ELc84EKPKDF16_S3_KPDF16_EEvlllT_PT11_llS8_llS6_PT12_llPT13_lli,@function
_ZN12_GLOBAL__N_135rocblas_gemm_batched_general_kernelIDF16_Li16ELi16ELi32ELi32ELi8ELi32ELi8ELi8ELi32ELc78ELc84EKPKDF16_S3_KPDF16_EEvlllT_PT11_llS8_llS6_PT12_llPT13_lli: ; @_ZN12_GLOBAL__N_135rocblas_gemm_batched_general_kernelIDF16_Li16ELi16ELi32ELi32ELi8ELi32ELi8ELi8ELi32ELc78ELc84EKPKDF16_S3_KPDF16_EEvlllT_PT11_llS8_llS6_PT12_llPT13_lli
; %bb.0:
	s_load_b32 s33, s[0:1], 0x88
	s_bfe_u32 s2, ttmp6, 0x40014
	s_lshr_b32 s3, ttmp7, 16
	s_add_co_i32 s2, s2, 1
	s_bfe_u32 s5, ttmp6, 0x40008
	s_mul_i32 s4, s3, s2
	s_getreg_b32 s2, hwreg(HW_REG_IB_STS2, 6, 4)
	s_add_co_i32 s5, s5, s4
	s_cmp_eq_u32 s2, 0
	s_mov_b32 s35, 0
	s_cselect_b32 s34, s3, s5
	s_wait_kmcnt 0x0
	s_cmp_ge_i32 s34, s33
	s_cbranch_scc1 .LBB77_35
; %bb.1:
	v_bfe_u32 v4, v0, 10, 10
	s_clause 0x4
	s_load_b128 s[4:7], s[0:1], 0x0
	s_load_b96 s[36:38], s[0:1], 0x10
	s_load_b256 s[8:15], s[0:1], 0x20
	s_load_b128 s[28:31], s[0:1], 0x40
	s_load_b32 s39, s[0:1], 0x50
	v_and_b32_e32 v6, 0x3ff, v0
	s_clause 0x1
	s_load_b128 s[24:27], s[0:1], 0x78
	s_load_b256 s[16:23], s[0:1], 0x58
	v_dual_lshlrev_b32 v19, 4, v4 :: v_dual_mov_b32 v3, 0
	s_wait_xcnt 0x0
	s_bfe_u32 s0, ttmp6, 0x4000c
	s_bfe_u32 s3, ttmp6, 0x40010
	s_add_co_i32 s0, s0, 1
	v_dual_add_nc_u32 v7, v19, v6 :: v_dual_bitop2_b32 v0, 7, v0 bitop3:0x40
	s_and_b32 s40, ttmp7, 0xffff
	s_add_co_i32 s3, s3, 1
	s_and_b32 s1, ttmp6, 15
	s_mul_i32 s0, ttmp9, s0
	s_mul_i32 s3, s40, s3
	s_bfe_u32 s41, ttmp6, 0x40004
	v_dual_mov_b32 v1, v3 :: v_dual_lshrrev_b32 v2, 5, v7
	s_add_co_i32 s1, s1, s0
	s_add_co_i32 s41, s41, s3
	s_cmp_eq_u32 s2, 0
	v_dual_mov_b32 v5, v3 :: v_dual_bitop2_b32 v18, 31, v7 bitop3:0x40
	s_cselect_b32 s42, ttmp9, s1
	v_dual_mov_b32 v11, v3 :: v_dual_lshrrev_b32 v10, 3, v7
	s_wait_kmcnt 0x0
	v_mul_u64_e32 v[12:13], s[28:29], v[0:1]
	v_lshlrev_b32_e32 v20, 1, v0
	v_mul_u64_e32 v[16:17], s[10:11], v[2:3]
	s_cselect_b32 s44, s40, s41
	s_ashr_i32 s43, s42, 31
	s_lshl_b32 s40, s44, 5
	s_lshl_b64 s[2:3], s[42:43], 5
	s_mov_b32 s41, s35
	v_dual_mov_b32 v9, s3 :: v_dual_bitop2_b32 v8, s2, v18 bitop3:0x54
	v_add_nc_u64_e32 v[14:15], s[40:41], v[10:11]
	v_lshlrev_b32_e32 v18, 1, v18
	v_lshl_or_b32 v11, v10, 4, v20
	v_add_nc_u64_e32 v[20:21], s[40:41], v[4:5]
	v_dual_mov_b32 v7, v3 :: v_dual_lshlrev_b32 v26, 1, v6
	v_cmp_gt_i64_e64 s0, s[4:5], v[8:9]
	v_cmp_gt_i64_e64 s1, s[6:7], v[14:15]
	s_cmp_eq_f16 s39, 0
	v_add_nc_u64_e32 v[4:5], s[2:3], v[6:7]
	v_mul_u64_e32 v[6:7], s[24:25], v[20:21]
	v_mul_u64_e32 v[8:9], s[18:19], v[20:21]
	v_cmp_gt_i64_e64 s2, s[6:7], v[20:21]
	v_add_nc_u64_e32 v[20:21], 16, v[20:21]
	s_cselect_b32 s40, -1, 0
	s_lshl_b32 s44, s44, 6
	v_add_nc_u64_e32 v[14:15], 16, v[4:5]
	v_cmp_gt_i64_e64 s3, s[4:5], v[4:5]
	s_mov_b32 s45, s35
	s_lshl_b64 s[30:31], s[30:31], 1
	s_lshl_b64 s[12:13], s[12:13], 1
	s_add_nc_u64 s[30:31], s[30:31], s[44:45]
	v_add_nc_u32_e32 v25, 0x200, v11
	v_cmp_gt_i64_e64 s4, s[4:5], v[14:15]
	v_cmp_gt_i64_e64 s5, s[6:7], v[20:21]
	s_lshl_b64 s[6:7], s[42:43], 6
	v_add_nc_u32_e32 v27, 0x200, v19
	s_add_nc_u64 s[6:7], s[12:13], s[6:7]
	v_lshl_add_u64 v[12:13], v[12:13], 1, s[30:31]
	v_dual_mov_b32 v11, v3 :: v_dual_lshlrev_b32 v10, 1, v10
	v_lshl_add_u64 v[14:15], v[16:17], 1, s[6:7]
	v_mov_b32_e32 v19, v3
	s_lshl_b64 s[12:13], s[18:19], 4
	s_lshl_b64 s[18:19], s[28:29], 4
	v_add_nc_u64_e32 v[10:11], v[12:13], v[10:11]
	v_cmp_gt_i64_e64 s28, s[36:37], 0
	v_add_nc_u64_e32 v[12:13], v[14:15], v[18:19]
	v_lshl_or_b32 v24, v2, 6, v18
	s_lshl_b64 s[6:7], s[24:25], 4
	s_lshl_b64 s[10:11], s[10:11], 4
	;; [unrolled: 1-line block ×4, first 2 shown]
	s_branch .LBB77_4
.LBB77_2:                               ;   in Loop: Header=BB77_4 Depth=1
	s_wait_xcnt 0x0
	s_or_b32 exec_lo, exec_lo, s26
.LBB77_3:                               ;   in Loop: Header=BB77_4 Depth=1
	s_add_co_i32 s34, s34, 0x10000
	s_delay_alu instid0(SALU_CYCLE_1)
	s_cmp_lt_i32 s34, s33
	s_cbranch_scc0 .LBB77_35
.LBB77_4:                               ; =>This Loop Header: Depth=1
                                        ;     Child Loop BB77_7 Depth 2
	s_wait_xcnt 0x0
	v_mov_b32_e32 v18, s34
	s_and_not1_b32 vcc_lo, exec_lo, s28
	s_clause 0x1
	global_load_b64 v[14:15], v18, s[16:17] scale_offset
	global_load_b64 v[16:17], v18, s[22:23] scale_offset
	s_cbranch_vccnz .LBB77_11
; %bb.5:                                ;   in Loop: Header=BB77_4 Depth=1
	s_lshl_b64 s[26:27], s[34:35], 3
	v_dual_mov_b32 v29, 0 :: v_dual_mov_b32 v28, 0
	s_add_nc_u64 s[30:31], s[14:15], s[26:27]
	s_add_nc_u64 s[26:27], s[8:9], s[26:27]
	s_clause 0x1
	global_load_b64 v[18:19], v3, s[30:31]
	global_load_b64 v[20:21], v3, s[26:27]
	s_wait_xcnt 0x0
	s_mov_b64 s[26:27], 0
	s_wait_loadcnt 0x1
	v_add_nc_u64_e32 v[18:19], v[18:19], v[10:11]
	s_wait_loadcnt 0x0
	v_add_nc_u64_e32 v[20:21], v[20:21], v[12:13]
	s_branch .LBB77_7
.LBB77_6:                               ;   in Loop: Header=BB77_7 Depth=2
	s_wait_xcnt 0x0
	s_or_b32 exec_lo, exec_lo, s29
	s_wait_loadcnt_dscnt 0x0
	ds_store_b16 v25, v23
	s_wait_dscnt 0x0
	s_barrier_signal -1
	s_barrier_wait -1
	ds_load_u16 v22, v26
	ds_load_u16 v23, v26 offset:32
	ds_load_u16 v38, v26 offset:64
	;; [unrolled: 1-line block ×3, first 2 shown]
	ds_load_b128 v[30:33], v27
	ds_load_b128 v[34:37], v27 offset:256
	ds_load_u16 v40, v26 offset:128
	ds_load_u16 v41, v26 offset:160
	;; [unrolled: 1-line block ×6, first 2 shown]
	s_add_nc_u64 s[26:27], s[26:27], 8
	v_add_nc_u64_e32 v[18:19], s[18:19], v[18:19]
	v_cmp_lt_i64_e64 s29, s[26:27], s[36:37]
	v_add_nc_u64_e32 v[20:21], s[10:11], v[20:21]
	s_wait_dscnt 0xa
	v_perm_b32 v22, v23, v22, 0x5040100
	ds_load_u16 v23, v26 offset:320
	ds_load_u16 v46, v26 offset:352
	s_wait_dscnt 0xa
	v_perm_b32 v38, v39, v38, 0x5040100
	s_and_b32 vcc_lo, exec_lo, s29
	s_wait_dscnt 0x9
	v_pk_fma_f16 v29, v22, v30, v29 op_sel_hi:[1,0,1]
	s_wait_dscnt 0x8
	v_pk_fma_f16 v22, v22, v34, v28 op_sel_hi:[1,0,1]
	ds_load_u16 v28, v26 offset:384
	ds_load_u16 v39, v26 offset:416
	s_wait_dscnt 0x8
	v_perm_b32 v40, v41, v40, 0x5040100
	v_pk_fma_f16 v29, v38, v30, v29 op_sel:[0,1,0]
	v_pk_fma_f16 v22, v38, v34, v22 op_sel:[0,1,0]
	ds_load_u16 v30, v26 offset:448
	ds_load_u16 v34, v26 offset:480
	s_wait_dscnt 0x8
	v_perm_b32 v38, v43, v42, 0x5040100
	s_wait_dscnt 0x0
	v_pk_fma_f16 v29, v40, v31, v29 op_sel_hi:[1,0,1]
	v_pk_fma_f16 v22, v40, v35, v22 op_sel_hi:[1,0,1]
	v_perm_b32 v40, v45, v44, 0x5040100
	s_barrier_signal -1
	s_barrier_wait -1
	v_pk_fma_f16 v29, v38, v31, v29 op_sel:[0,1,0]
	v_pk_fma_f16 v22, v38, v35, v22 op_sel:[0,1,0]
	v_perm_b32 v23, v46, v23, 0x5040100
	s_delay_alu instid0(VALU_DEP_3) | instskip(NEXT) | instid1(VALU_DEP_3)
	v_pk_fma_f16 v29, v40, v32, v29 op_sel_hi:[1,0,1]
	v_pk_fma_f16 v22, v40, v36, v22 op_sel_hi:[1,0,1]
	v_perm_b32 v28, v39, v28, 0x5040100
	s_delay_alu instid0(VALU_DEP_3) | instskip(NEXT) | instid1(VALU_DEP_3)
	v_pk_fma_f16 v29, v23, v32, v29 op_sel:[0,1,0]
	v_pk_fma_f16 v22, v23, v36, v22 op_sel:[0,1,0]
	v_perm_b32 v23, v34, v30, 0x5040100
	s_delay_alu instid0(VALU_DEP_3) | instskip(NEXT) | instid1(VALU_DEP_3)
	v_pk_fma_f16 v29, v28, v33, v29 op_sel_hi:[1,0,1]
	v_pk_fma_f16 v22, v28, v37, v22 op_sel_hi:[1,0,1]
	s_delay_alu instid0(VALU_DEP_2) | instskip(NEXT) | instid1(VALU_DEP_2)
	v_pk_fma_f16 v29, v23, v33, v29 op_sel:[0,1,0]
	v_pk_fma_f16 v28, v23, v37, v22 op_sel:[0,1,0]
	s_cbranch_vccz .LBB77_12
.LBB77_7:                               ;   Parent Loop BB77_4 Depth=1
                                        ; =>  This Inner Loop Header: Depth=2
	v_add_nc_u64_e32 v[22:23], s[26:27], v[2:3]
	s_delay_alu instid0(VALU_DEP_1) | instskip(SKIP_2) | instid1(SALU_CYCLE_1)
	v_cmp_gt_i64_e32 vcc_lo, s[36:37], v[22:23]
	v_mov_b32_e32 v22, 0
	s_and_b32 s30, s0, vcc_lo
	s_and_saveexec_b32 s29, s30
	s_cbranch_execz .LBB77_9
; %bb.8:                                ;   in Loop: Header=BB77_7 Depth=2
	flat_load_u16 v22, v[20:21]
.LBB77_9:                               ;   in Loop: Header=BB77_7 Depth=2
	s_wait_xcnt 0x0
	s_or_b32 exec_lo, exec_lo, s29
	v_add_nc_u64_e32 v[30:31], s[26:27], v[0:1]
	v_mov_b32_e32 v23, 0
	s_wait_loadcnt_dscnt 0x0
	ds_store_b16 v24, v22
	v_cmp_gt_i64_e32 vcc_lo, s[36:37], v[30:31]
	s_and_b32 s30, vcc_lo, s1
	s_delay_alu instid0(SALU_CYCLE_1)
	s_and_saveexec_b32 s29, s30
	s_cbranch_execz .LBB77_6
; %bb.10:                               ;   in Loop: Header=BB77_7 Depth=2
	flat_load_u16 v23, v[18:19]
	s_branch .LBB77_6
.LBB77_11:                              ;   in Loop: Header=BB77_4 Depth=1
	v_dual_mov_b32 v28, 0 :: v_dual_mov_b32 v29, 0
.LBB77_12:                              ;   in Loop: Header=BB77_4 Depth=1
	s_wait_loadcnt 0x0
	v_add_nc_u64_e32 v[16:17], s[24:25], v[16:17]
	s_and_not1_b32 vcc_lo, exec_lo, s40
	s_cbranch_vccnz .LBB77_17
; %bb.13:                               ;   in Loop: Header=BB77_4 Depth=1
	s_wait_xcnt 0x0
	s_and_saveexec_b32 s26, s2
	s_cbranch_execz .LBB77_24
; %bb.14:                               ;   in Loop: Header=BB77_4 Depth=1
	s_delay_alu instid0(VALU_DEP_1) | instskip(NEXT) | instid1(VALU_DEP_1)
	v_lshl_add_u64 v[18:19], v[6:7], 1, v[16:17]
	v_lshl_add_u64 v[20:21], v[4:5], 1, v[18:19]
	s_and_saveexec_b32 s27, s3
	s_cbranch_execnz .LBB77_18
; %bb.15:                               ;   in Loop: Header=BB77_4 Depth=1
	s_or_b32 exec_lo, exec_lo, s27
	s_and_saveexec_b32 s27, s4
	s_cbranch_execnz .LBB77_19
.LBB77_16:                              ;   in Loop: Header=BB77_4 Depth=1
	s_or_b32 exec_lo, exec_lo, s27
	s_delay_alu instid0(SALU_CYCLE_1)
	s_and_b32 exec_lo, exec_lo, s5
	s_cbranch_execnz .LBB77_20
	s_branch .LBB77_24
.LBB77_17:                              ;   in Loop: Header=BB77_4 Depth=1
	s_branch .LBB77_25
.LBB77_18:                              ;   in Loop: Header=BB77_4 Depth=1
	v_mul_f16_e32 v22, s38, v29
	flat_store_b16 v[20:21], v22
	s_wait_xcnt 0x0
	s_or_b32 exec_lo, exec_lo, s27
	s_and_saveexec_b32 s27, s4
	s_cbranch_execz .LBB77_16
.LBB77_19:                              ;   in Loop: Header=BB77_4 Depth=1
	v_lshrrev_b32_e32 v22, 16, v29
	s_delay_alu instid0(VALU_DEP_1) | instskip(SKIP_3) | instid1(SALU_CYCLE_1)
	v_mul_f16_e32 v22, s38, v22
	flat_store_b16 v[20:21], v22 offset:32
	s_wait_xcnt 0x0
	s_or_b32 exec_lo, exec_lo, s27
	s_and_b32 exec_lo, exec_lo, s5
	s_cbranch_execz .LBB77_24
.LBB77_20:                              ;   in Loop: Header=BB77_4 Depth=1
	v_lshl_add_u64 v[18:19], s[6:7], 1, v[18:19]
	s_delay_alu instid0(VALU_DEP_1)
	v_lshl_add_u64 v[18:19], v[4:5], 1, v[18:19]
	s_and_saveexec_b32 s27, s3
	s_cbranch_execz .LBB77_22
; %bb.21:                               ;   in Loop: Header=BB77_4 Depth=1
	v_mul_f16_e32 v20, s38, v28
	flat_store_b16 v[18:19], v20
.LBB77_22:                              ;   in Loop: Header=BB77_4 Depth=1
	s_wait_xcnt 0x0
	s_or_b32 exec_lo, exec_lo, s27
	s_delay_alu instid0(SALU_CYCLE_1)
	s_and_b32 exec_lo, exec_lo, s4
	s_cbranch_execz .LBB77_24
; %bb.23:                               ;   in Loop: Header=BB77_4 Depth=1
	v_lshrrev_b32_e32 v20, 16, v28
	s_delay_alu instid0(VALU_DEP_1)
	v_mul_f16_e32 v20, s38, v20
	flat_store_b16 v[18:19], v20 offset:32
.LBB77_24:                              ;   in Loop: Header=BB77_4 Depth=1
	s_wait_xcnt 0x0
	s_or_b32 exec_lo, exec_lo, s26
	s_cbranch_execnz .LBB77_3
.LBB77_25:                              ;   in Loop: Header=BB77_4 Depth=1
	s_wait_xcnt 0x0
	s_and_saveexec_b32 s26, s2
	s_cbranch_execz .LBB77_2
; %bb.26:                               ;   in Loop: Header=BB77_4 Depth=1
	v_add_nc_u64_e32 v[18:19], s[20:21], v[14:15]
	v_lshlrev_b64_e32 v[14:15], 1, v[4:5]
	v_lshl_add_u64 v[16:17], v[6:7], 1, v[16:17]
	s_delay_alu instid0(VALU_DEP_3) | instskip(NEXT) | instid1(VALU_DEP_2)
	v_lshl_add_u64 v[18:19], v[8:9], 1, v[18:19]
	v_add_nc_u64_e32 v[20:21], v[16:17], v[14:15]
	s_delay_alu instid0(VALU_DEP_2)
	v_add_nc_u64_e32 v[22:23], v[18:19], v[14:15]
	s_and_saveexec_b32 s27, s3
	s_cbranch_execnz .LBB77_29
; %bb.27:                               ;   in Loop: Header=BB77_4 Depth=1
	s_or_b32 exec_lo, exec_lo, s27
	s_and_saveexec_b32 s27, s4
	s_cbranch_execnz .LBB77_30
.LBB77_28:                              ;   in Loop: Header=BB77_4 Depth=1
	s_or_b32 exec_lo, exec_lo, s27
	s_delay_alu instid0(SALU_CYCLE_1)
	s_and_b32 exec_lo, exec_lo, s5
	s_cbranch_execz .LBB77_2
	s_branch .LBB77_31
.LBB77_29:                              ;   in Loop: Header=BB77_4 Depth=1
	flat_load_u16 v30, v[22:23]
	s_wait_loadcnt_dscnt 0x0
	v_mul_f16_e32 v30, s39, v30
	s_delay_alu instid0(VALU_DEP_1)
	v_fmac_f16_e32 v30, s38, v29
	flat_store_b16 v[20:21], v30
	s_wait_xcnt 0x0
	s_or_b32 exec_lo, exec_lo, s27
	s_and_saveexec_b32 s27, s4
	s_cbranch_execz .LBB77_28
.LBB77_30:                              ;   in Loop: Header=BB77_4 Depth=1
	flat_load_u16 v22, v[22:23] offset:32
	s_wait_xcnt 0x0
	v_lshrrev_b32_e32 v23, 16, v29
	s_wait_loadcnt_dscnt 0x0
	v_mul_f16_e32 v22, s39, v22
	s_delay_alu instid0(VALU_DEP_1) | instskip(SKIP_3) | instid1(SALU_CYCLE_1)
	v_fmac_f16_e32 v22, s38, v23
	flat_store_b16 v[20:21], v22 offset:32
	s_wait_xcnt 0x0
	s_or_b32 exec_lo, exec_lo, s27
	s_and_b32 exec_lo, exec_lo, s5
	s_cbranch_execz .LBB77_2
.LBB77_31:                              ;   in Loop: Header=BB77_4 Depth=1
	v_lshl_add_u64 v[18:19], s[12:13], 1, v[18:19]
	v_lshl_add_u64 v[20:21], s[6:7], 1, v[16:17]
	s_delay_alu instid0(VALU_DEP_2) | instskip(NEXT) | instid1(VALU_DEP_2)
	v_add_nc_u64_e32 v[16:17], v[18:19], v[14:15]
	v_add_nc_u64_e32 v[14:15], v[20:21], v[14:15]
	s_and_saveexec_b32 s27, s3
	s_cbranch_execz .LBB77_33
; %bb.32:                               ;   in Loop: Header=BB77_4 Depth=1
	flat_load_u16 v18, v[16:17]
	s_wait_loadcnt_dscnt 0x0
	v_mul_f16_e32 v18, s39, v18
	s_delay_alu instid0(VALU_DEP_1)
	v_fmac_f16_e32 v18, s38, v28
	flat_store_b16 v[14:15], v18
.LBB77_33:                              ;   in Loop: Header=BB77_4 Depth=1
	s_wait_xcnt 0x0
	s_or_b32 exec_lo, exec_lo, s27
	s_delay_alu instid0(SALU_CYCLE_1)
	s_and_b32 exec_lo, exec_lo, s4
	s_cbranch_execz .LBB77_2
; %bb.34:                               ;   in Loop: Header=BB77_4 Depth=1
	flat_load_u16 v16, v[16:17] offset:32
	s_wait_xcnt 0x0
	v_lshrrev_b32_e32 v17, 16, v28
	s_wait_loadcnt_dscnt 0x0
	v_mul_f16_e32 v16, s39, v16
	s_delay_alu instid0(VALU_DEP_1)
	v_fmac_f16_e32 v16, s38, v17
	flat_store_b16 v[14:15], v16 offset:32
	s_branch .LBB77_2
.LBB77_35:
	s_endpgm
	.section	.rodata,"a",@progbits
	.p2align	6, 0x0
	.amdhsa_kernel _ZN12_GLOBAL__N_135rocblas_gemm_batched_general_kernelIDF16_Li16ELi16ELi32ELi32ELi8ELi32ELi8ELi8ELi32ELc78ELc84EKPKDF16_S3_KPDF16_EEvlllT_PT11_llS8_llS6_PT12_llPT13_lli
		.amdhsa_group_segment_fixed_size 1024
		.amdhsa_private_segment_fixed_size 0
		.amdhsa_kernarg_size 140
		.amdhsa_user_sgpr_count 2
		.amdhsa_user_sgpr_dispatch_ptr 0
		.amdhsa_user_sgpr_queue_ptr 0
		.amdhsa_user_sgpr_kernarg_segment_ptr 1
		.amdhsa_user_sgpr_dispatch_id 0
		.amdhsa_user_sgpr_kernarg_preload_length 0
		.amdhsa_user_sgpr_kernarg_preload_offset 0
		.amdhsa_user_sgpr_private_segment_size 0
		.amdhsa_wavefront_size32 1
		.amdhsa_uses_dynamic_stack 0
		.amdhsa_enable_private_segment 0
		.amdhsa_system_sgpr_workgroup_id_x 1
		.amdhsa_system_sgpr_workgroup_id_y 1
		.amdhsa_system_sgpr_workgroup_id_z 1
		.amdhsa_system_sgpr_workgroup_info 0
		.amdhsa_system_vgpr_workitem_id 1
		.amdhsa_next_free_vgpr 47
		.amdhsa_next_free_sgpr 46
		.amdhsa_named_barrier_count 0
		.amdhsa_reserve_vcc 1
		.amdhsa_float_round_mode_32 0
		.amdhsa_float_round_mode_16_64 0
		.amdhsa_float_denorm_mode_32 3
		.amdhsa_float_denorm_mode_16_64 3
		.amdhsa_fp16_overflow 0
		.amdhsa_memory_ordered 1
		.amdhsa_forward_progress 1
		.amdhsa_inst_pref_size 15
		.amdhsa_round_robin_scheduling 0
		.amdhsa_exception_fp_ieee_invalid_op 0
		.amdhsa_exception_fp_denorm_src 0
		.amdhsa_exception_fp_ieee_div_zero 0
		.amdhsa_exception_fp_ieee_overflow 0
		.amdhsa_exception_fp_ieee_underflow 0
		.amdhsa_exception_fp_ieee_inexact 0
		.amdhsa_exception_int_div_zero 0
	.end_amdhsa_kernel
	.section	.text._ZN12_GLOBAL__N_135rocblas_gemm_batched_general_kernelIDF16_Li16ELi16ELi32ELi32ELi8ELi32ELi8ELi8ELi32ELc78ELc84EKPKDF16_S3_KPDF16_EEvlllT_PT11_llS8_llS6_PT12_llPT13_lli,"axG",@progbits,_ZN12_GLOBAL__N_135rocblas_gemm_batched_general_kernelIDF16_Li16ELi16ELi32ELi32ELi8ELi32ELi8ELi8ELi32ELc78ELc84EKPKDF16_S3_KPDF16_EEvlllT_PT11_llS8_llS6_PT12_llPT13_lli,comdat
.Lfunc_end77:
	.size	_ZN12_GLOBAL__N_135rocblas_gemm_batched_general_kernelIDF16_Li16ELi16ELi32ELi32ELi8ELi32ELi8ELi8ELi32ELc78ELc84EKPKDF16_S3_KPDF16_EEvlllT_PT11_llS8_llS6_PT12_llPT13_lli, .Lfunc_end77-_ZN12_GLOBAL__N_135rocblas_gemm_batched_general_kernelIDF16_Li16ELi16ELi32ELi32ELi8ELi32ELi8ELi8ELi32ELc78ELc84EKPKDF16_S3_KPDF16_EEvlllT_PT11_llS8_llS6_PT12_llPT13_lli
                                        ; -- End function
	.set _ZN12_GLOBAL__N_135rocblas_gemm_batched_general_kernelIDF16_Li16ELi16ELi32ELi32ELi8ELi32ELi8ELi8ELi32ELc78ELc84EKPKDF16_S3_KPDF16_EEvlllT_PT11_llS8_llS6_PT12_llPT13_lli.num_vgpr, 47
	.set _ZN12_GLOBAL__N_135rocblas_gemm_batched_general_kernelIDF16_Li16ELi16ELi32ELi32ELi8ELi32ELi8ELi8ELi32ELc78ELc84EKPKDF16_S3_KPDF16_EEvlllT_PT11_llS8_llS6_PT12_llPT13_lli.num_agpr, 0
	.set _ZN12_GLOBAL__N_135rocblas_gemm_batched_general_kernelIDF16_Li16ELi16ELi32ELi32ELi8ELi32ELi8ELi8ELi32ELc78ELc84EKPKDF16_S3_KPDF16_EEvlllT_PT11_llS8_llS6_PT12_llPT13_lli.numbered_sgpr, 46
	.set _ZN12_GLOBAL__N_135rocblas_gemm_batched_general_kernelIDF16_Li16ELi16ELi32ELi32ELi8ELi32ELi8ELi8ELi32ELc78ELc84EKPKDF16_S3_KPDF16_EEvlllT_PT11_llS8_llS6_PT12_llPT13_lli.num_named_barrier, 0
	.set _ZN12_GLOBAL__N_135rocblas_gemm_batched_general_kernelIDF16_Li16ELi16ELi32ELi32ELi8ELi32ELi8ELi8ELi32ELc78ELc84EKPKDF16_S3_KPDF16_EEvlllT_PT11_llS8_llS6_PT12_llPT13_lli.private_seg_size, 0
	.set _ZN12_GLOBAL__N_135rocblas_gemm_batched_general_kernelIDF16_Li16ELi16ELi32ELi32ELi8ELi32ELi8ELi8ELi32ELc78ELc84EKPKDF16_S3_KPDF16_EEvlllT_PT11_llS8_llS6_PT12_llPT13_lli.uses_vcc, 1
	.set _ZN12_GLOBAL__N_135rocblas_gemm_batched_general_kernelIDF16_Li16ELi16ELi32ELi32ELi8ELi32ELi8ELi8ELi32ELc78ELc84EKPKDF16_S3_KPDF16_EEvlllT_PT11_llS8_llS6_PT12_llPT13_lli.uses_flat_scratch, 0
	.set _ZN12_GLOBAL__N_135rocblas_gemm_batched_general_kernelIDF16_Li16ELi16ELi32ELi32ELi8ELi32ELi8ELi8ELi32ELc78ELc84EKPKDF16_S3_KPDF16_EEvlllT_PT11_llS8_llS6_PT12_llPT13_lli.has_dyn_sized_stack, 0
	.set _ZN12_GLOBAL__N_135rocblas_gemm_batched_general_kernelIDF16_Li16ELi16ELi32ELi32ELi8ELi32ELi8ELi8ELi32ELc78ELc84EKPKDF16_S3_KPDF16_EEvlllT_PT11_llS8_llS6_PT12_llPT13_lli.has_recursion, 0
	.set _ZN12_GLOBAL__N_135rocblas_gemm_batched_general_kernelIDF16_Li16ELi16ELi32ELi32ELi8ELi32ELi8ELi8ELi32ELc78ELc84EKPKDF16_S3_KPDF16_EEvlllT_PT11_llS8_llS6_PT12_llPT13_lli.has_indirect_call, 0
	.section	.AMDGPU.csdata,"",@progbits
; Kernel info:
; codeLenInByte = 1916
; TotalNumSgprs: 48
; NumVgprs: 47
; ScratchSize: 0
; MemoryBound: 0
; FloatMode: 240
; IeeeMode: 1
; LDSByteSize: 1024 bytes/workgroup (compile time only)
; SGPRBlocks: 0
; VGPRBlocks: 2
; NumSGPRsForWavesPerEU: 48
; NumVGPRsForWavesPerEU: 47
; NamedBarCnt: 0
; Occupancy: 16
; WaveLimiterHint : 1
; COMPUTE_PGM_RSRC2:SCRATCH_EN: 0
; COMPUTE_PGM_RSRC2:USER_SGPR: 2
; COMPUTE_PGM_RSRC2:TRAP_HANDLER: 0
; COMPUTE_PGM_RSRC2:TGID_X_EN: 1
; COMPUTE_PGM_RSRC2:TGID_Y_EN: 1
; COMPUTE_PGM_RSRC2:TGID_Z_EN: 1
; COMPUTE_PGM_RSRC2:TIDIG_COMP_CNT: 1
	.section	.text._ZN12_GLOBAL__N_135rocblas_gemm_batched_general_kernelIDF16_Li16ELi16ELi32ELi32ELi8ELi32ELi8ELi8ELi32ELc84ELc84EKPKDF16_S3_KPDF16_EEvlllT_PT11_llS8_llS6_PT12_llPT13_lli,"axG",@progbits,_ZN12_GLOBAL__N_135rocblas_gemm_batched_general_kernelIDF16_Li16ELi16ELi32ELi32ELi8ELi32ELi8ELi8ELi32ELc84ELc84EKPKDF16_S3_KPDF16_EEvlllT_PT11_llS8_llS6_PT12_llPT13_lli,comdat
	.globl	_ZN12_GLOBAL__N_135rocblas_gemm_batched_general_kernelIDF16_Li16ELi16ELi32ELi32ELi8ELi32ELi8ELi8ELi32ELc84ELc84EKPKDF16_S3_KPDF16_EEvlllT_PT11_llS8_llS6_PT12_llPT13_lli ; -- Begin function _ZN12_GLOBAL__N_135rocblas_gemm_batched_general_kernelIDF16_Li16ELi16ELi32ELi32ELi8ELi32ELi8ELi8ELi32ELc84ELc84EKPKDF16_S3_KPDF16_EEvlllT_PT11_llS8_llS6_PT12_llPT13_lli
	.p2align	8
	.type	_ZN12_GLOBAL__N_135rocblas_gemm_batched_general_kernelIDF16_Li16ELi16ELi32ELi32ELi8ELi32ELi8ELi8ELi32ELc84ELc84EKPKDF16_S3_KPDF16_EEvlllT_PT11_llS8_llS6_PT12_llPT13_lli,@function
_ZN12_GLOBAL__N_135rocblas_gemm_batched_general_kernelIDF16_Li16ELi16ELi32ELi32ELi8ELi32ELi8ELi8ELi32ELc84ELc84EKPKDF16_S3_KPDF16_EEvlllT_PT11_llS8_llS6_PT12_llPT13_lli: ; @_ZN12_GLOBAL__N_135rocblas_gemm_batched_general_kernelIDF16_Li16ELi16ELi32ELi32ELi8ELi32ELi8ELi8ELi32ELc84ELc84EKPKDF16_S3_KPDF16_EEvlllT_PT11_llS8_llS6_PT12_llPT13_lli
; %bb.0:
	s_load_b32 s33, s[0:1], 0x88
	s_bfe_u32 s2, ttmp6, 0x40014
	s_lshr_b32 s3, ttmp7, 16
	s_add_co_i32 s2, s2, 1
	s_bfe_u32 s5, ttmp6, 0x40008
	s_mul_i32 s4, s3, s2
	s_getreg_b32 s2, hwreg(HW_REG_IB_STS2, 6, 4)
	s_add_co_i32 s5, s5, s4
	s_cmp_eq_u32 s2, 0
	s_mov_b32 s35, 0
	s_cselect_b32 s34, s3, s5
	s_wait_kmcnt 0x0
	s_cmp_ge_i32 s34, s33
	s_cbranch_scc1 .LBB78_35
; %bb.1:
	v_bfe_u32 v4, v0, 10, 10
	s_clause 0x2
	s_load_b128 s[4:7], s[0:1], 0x0
	s_load_b96 s[36:38], s[0:1], 0x10
	s_load_b256 s[8:15], s[0:1], 0x20
	v_and_b32_e32 v10, 0x3ff, v0
	s_clause 0x3
	s_load_b128 s[24:27], s[0:1], 0x40
	s_load_b32 s39, s[0:1], 0x50
	s_load_b128 s[28:31], s[0:1], 0x78
	s_load_b256 s[16:23], s[0:1], 0x58
	v_dual_mov_b32 v1, 0 :: v_dual_lshlrev_b32 v20, 4, v4
	s_wait_xcnt 0x0
	s_bfe_u32 s1, ttmp6, 0x4000c
	s_bfe_u32 s3, ttmp6, 0x40010
	s_add_co_i32 s1, s1, 1
	s_and_b32 s40, ttmp7, 0xffff
	s_add_co_i32 s3, s3, 1
	s_and_b32 s0, ttmp6, 15
	s_mul_i32 s1, ttmp9, s1
	s_mul_i32 s3, s40, s3
	s_bfe_u32 s41, ttmp6, 0x40004
	v_dual_mov_b32 v5, v1 :: v_dual_add_nc_u32 v8, v20, v10
	s_add_co_i32 s0, s0, s1
	s_add_co_i32 s41, s41, s3
	s_cmp_eq_u32 s2, 0
	s_delay_alu instid0(VALU_DEP_1)
	v_dual_mov_b32 v3, v1 :: v_dual_bitop2_b32 v11, 31, v8 bitop3:0x40
	s_cselect_b32 s0, ttmp9, s0
	s_cselect_b32 s41, s40, s41
	s_ashr_i32 s1, s0, 31
	v_dual_mov_b32 v15, v1 :: v_dual_lshrrev_b32 v14, 3, v8
	s_lshl_b64 s[2:3], s[0:1], 5
	s_delay_alu instid0(SALU_CYCLE_1) | instskip(SKIP_3) | instid1(VALU_DEP_2)
	v_dual_mov_b32 v7, s3 :: v_dual_bitop2_b32 v2, 7, v0 bitop3:0x40
	v_dual_lshrrev_b32 v0, 5, v8 :: v_dual_bitop2_b32 v6, s2, v11 bitop3:0x54
	s_lshl_b32 s0, s41, 5
	s_wait_kmcnt 0x0
	v_mul_u64_e32 v[12:13], s[24:25], v[2:3]
	s_mov_b32 s1, s35
	v_lshlrev_b32_e32 v21, 1, v2
	v_mul_u64_e32 v[16:17], s[10:11], v[6:7]
	v_add_nc_u64_e32 v[8:9], s[0:1], v[14:15]
	v_add_nc_u64_e32 v[18:19], s[0:1], v[4:5]
	v_dual_lshlrev_b32 v15, 1, v11 :: v_dual_mov_b32 v11, v1
	v_lshlrev_b32_e32 v26, 1, v10
	v_cmp_gt_i64_e64 s0, s[4:5], v[6:7]
	s_cmp_eq_f16 s39, 0
	v_cmp_gt_i64_e64 s1, s[6:7], v[8:9]
	v_mul_u64_e32 v[6:7], s[28:29], v[18:19]
	v_mul_u64_e32 v[8:9], s[18:19], v[18:19]
	v_add_nc_u64_e32 v[4:5], s[2:3], v[10:11]
	s_cselect_b32 s40, -1, 0
	s_lshl_b32 s10, s41, 6
	s_mov_b32 s11, s35
	s_lshl_b64 s[26:27], s[26:27], 1
	v_lshl_or_b32 v21, v14, 4, v21
	s_add_nc_u64 s[10:11], s[26:27], s[10:11]
	v_add_nc_u64_e32 v[10:11], 16, v[4:5]
	v_cmp_gt_i64_e64 s3, s[4:5], v[4:5]
	v_lshl_or_b32 v24, v0, 6, v15
	v_cmp_gt_i64_e64 s2, s[6:7], v[18:19]
	v_dual_mov_b32 v15, v1 :: v_dual_lshlrev_b32 v14, 1, v14
	v_cmp_gt_i64_e64 s26, s[36:37], 0
	v_cmp_gt_i64_e64 s4, s[4:5], v[10:11]
	v_add_nc_u64_e32 v[10:11], 16, v[18:19]
	v_dual_mov_b32 v19, v1 :: v_dual_lshlrev_b32 v18, 1, v0
	v_lshl_add_u64 v[12:13], v[12:13], 1, s[10:11]
	s_lshl_b64 s[10:11], s[12:13], 1
	v_add_nc_u32_e32 v25, 0x200, v21
	v_lshl_add_u64 v[16:17], v[16:17], 1, s[10:11]
	v_cmp_gt_i64_e64 s5, s[6:7], v[10:11]
	v_add_nc_u64_e32 v[10:11], v[12:13], v[14:15]
	v_add_nc_u32_e32 v27, 0x200, v20
	s_lshl_b64 s[6:7], s[28:29], 4
	v_add_nc_u64_e32 v[12:13], v[16:17], v[18:19]
	s_lshl_b64 s[10:11], s[18:19], 4
	s_lshl_b64 s[12:13], s[24:25], 4
	;; [unrolled: 1-line block ×4, first 2 shown]
	s_branch .LBB78_4
.LBB78_2:                               ;   in Loop: Header=BB78_4 Depth=1
	s_wait_xcnt 0x0
	s_or_b32 exec_lo, exec_lo, s24
.LBB78_3:                               ;   in Loop: Header=BB78_4 Depth=1
	s_add_co_i32 s34, s34, 0x10000
	s_delay_alu instid0(SALU_CYCLE_1)
	s_cmp_lt_i32 s34, s33
	s_cbranch_scc0 .LBB78_35
.LBB78_4:                               ; =>This Loop Header: Depth=1
                                        ;     Child Loop BB78_7 Depth 2
	s_wait_xcnt 0x0
	v_mov_b32_e32 v18, s34
	s_and_not1_b32 vcc_lo, exec_lo, s26
	s_clause 0x1
	global_load_b64 v[14:15], v18, s[16:17] scale_offset
	global_load_b64 v[16:17], v18, s[22:23] scale_offset
	s_cbranch_vccnz .LBB78_11
; %bb.5:                                ;   in Loop: Header=BB78_4 Depth=1
	s_lshl_b64 s[24:25], s[34:35], 3
	v_dual_mov_b32 v29, 0 :: v_dual_mov_b32 v28, 0
	s_add_nc_u64 s[28:29], s[14:15], s[24:25]
	s_add_nc_u64 s[24:25], s[8:9], s[24:25]
	s_clause 0x1
	global_load_b64 v[18:19], v1, s[28:29]
	global_load_b64 v[20:21], v1, s[24:25]
	s_wait_xcnt 0x0
	s_mov_b64 s[24:25], 0
	s_wait_loadcnt 0x1
	v_add_nc_u64_e32 v[18:19], v[18:19], v[10:11]
	s_wait_loadcnt 0x0
	v_add_nc_u64_e32 v[20:21], v[20:21], v[12:13]
	s_branch .LBB78_7
.LBB78_6:                               ;   in Loop: Header=BB78_7 Depth=2
	s_wait_xcnt 0x0
	s_or_b32 exec_lo, exec_lo, s27
	s_wait_loadcnt_dscnt 0x0
	ds_store_b16 v25, v23
	s_wait_dscnt 0x0
	s_barrier_signal -1
	s_barrier_wait -1
	ds_load_u16 v22, v26
	ds_load_u16 v23, v26 offset:32
	ds_load_u16 v38, v26 offset:64
	;; [unrolled: 1-line block ×3, first 2 shown]
	ds_load_b128 v[30:33], v27
	ds_load_b128 v[34:37], v27 offset:256
	ds_load_u16 v40, v26 offset:128
	ds_load_u16 v41, v26 offset:160
	;; [unrolled: 1-line block ×6, first 2 shown]
	s_add_nc_u64 s[24:25], s[24:25], 8
	v_add_nc_u64_e32 v[18:19], s[12:13], v[18:19]
	v_cmp_lt_i64_e64 s27, s[24:25], s[36:37]
	v_add_nc_u64_e32 v[20:21], 16, v[20:21]
	s_wait_dscnt 0xa
	v_perm_b32 v22, v23, v22, 0x5040100
	ds_load_u16 v23, v26 offset:320
	ds_load_u16 v46, v26 offset:352
	s_wait_dscnt 0xa
	v_perm_b32 v38, v39, v38, 0x5040100
	s_and_b32 vcc_lo, exec_lo, s27
	s_wait_dscnt 0x9
	v_pk_fma_f16 v29, v22, v30, v29 op_sel_hi:[1,0,1]
	s_wait_dscnt 0x8
	v_pk_fma_f16 v22, v22, v34, v28 op_sel_hi:[1,0,1]
	ds_load_u16 v28, v26 offset:384
	ds_load_u16 v39, v26 offset:416
	s_wait_dscnt 0x8
	v_perm_b32 v40, v41, v40, 0x5040100
	v_pk_fma_f16 v29, v38, v30, v29 op_sel:[0,1,0]
	v_pk_fma_f16 v22, v38, v34, v22 op_sel:[0,1,0]
	ds_load_u16 v30, v26 offset:448
	ds_load_u16 v34, v26 offset:480
	s_wait_dscnt 0x8
	v_perm_b32 v38, v43, v42, 0x5040100
	s_wait_dscnt 0x0
	v_pk_fma_f16 v29, v40, v31, v29 op_sel_hi:[1,0,1]
	v_pk_fma_f16 v22, v40, v35, v22 op_sel_hi:[1,0,1]
	v_perm_b32 v40, v45, v44, 0x5040100
	s_barrier_signal -1
	s_barrier_wait -1
	v_pk_fma_f16 v29, v38, v31, v29 op_sel:[0,1,0]
	v_pk_fma_f16 v22, v38, v35, v22 op_sel:[0,1,0]
	v_perm_b32 v23, v46, v23, 0x5040100
	s_delay_alu instid0(VALU_DEP_3) | instskip(NEXT) | instid1(VALU_DEP_3)
	v_pk_fma_f16 v29, v40, v32, v29 op_sel_hi:[1,0,1]
	v_pk_fma_f16 v22, v40, v36, v22 op_sel_hi:[1,0,1]
	v_perm_b32 v28, v39, v28, 0x5040100
	s_delay_alu instid0(VALU_DEP_3) | instskip(NEXT) | instid1(VALU_DEP_3)
	v_pk_fma_f16 v29, v23, v32, v29 op_sel:[0,1,0]
	v_pk_fma_f16 v22, v23, v36, v22 op_sel:[0,1,0]
	v_perm_b32 v23, v34, v30, 0x5040100
	s_delay_alu instid0(VALU_DEP_3) | instskip(NEXT) | instid1(VALU_DEP_3)
	v_pk_fma_f16 v29, v28, v33, v29 op_sel_hi:[1,0,1]
	v_pk_fma_f16 v22, v28, v37, v22 op_sel_hi:[1,0,1]
	s_delay_alu instid0(VALU_DEP_2) | instskip(NEXT) | instid1(VALU_DEP_2)
	v_pk_fma_f16 v29, v23, v33, v29 op_sel:[0,1,0]
	v_pk_fma_f16 v28, v23, v37, v22 op_sel:[0,1,0]
	s_cbranch_vccz .LBB78_12
.LBB78_7:                               ;   Parent Loop BB78_4 Depth=1
                                        ; =>  This Inner Loop Header: Depth=2
	v_add_nc_u64_e32 v[22:23], s[24:25], v[0:1]
	s_delay_alu instid0(VALU_DEP_1) | instskip(SKIP_2) | instid1(SALU_CYCLE_1)
	v_cmp_gt_i64_e32 vcc_lo, s[36:37], v[22:23]
	v_mov_b32_e32 v22, 0
	s_and_b32 s28, s0, vcc_lo
	s_and_saveexec_b32 s27, s28
	s_cbranch_execz .LBB78_9
; %bb.8:                                ;   in Loop: Header=BB78_7 Depth=2
	flat_load_u16 v22, v[20:21]
.LBB78_9:                               ;   in Loop: Header=BB78_7 Depth=2
	s_wait_xcnt 0x0
	s_or_b32 exec_lo, exec_lo, s27
	v_add_nc_u64_e32 v[30:31], s[24:25], v[2:3]
	v_mov_b32_e32 v23, 0
	s_wait_loadcnt_dscnt 0x0
	ds_store_b16 v24, v22
	v_cmp_gt_i64_e32 vcc_lo, s[36:37], v[30:31]
	s_and_b32 s28, vcc_lo, s1
	s_delay_alu instid0(SALU_CYCLE_1)
	s_and_saveexec_b32 s27, s28
	s_cbranch_execz .LBB78_6
; %bb.10:                               ;   in Loop: Header=BB78_7 Depth=2
	flat_load_u16 v23, v[18:19]
	s_branch .LBB78_6
.LBB78_11:                              ;   in Loop: Header=BB78_4 Depth=1
	v_dual_mov_b32 v28, 0 :: v_dual_mov_b32 v29, 0
.LBB78_12:                              ;   in Loop: Header=BB78_4 Depth=1
	s_wait_loadcnt 0x0
	v_add_nc_u64_e32 v[16:17], s[18:19], v[16:17]
	s_and_not1_b32 vcc_lo, exec_lo, s40
	s_cbranch_vccnz .LBB78_17
; %bb.13:                               ;   in Loop: Header=BB78_4 Depth=1
	s_wait_xcnt 0x0
	s_and_saveexec_b32 s24, s2
	s_cbranch_execz .LBB78_24
; %bb.14:                               ;   in Loop: Header=BB78_4 Depth=1
	s_delay_alu instid0(VALU_DEP_1) | instskip(NEXT) | instid1(VALU_DEP_1)
	v_lshl_add_u64 v[18:19], v[6:7], 1, v[16:17]
	v_lshl_add_u64 v[20:21], v[4:5], 1, v[18:19]
	s_and_saveexec_b32 s25, s3
	s_cbranch_execnz .LBB78_18
; %bb.15:                               ;   in Loop: Header=BB78_4 Depth=1
	s_or_b32 exec_lo, exec_lo, s25
	s_and_saveexec_b32 s25, s4
	s_cbranch_execnz .LBB78_19
.LBB78_16:                              ;   in Loop: Header=BB78_4 Depth=1
	s_or_b32 exec_lo, exec_lo, s25
	s_delay_alu instid0(SALU_CYCLE_1)
	s_and_b32 exec_lo, exec_lo, s5
	s_cbranch_execnz .LBB78_20
	s_branch .LBB78_24
.LBB78_17:                              ;   in Loop: Header=BB78_4 Depth=1
	s_branch .LBB78_25
.LBB78_18:                              ;   in Loop: Header=BB78_4 Depth=1
	v_mul_f16_e32 v22, s38, v29
	flat_store_b16 v[20:21], v22
	s_wait_xcnt 0x0
	s_or_b32 exec_lo, exec_lo, s25
	s_and_saveexec_b32 s25, s4
	s_cbranch_execz .LBB78_16
.LBB78_19:                              ;   in Loop: Header=BB78_4 Depth=1
	v_lshrrev_b32_e32 v22, 16, v29
	s_delay_alu instid0(VALU_DEP_1) | instskip(SKIP_3) | instid1(SALU_CYCLE_1)
	v_mul_f16_e32 v22, s38, v22
	flat_store_b16 v[20:21], v22 offset:32
	s_wait_xcnt 0x0
	s_or_b32 exec_lo, exec_lo, s25
	s_and_b32 exec_lo, exec_lo, s5
	s_cbranch_execz .LBB78_24
.LBB78_20:                              ;   in Loop: Header=BB78_4 Depth=1
	v_lshl_add_u64 v[18:19], s[6:7], 1, v[18:19]
	s_delay_alu instid0(VALU_DEP_1)
	v_lshl_add_u64 v[18:19], v[4:5], 1, v[18:19]
	s_and_saveexec_b32 s25, s3
	s_cbranch_execz .LBB78_22
; %bb.21:                               ;   in Loop: Header=BB78_4 Depth=1
	v_mul_f16_e32 v20, s38, v28
	flat_store_b16 v[18:19], v20
.LBB78_22:                              ;   in Loop: Header=BB78_4 Depth=1
	s_wait_xcnt 0x0
	s_or_b32 exec_lo, exec_lo, s25
	s_delay_alu instid0(SALU_CYCLE_1)
	s_and_b32 exec_lo, exec_lo, s4
	s_cbranch_execz .LBB78_24
; %bb.23:                               ;   in Loop: Header=BB78_4 Depth=1
	v_lshrrev_b32_e32 v20, 16, v28
	s_delay_alu instid0(VALU_DEP_1)
	v_mul_f16_e32 v20, s38, v20
	flat_store_b16 v[18:19], v20 offset:32
.LBB78_24:                              ;   in Loop: Header=BB78_4 Depth=1
	s_wait_xcnt 0x0
	s_or_b32 exec_lo, exec_lo, s24
	s_cbranch_execnz .LBB78_3
.LBB78_25:                              ;   in Loop: Header=BB78_4 Depth=1
	s_wait_xcnt 0x0
	s_and_saveexec_b32 s24, s2
	s_cbranch_execz .LBB78_2
; %bb.26:                               ;   in Loop: Header=BB78_4 Depth=1
	v_add_nc_u64_e32 v[18:19], s[20:21], v[14:15]
	v_lshlrev_b64_e32 v[14:15], 1, v[4:5]
	v_lshl_add_u64 v[16:17], v[6:7], 1, v[16:17]
	s_delay_alu instid0(VALU_DEP_3) | instskip(NEXT) | instid1(VALU_DEP_2)
	v_lshl_add_u64 v[18:19], v[8:9], 1, v[18:19]
	v_add_nc_u64_e32 v[20:21], v[16:17], v[14:15]
	s_delay_alu instid0(VALU_DEP_2)
	v_add_nc_u64_e32 v[22:23], v[18:19], v[14:15]
	s_and_saveexec_b32 s25, s3
	s_cbranch_execnz .LBB78_29
; %bb.27:                               ;   in Loop: Header=BB78_4 Depth=1
	s_or_b32 exec_lo, exec_lo, s25
	s_and_saveexec_b32 s25, s4
	s_cbranch_execnz .LBB78_30
.LBB78_28:                              ;   in Loop: Header=BB78_4 Depth=1
	s_or_b32 exec_lo, exec_lo, s25
	s_delay_alu instid0(SALU_CYCLE_1)
	s_and_b32 exec_lo, exec_lo, s5
	s_cbranch_execz .LBB78_2
	s_branch .LBB78_31
.LBB78_29:                              ;   in Loop: Header=BB78_4 Depth=1
	flat_load_u16 v30, v[22:23]
	s_wait_loadcnt_dscnt 0x0
	v_mul_f16_e32 v30, s39, v30
	s_delay_alu instid0(VALU_DEP_1)
	v_fmac_f16_e32 v30, s38, v29
	flat_store_b16 v[20:21], v30
	s_wait_xcnt 0x0
	s_or_b32 exec_lo, exec_lo, s25
	s_and_saveexec_b32 s25, s4
	s_cbranch_execz .LBB78_28
.LBB78_30:                              ;   in Loop: Header=BB78_4 Depth=1
	flat_load_u16 v22, v[22:23] offset:32
	s_wait_xcnt 0x0
	v_lshrrev_b32_e32 v23, 16, v29
	s_wait_loadcnt_dscnt 0x0
	v_mul_f16_e32 v22, s39, v22
	s_delay_alu instid0(VALU_DEP_1) | instskip(SKIP_3) | instid1(SALU_CYCLE_1)
	v_fmac_f16_e32 v22, s38, v23
	flat_store_b16 v[20:21], v22 offset:32
	s_wait_xcnt 0x0
	s_or_b32 exec_lo, exec_lo, s25
	s_and_b32 exec_lo, exec_lo, s5
	s_cbranch_execz .LBB78_2
.LBB78_31:                              ;   in Loop: Header=BB78_4 Depth=1
	v_lshl_add_u64 v[18:19], s[10:11], 1, v[18:19]
	v_lshl_add_u64 v[20:21], s[6:7], 1, v[16:17]
	s_delay_alu instid0(VALU_DEP_2) | instskip(NEXT) | instid1(VALU_DEP_2)
	v_add_nc_u64_e32 v[16:17], v[18:19], v[14:15]
	v_add_nc_u64_e32 v[14:15], v[20:21], v[14:15]
	s_and_saveexec_b32 s25, s3
	s_cbranch_execz .LBB78_33
; %bb.32:                               ;   in Loop: Header=BB78_4 Depth=1
	flat_load_u16 v18, v[16:17]
	s_wait_loadcnt_dscnt 0x0
	v_mul_f16_e32 v18, s39, v18
	s_delay_alu instid0(VALU_DEP_1)
	v_fmac_f16_e32 v18, s38, v28
	flat_store_b16 v[14:15], v18
.LBB78_33:                              ;   in Loop: Header=BB78_4 Depth=1
	s_wait_xcnt 0x0
	s_or_b32 exec_lo, exec_lo, s25
	s_delay_alu instid0(SALU_CYCLE_1)
	s_and_b32 exec_lo, exec_lo, s4
	s_cbranch_execz .LBB78_2
; %bb.34:                               ;   in Loop: Header=BB78_4 Depth=1
	flat_load_u16 v16, v[16:17] offset:32
	s_wait_xcnt 0x0
	v_lshrrev_b32_e32 v17, 16, v28
	s_wait_loadcnt_dscnt 0x0
	v_mul_f16_e32 v16, s39, v16
	s_delay_alu instid0(VALU_DEP_1)
	v_fmac_f16_e32 v16, s38, v17
	flat_store_b16 v[14:15], v16 offset:32
	s_branch .LBB78_2
.LBB78_35:
	s_endpgm
	.section	.rodata,"a",@progbits
	.p2align	6, 0x0
	.amdhsa_kernel _ZN12_GLOBAL__N_135rocblas_gemm_batched_general_kernelIDF16_Li16ELi16ELi32ELi32ELi8ELi32ELi8ELi8ELi32ELc84ELc84EKPKDF16_S3_KPDF16_EEvlllT_PT11_llS8_llS6_PT12_llPT13_lli
		.amdhsa_group_segment_fixed_size 1024
		.amdhsa_private_segment_fixed_size 0
		.amdhsa_kernarg_size 140
		.amdhsa_user_sgpr_count 2
		.amdhsa_user_sgpr_dispatch_ptr 0
		.amdhsa_user_sgpr_queue_ptr 0
		.amdhsa_user_sgpr_kernarg_segment_ptr 1
		.amdhsa_user_sgpr_dispatch_id 0
		.amdhsa_user_sgpr_kernarg_preload_length 0
		.amdhsa_user_sgpr_kernarg_preload_offset 0
		.amdhsa_user_sgpr_private_segment_size 0
		.amdhsa_wavefront_size32 1
		.amdhsa_uses_dynamic_stack 0
		.amdhsa_enable_private_segment 0
		.amdhsa_system_sgpr_workgroup_id_x 1
		.amdhsa_system_sgpr_workgroup_id_y 1
		.amdhsa_system_sgpr_workgroup_id_z 1
		.amdhsa_system_sgpr_workgroup_info 0
		.amdhsa_system_vgpr_workitem_id 1
		.amdhsa_next_free_vgpr 47
		.amdhsa_next_free_sgpr 42
		.amdhsa_named_barrier_count 0
		.amdhsa_reserve_vcc 1
		.amdhsa_float_round_mode_32 0
		.amdhsa_float_round_mode_16_64 0
		.amdhsa_float_denorm_mode_32 3
		.amdhsa_float_denorm_mode_16_64 3
		.amdhsa_fp16_overflow 0
		.amdhsa_memory_ordered 1
		.amdhsa_forward_progress 1
		.amdhsa_inst_pref_size 15
		.amdhsa_round_robin_scheduling 0
		.amdhsa_exception_fp_ieee_invalid_op 0
		.amdhsa_exception_fp_denorm_src 0
		.amdhsa_exception_fp_ieee_div_zero 0
		.amdhsa_exception_fp_ieee_overflow 0
		.amdhsa_exception_fp_ieee_underflow 0
		.amdhsa_exception_fp_ieee_inexact 0
		.amdhsa_exception_int_div_zero 0
	.end_amdhsa_kernel
	.section	.text._ZN12_GLOBAL__N_135rocblas_gemm_batched_general_kernelIDF16_Li16ELi16ELi32ELi32ELi8ELi32ELi8ELi8ELi32ELc84ELc84EKPKDF16_S3_KPDF16_EEvlllT_PT11_llS8_llS6_PT12_llPT13_lli,"axG",@progbits,_ZN12_GLOBAL__N_135rocblas_gemm_batched_general_kernelIDF16_Li16ELi16ELi32ELi32ELi8ELi32ELi8ELi8ELi32ELc84ELc84EKPKDF16_S3_KPDF16_EEvlllT_PT11_llS8_llS6_PT12_llPT13_lli,comdat
.Lfunc_end78:
	.size	_ZN12_GLOBAL__N_135rocblas_gemm_batched_general_kernelIDF16_Li16ELi16ELi32ELi32ELi8ELi32ELi8ELi8ELi32ELc84ELc84EKPKDF16_S3_KPDF16_EEvlllT_PT11_llS8_llS6_PT12_llPT13_lli, .Lfunc_end78-_ZN12_GLOBAL__N_135rocblas_gemm_batched_general_kernelIDF16_Li16ELi16ELi32ELi32ELi8ELi32ELi8ELi8ELi32ELc84ELc84EKPKDF16_S3_KPDF16_EEvlllT_PT11_llS8_llS6_PT12_llPT13_lli
                                        ; -- End function
	.set _ZN12_GLOBAL__N_135rocblas_gemm_batched_general_kernelIDF16_Li16ELi16ELi32ELi32ELi8ELi32ELi8ELi8ELi32ELc84ELc84EKPKDF16_S3_KPDF16_EEvlllT_PT11_llS8_llS6_PT12_llPT13_lli.num_vgpr, 47
	.set _ZN12_GLOBAL__N_135rocblas_gemm_batched_general_kernelIDF16_Li16ELi16ELi32ELi32ELi8ELi32ELi8ELi8ELi32ELc84ELc84EKPKDF16_S3_KPDF16_EEvlllT_PT11_llS8_llS6_PT12_llPT13_lli.num_agpr, 0
	.set _ZN12_GLOBAL__N_135rocblas_gemm_batched_general_kernelIDF16_Li16ELi16ELi32ELi32ELi8ELi32ELi8ELi8ELi32ELc84ELc84EKPKDF16_S3_KPDF16_EEvlllT_PT11_llS8_llS6_PT12_llPT13_lli.numbered_sgpr, 42
	.set _ZN12_GLOBAL__N_135rocblas_gemm_batched_general_kernelIDF16_Li16ELi16ELi32ELi32ELi8ELi32ELi8ELi8ELi32ELc84ELc84EKPKDF16_S3_KPDF16_EEvlllT_PT11_llS8_llS6_PT12_llPT13_lli.num_named_barrier, 0
	.set _ZN12_GLOBAL__N_135rocblas_gemm_batched_general_kernelIDF16_Li16ELi16ELi32ELi32ELi8ELi32ELi8ELi8ELi32ELc84ELc84EKPKDF16_S3_KPDF16_EEvlllT_PT11_llS8_llS6_PT12_llPT13_lli.private_seg_size, 0
	.set _ZN12_GLOBAL__N_135rocblas_gemm_batched_general_kernelIDF16_Li16ELi16ELi32ELi32ELi8ELi32ELi8ELi8ELi32ELc84ELc84EKPKDF16_S3_KPDF16_EEvlllT_PT11_llS8_llS6_PT12_llPT13_lli.uses_vcc, 1
	.set _ZN12_GLOBAL__N_135rocblas_gemm_batched_general_kernelIDF16_Li16ELi16ELi32ELi32ELi8ELi32ELi8ELi8ELi32ELc84ELc84EKPKDF16_S3_KPDF16_EEvlllT_PT11_llS8_llS6_PT12_llPT13_lli.uses_flat_scratch, 0
	.set _ZN12_GLOBAL__N_135rocblas_gemm_batched_general_kernelIDF16_Li16ELi16ELi32ELi32ELi8ELi32ELi8ELi8ELi32ELc84ELc84EKPKDF16_S3_KPDF16_EEvlllT_PT11_llS8_llS6_PT12_llPT13_lli.has_dyn_sized_stack, 0
	.set _ZN12_GLOBAL__N_135rocblas_gemm_batched_general_kernelIDF16_Li16ELi16ELi32ELi32ELi8ELi32ELi8ELi8ELi32ELc84ELc84EKPKDF16_S3_KPDF16_EEvlllT_PT11_llS8_llS6_PT12_llPT13_lli.has_recursion, 0
	.set _ZN12_GLOBAL__N_135rocblas_gemm_batched_general_kernelIDF16_Li16ELi16ELi32ELi32ELi8ELi32ELi8ELi8ELi32ELc84ELc84EKPKDF16_S3_KPDF16_EEvlllT_PT11_llS8_llS6_PT12_llPT13_lli.has_indirect_call, 0
	.section	.AMDGPU.csdata,"",@progbits
; Kernel info:
; codeLenInByte = 1916
; TotalNumSgprs: 44
; NumVgprs: 47
; ScratchSize: 0
; MemoryBound: 0
; FloatMode: 240
; IeeeMode: 1
; LDSByteSize: 1024 bytes/workgroup (compile time only)
; SGPRBlocks: 0
; VGPRBlocks: 2
; NumSGPRsForWavesPerEU: 44
; NumVGPRsForWavesPerEU: 47
; NamedBarCnt: 0
; Occupancy: 16
; WaveLimiterHint : 1
; COMPUTE_PGM_RSRC2:SCRATCH_EN: 0
; COMPUTE_PGM_RSRC2:USER_SGPR: 2
; COMPUTE_PGM_RSRC2:TRAP_HANDLER: 0
; COMPUTE_PGM_RSRC2:TGID_X_EN: 1
; COMPUTE_PGM_RSRC2:TGID_Y_EN: 1
; COMPUTE_PGM_RSRC2:TGID_Z_EN: 1
; COMPUTE_PGM_RSRC2:TIDIG_COMP_CNT: 1
	.section	.text._ZN12_GLOBAL__N_135rocblas_gemm_batched_general_kernelIDF16_Li16ELi16ELi32ELi32ELi8ELi32ELi8ELi8ELi32ELc67ELc67EKPKDF16_S3_KPDF16_EEvlllT_PT11_llS8_llS6_PT12_llPT13_lli,"axG",@progbits,_ZN12_GLOBAL__N_135rocblas_gemm_batched_general_kernelIDF16_Li16ELi16ELi32ELi32ELi8ELi32ELi8ELi8ELi32ELc67ELc67EKPKDF16_S3_KPDF16_EEvlllT_PT11_llS8_llS6_PT12_llPT13_lli,comdat
	.globl	_ZN12_GLOBAL__N_135rocblas_gemm_batched_general_kernelIDF16_Li16ELi16ELi32ELi32ELi8ELi32ELi8ELi8ELi32ELc67ELc67EKPKDF16_S3_KPDF16_EEvlllT_PT11_llS8_llS6_PT12_llPT13_lli ; -- Begin function _ZN12_GLOBAL__N_135rocblas_gemm_batched_general_kernelIDF16_Li16ELi16ELi32ELi32ELi8ELi32ELi8ELi8ELi32ELc67ELc67EKPKDF16_S3_KPDF16_EEvlllT_PT11_llS8_llS6_PT12_llPT13_lli
	.p2align	8
	.type	_ZN12_GLOBAL__N_135rocblas_gemm_batched_general_kernelIDF16_Li16ELi16ELi32ELi32ELi8ELi32ELi8ELi8ELi32ELc67ELc67EKPKDF16_S3_KPDF16_EEvlllT_PT11_llS8_llS6_PT12_llPT13_lli,@function
_ZN12_GLOBAL__N_135rocblas_gemm_batched_general_kernelIDF16_Li16ELi16ELi32ELi32ELi8ELi32ELi8ELi8ELi32ELc67ELc67EKPKDF16_S3_KPDF16_EEvlllT_PT11_llS8_llS6_PT12_llPT13_lli: ; @_ZN12_GLOBAL__N_135rocblas_gemm_batched_general_kernelIDF16_Li16ELi16ELi32ELi32ELi8ELi32ELi8ELi8ELi32ELc67ELc67EKPKDF16_S3_KPDF16_EEvlllT_PT11_llS8_llS6_PT12_llPT13_lli
; %bb.0:
	s_load_b32 s33, s[0:1], 0x88
	s_bfe_u32 s2, ttmp6, 0x40014
	s_lshr_b32 s3, ttmp7, 16
	s_add_co_i32 s2, s2, 1
	s_bfe_u32 s5, ttmp6, 0x40008
	s_mul_i32 s4, s3, s2
	s_getreg_b32 s2, hwreg(HW_REG_IB_STS2, 6, 4)
	s_add_co_i32 s5, s5, s4
	s_cmp_eq_u32 s2, 0
	s_mov_b32 s35, 0
	s_cselect_b32 s34, s3, s5
	s_wait_kmcnt 0x0
	s_cmp_ge_i32 s34, s33
	s_cbranch_scc1 .LBB79_35
; %bb.1:
	v_bfe_u32 v4, v0, 10, 10
	s_clause 0x2
	s_load_b128 s[4:7], s[0:1], 0x0
	s_load_b96 s[36:38], s[0:1], 0x10
	s_load_b256 s[8:15], s[0:1], 0x20
	v_and_b32_e32 v10, 0x3ff, v0
	s_clause 0x3
	s_load_b128 s[24:27], s[0:1], 0x40
	s_load_b32 s39, s[0:1], 0x50
	s_load_b128 s[28:31], s[0:1], 0x78
	s_load_b256 s[16:23], s[0:1], 0x58
	v_dual_mov_b32 v1, 0 :: v_dual_lshlrev_b32 v20, 4, v4
	s_wait_xcnt 0x0
	s_bfe_u32 s1, ttmp6, 0x4000c
	s_bfe_u32 s3, ttmp6, 0x40010
	s_add_co_i32 s1, s1, 1
	s_and_b32 s40, ttmp7, 0xffff
	s_add_co_i32 s3, s3, 1
	s_and_b32 s0, ttmp6, 15
	s_mul_i32 s1, ttmp9, s1
	s_mul_i32 s3, s40, s3
	s_bfe_u32 s41, ttmp6, 0x40004
	v_dual_mov_b32 v5, v1 :: v_dual_add_nc_u32 v8, v20, v10
	s_add_co_i32 s0, s0, s1
	s_add_co_i32 s41, s41, s3
	s_cmp_eq_u32 s2, 0
	s_delay_alu instid0(VALU_DEP_1)
	v_dual_mov_b32 v3, v1 :: v_dual_bitop2_b32 v11, 31, v8 bitop3:0x40
	s_cselect_b32 s0, ttmp9, s0
	s_cselect_b32 s41, s40, s41
	s_ashr_i32 s1, s0, 31
	v_dual_mov_b32 v15, v1 :: v_dual_lshrrev_b32 v14, 3, v8
	s_lshl_b64 s[2:3], s[0:1], 5
	s_delay_alu instid0(SALU_CYCLE_1) | instskip(SKIP_3) | instid1(VALU_DEP_2)
	v_dual_mov_b32 v7, s3 :: v_dual_bitop2_b32 v2, 7, v0 bitop3:0x40
	v_dual_lshrrev_b32 v0, 5, v8 :: v_dual_bitop2_b32 v6, s2, v11 bitop3:0x54
	s_lshl_b32 s0, s41, 5
	s_wait_kmcnt 0x0
	v_mul_u64_e32 v[12:13], s[24:25], v[2:3]
	s_mov_b32 s1, s35
	v_lshlrev_b32_e32 v21, 1, v2
	v_mul_u64_e32 v[16:17], s[10:11], v[6:7]
	v_add_nc_u64_e32 v[8:9], s[0:1], v[14:15]
	v_add_nc_u64_e32 v[18:19], s[0:1], v[4:5]
	v_dual_lshlrev_b32 v15, 1, v11 :: v_dual_mov_b32 v11, v1
	v_lshlrev_b32_e32 v26, 1, v10
	v_cmp_gt_i64_e64 s0, s[4:5], v[6:7]
	s_cmp_eq_f16 s39, 0
	v_cmp_gt_i64_e64 s1, s[6:7], v[8:9]
	v_mul_u64_e32 v[6:7], s[28:29], v[18:19]
	v_mul_u64_e32 v[8:9], s[18:19], v[18:19]
	v_add_nc_u64_e32 v[4:5], s[2:3], v[10:11]
	s_cselect_b32 s40, -1, 0
	s_lshl_b32 s10, s41, 6
	s_mov_b32 s11, s35
	s_lshl_b64 s[26:27], s[26:27], 1
	v_lshl_or_b32 v21, v14, 4, v21
	s_add_nc_u64 s[10:11], s[26:27], s[10:11]
	v_add_nc_u64_e32 v[10:11], 16, v[4:5]
	v_cmp_gt_i64_e64 s3, s[4:5], v[4:5]
	v_lshl_or_b32 v24, v0, 6, v15
	v_cmp_gt_i64_e64 s2, s[6:7], v[18:19]
	v_dual_mov_b32 v15, v1 :: v_dual_lshlrev_b32 v14, 1, v14
	v_cmp_gt_i64_e64 s26, s[36:37], 0
	v_cmp_gt_i64_e64 s4, s[4:5], v[10:11]
	v_add_nc_u64_e32 v[10:11], 16, v[18:19]
	v_dual_mov_b32 v19, v1 :: v_dual_lshlrev_b32 v18, 1, v0
	v_lshl_add_u64 v[12:13], v[12:13], 1, s[10:11]
	s_lshl_b64 s[10:11], s[12:13], 1
	v_add_nc_u32_e32 v25, 0x200, v21
	v_lshl_add_u64 v[16:17], v[16:17], 1, s[10:11]
	v_cmp_gt_i64_e64 s5, s[6:7], v[10:11]
	v_add_nc_u64_e32 v[10:11], v[12:13], v[14:15]
	v_add_nc_u32_e32 v27, 0x200, v20
	s_lshl_b64 s[6:7], s[28:29], 4
	v_add_nc_u64_e32 v[12:13], v[16:17], v[18:19]
	s_lshl_b64 s[10:11], s[18:19], 4
	s_lshl_b64 s[12:13], s[24:25], 4
	s_lshl_b64 s[18:19], s[30:31], 1
	s_lshl_b64 s[20:21], s[20:21], 1
	s_branch .LBB79_4
.LBB79_2:                               ;   in Loop: Header=BB79_4 Depth=1
	s_wait_xcnt 0x0
	s_or_b32 exec_lo, exec_lo, s24
.LBB79_3:                               ;   in Loop: Header=BB79_4 Depth=1
	s_add_co_i32 s34, s34, 0x10000
	s_delay_alu instid0(SALU_CYCLE_1)
	s_cmp_lt_i32 s34, s33
	s_cbranch_scc0 .LBB79_35
.LBB79_4:                               ; =>This Loop Header: Depth=1
                                        ;     Child Loop BB79_7 Depth 2
	s_wait_xcnt 0x0
	v_mov_b32_e32 v18, s34
	s_and_not1_b32 vcc_lo, exec_lo, s26
	s_clause 0x1
	global_load_b64 v[14:15], v18, s[16:17] scale_offset
	global_load_b64 v[16:17], v18, s[22:23] scale_offset
	s_cbranch_vccnz .LBB79_11
; %bb.5:                                ;   in Loop: Header=BB79_4 Depth=1
	s_lshl_b64 s[24:25], s[34:35], 3
	v_dual_mov_b32 v29, 0 :: v_dual_mov_b32 v28, 0
	s_add_nc_u64 s[28:29], s[14:15], s[24:25]
	s_add_nc_u64 s[24:25], s[8:9], s[24:25]
	s_clause 0x1
	global_load_b64 v[18:19], v1, s[28:29]
	global_load_b64 v[20:21], v1, s[24:25]
	s_wait_xcnt 0x0
	s_mov_b64 s[24:25], 0
	s_wait_loadcnt 0x1
	v_add_nc_u64_e32 v[18:19], v[18:19], v[10:11]
	s_wait_loadcnt 0x0
	v_add_nc_u64_e32 v[20:21], v[20:21], v[12:13]
	s_branch .LBB79_7
.LBB79_6:                               ;   in Loop: Header=BB79_7 Depth=2
	s_wait_xcnt 0x0
	s_or_b32 exec_lo, exec_lo, s27
	s_wait_loadcnt_dscnt 0x0
	ds_store_b16 v25, v23
	s_wait_dscnt 0x0
	s_barrier_signal -1
	s_barrier_wait -1
	ds_load_u16 v22, v26
	ds_load_u16 v23, v26 offset:32
	ds_load_u16 v38, v26 offset:64
	;; [unrolled: 1-line block ×3, first 2 shown]
	ds_load_b128 v[30:33], v27
	ds_load_b128 v[34:37], v27 offset:256
	ds_load_u16 v40, v26 offset:128
	ds_load_u16 v41, v26 offset:160
	;; [unrolled: 1-line block ×6, first 2 shown]
	s_add_nc_u64 s[24:25], s[24:25], 8
	v_add_nc_u64_e32 v[18:19], s[12:13], v[18:19]
	v_cmp_lt_i64_e64 s27, s[24:25], s[36:37]
	v_add_nc_u64_e32 v[20:21], 16, v[20:21]
	s_wait_dscnt 0xa
	v_perm_b32 v22, v23, v22, 0x5040100
	ds_load_u16 v23, v26 offset:320
	ds_load_u16 v46, v26 offset:352
	s_wait_dscnt 0xa
	v_perm_b32 v38, v39, v38, 0x5040100
	s_and_b32 vcc_lo, exec_lo, s27
	s_wait_dscnt 0x9
	v_pk_fma_f16 v29, v22, v30, v29 op_sel_hi:[1,0,1]
	s_wait_dscnt 0x8
	v_pk_fma_f16 v22, v22, v34, v28 op_sel_hi:[1,0,1]
	ds_load_u16 v28, v26 offset:384
	ds_load_u16 v39, v26 offset:416
	s_wait_dscnt 0x8
	v_perm_b32 v40, v41, v40, 0x5040100
	v_pk_fma_f16 v29, v38, v30, v29 op_sel:[0,1,0]
	v_pk_fma_f16 v22, v38, v34, v22 op_sel:[0,1,0]
	ds_load_u16 v30, v26 offset:448
	ds_load_u16 v34, v26 offset:480
	s_wait_dscnt 0x8
	v_perm_b32 v38, v43, v42, 0x5040100
	s_wait_dscnt 0x0
	v_pk_fma_f16 v29, v40, v31, v29 op_sel_hi:[1,0,1]
	v_pk_fma_f16 v22, v40, v35, v22 op_sel_hi:[1,0,1]
	v_perm_b32 v40, v45, v44, 0x5040100
	s_barrier_signal -1
	s_barrier_wait -1
	v_pk_fma_f16 v29, v38, v31, v29 op_sel:[0,1,0]
	v_pk_fma_f16 v22, v38, v35, v22 op_sel:[0,1,0]
	v_perm_b32 v23, v46, v23, 0x5040100
	s_delay_alu instid0(VALU_DEP_3) | instskip(NEXT) | instid1(VALU_DEP_3)
	v_pk_fma_f16 v29, v40, v32, v29 op_sel_hi:[1,0,1]
	v_pk_fma_f16 v22, v40, v36, v22 op_sel_hi:[1,0,1]
	v_perm_b32 v28, v39, v28, 0x5040100
	s_delay_alu instid0(VALU_DEP_3) | instskip(NEXT) | instid1(VALU_DEP_3)
	v_pk_fma_f16 v29, v23, v32, v29 op_sel:[0,1,0]
	v_pk_fma_f16 v22, v23, v36, v22 op_sel:[0,1,0]
	v_perm_b32 v23, v34, v30, 0x5040100
	s_delay_alu instid0(VALU_DEP_3) | instskip(NEXT) | instid1(VALU_DEP_3)
	v_pk_fma_f16 v29, v28, v33, v29 op_sel_hi:[1,0,1]
	v_pk_fma_f16 v22, v28, v37, v22 op_sel_hi:[1,0,1]
	s_delay_alu instid0(VALU_DEP_2) | instskip(NEXT) | instid1(VALU_DEP_2)
	v_pk_fma_f16 v29, v23, v33, v29 op_sel:[0,1,0]
	v_pk_fma_f16 v28, v23, v37, v22 op_sel:[0,1,0]
	s_cbranch_vccz .LBB79_12
.LBB79_7:                               ;   Parent Loop BB79_4 Depth=1
                                        ; =>  This Inner Loop Header: Depth=2
	v_add_nc_u64_e32 v[22:23], s[24:25], v[0:1]
	s_delay_alu instid0(VALU_DEP_1) | instskip(SKIP_2) | instid1(SALU_CYCLE_1)
	v_cmp_gt_i64_e32 vcc_lo, s[36:37], v[22:23]
	v_mov_b32_e32 v22, 0
	s_and_b32 s28, s0, vcc_lo
	s_and_saveexec_b32 s27, s28
	s_cbranch_execz .LBB79_9
; %bb.8:                                ;   in Loop: Header=BB79_7 Depth=2
	flat_load_u16 v22, v[20:21]
.LBB79_9:                               ;   in Loop: Header=BB79_7 Depth=2
	s_wait_xcnt 0x0
	s_or_b32 exec_lo, exec_lo, s27
	v_add_nc_u64_e32 v[30:31], s[24:25], v[2:3]
	v_mov_b32_e32 v23, 0
	s_wait_loadcnt_dscnt 0x0
	ds_store_b16 v24, v22
	v_cmp_gt_i64_e32 vcc_lo, s[36:37], v[30:31]
	s_and_b32 s28, vcc_lo, s1
	s_delay_alu instid0(SALU_CYCLE_1)
	s_and_saveexec_b32 s27, s28
	s_cbranch_execz .LBB79_6
; %bb.10:                               ;   in Loop: Header=BB79_7 Depth=2
	flat_load_u16 v23, v[18:19]
	s_branch .LBB79_6
.LBB79_11:                              ;   in Loop: Header=BB79_4 Depth=1
	v_dual_mov_b32 v28, 0 :: v_dual_mov_b32 v29, 0
.LBB79_12:                              ;   in Loop: Header=BB79_4 Depth=1
	s_wait_loadcnt 0x0
	v_add_nc_u64_e32 v[16:17], s[18:19], v[16:17]
	s_and_not1_b32 vcc_lo, exec_lo, s40
	s_cbranch_vccnz .LBB79_17
; %bb.13:                               ;   in Loop: Header=BB79_4 Depth=1
	s_wait_xcnt 0x0
	s_and_saveexec_b32 s24, s2
	s_cbranch_execz .LBB79_24
; %bb.14:                               ;   in Loop: Header=BB79_4 Depth=1
	s_delay_alu instid0(VALU_DEP_1) | instskip(NEXT) | instid1(VALU_DEP_1)
	v_lshl_add_u64 v[18:19], v[6:7], 1, v[16:17]
	v_lshl_add_u64 v[20:21], v[4:5], 1, v[18:19]
	s_and_saveexec_b32 s25, s3
	s_cbranch_execnz .LBB79_18
; %bb.15:                               ;   in Loop: Header=BB79_4 Depth=1
	s_or_b32 exec_lo, exec_lo, s25
	s_and_saveexec_b32 s25, s4
	s_cbranch_execnz .LBB79_19
.LBB79_16:                              ;   in Loop: Header=BB79_4 Depth=1
	s_or_b32 exec_lo, exec_lo, s25
	s_delay_alu instid0(SALU_CYCLE_1)
	s_and_b32 exec_lo, exec_lo, s5
	s_cbranch_execnz .LBB79_20
	s_branch .LBB79_24
.LBB79_17:                              ;   in Loop: Header=BB79_4 Depth=1
	s_branch .LBB79_25
.LBB79_18:                              ;   in Loop: Header=BB79_4 Depth=1
	v_mul_f16_e32 v22, s38, v29
	flat_store_b16 v[20:21], v22
	s_wait_xcnt 0x0
	s_or_b32 exec_lo, exec_lo, s25
	s_and_saveexec_b32 s25, s4
	s_cbranch_execz .LBB79_16
.LBB79_19:                              ;   in Loop: Header=BB79_4 Depth=1
	v_lshrrev_b32_e32 v22, 16, v29
	s_delay_alu instid0(VALU_DEP_1) | instskip(SKIP_3) | instid1(SALU_CYCLE_1)
	v_mul_f16_e32 v22, s38, v22
	flat_store_b16 v[20:21], v22 offset:32
	s_wait_xcnt 0x0
	s_or_b32 exec_lo, exec_lo, s25
	s_and_b32 exec_lo, exec_lo, s5
	s_cbranch_execz .LBB79_24
.LBB79_20:                              ;   in Loop: Header=BB79_4 Depth=1
	v_lshl_add_u64 v[18:19], s[6:7], 1, v[18:19]
	s_delay_alu instid0(VALU_DEP_1)
	v_lshl_add_u64 v[18:19], v[4:5], 1, v[18:19]
	s_and_saveexec_b32 s25, s3
	s_cbranch_execz .LBB79_22
; %bb.21:                               ;   in Loop: Header=BB79_4 Depth=1
	v_mul_f16_e32 v20, s38, v28
	flat_store_b16 v[18:19], v20
.LBB79_22:                              ;   in Loop: Header=BB79_4 Depth=1
	s_wait_xcnt 0x0
	s_or_b32 exec_lo, exec_lo, s25
	s_delay_alu instid0(SALU_CYCLE_1)
	s_and_b32 exec_lo, exec_lo, s4
	s_cbranch_execz .LBB79_24
; %bb.23:                               ;   in Loop: Header=BB79_4 Depth=1
	v_lshrrev_b32_e32 v20, 16, v28
	s_delay_alu instid0(VALU_DEP_1)
	v_mul_f16_e32 v20, s38, v20
	flat_store_b16 v[18:19], v20 offset:32
.LBB79_24:                              ;   in Loop: Header=BB79_4 Depth=1
	s_wait_xcnt 0x0
	s_or_b32 exec_lo, exec_lo, s24
	s_cbranch_execnz .LBB79_3
.LBB79_25:                              ;   in Loop: Header=BB79_4 Depth=1
	s_wait_xcnt 0x0
	s_and_saveexec_b32 s24, s2
	s_cbranch_execz .LBB79_2
; %bb.26:                               ;   in Loop: Header=BB79_4 Depth=1
	v_add_nc_u64_e32 v[18:19], s[20:21], v[14:15]
	v_lshlrev_b64_e32 v[14:15], 1, v[4:5]
	v_lshl_add_u64 v[16:17], v[6:7], 1, v[16:17]
	s_delay_alu instid0(VALU_DEP_3) | instskip(NEXT) | instid1(VALU_DEP_2)
	v_lshl_add_u64 v[18:19], v[8:9], 1, v[18:19]
	v_add_nc_u64_e32 v[20:21], v[16:17], v[14:15]
	s_delay_alu instid0(VALU_DEP_2)
	v_add_nc_u64_e32 v[22:23], v[18:19], v[14:15]
	s_and_saveexec_b32 s25, s3
	s_cbranch_execnz .LBB79_29
; %bb.27:                               ;   in Loop: Header=BB79_4 Depth=1
	s_or_b32 exec_lo, exec_lo, s25
	s_and_saveexec_b32 s25, s4
	s_cbranch_execnz .LBB79_30
.LBB79_28:                              ;   in Loop: Header=BB79_4 Depth=1
	s_or_b32 exec_lo, exec_lo, s25
	s_delay_alu instid0(SALU_CYCLE_1)
	s_and_b32 exec_lo, exec_lo, s5
	s_cbranch_execz .LBB79_2
	s_branch .LBB79_31
.LBB79_29:                              ;   in Loop: Header=BB79_4 Depth=1
	flat_load_u16 v30, v[22:23]
	s_wait_loadcnt_dscnt 0x0
	v_mul_f16_e32 v30, s39, v30
	s_delay_alu instid0(VALU_DEP_1)
	v_fmac_f16_e32 v30, s38, v29
	flat_store_b16 v[20:21], v30
	s_wait_xcnt 0x0
	s_or_b32 exec_lo, exec_lo, s25
	s_and_saveexec_b32 s25, s4
	s_cbranch_execz .LBB79_28
.LBB79_30:                              ;   in Loop: Header=BB79_4 Depth=1
	flat_load_u16 v22, v[22:23] offset:32
	s_wait_xcnt 0x0
	v_lshrrev_b32_e32 v23, 16, v29
	s_wait_loadcnt_dscnt 0x0
	v_mul_f16_e32 v22, s39, v22
	s_delay_alu instid0(VALU_DEP_1) | instskip(SKIP_3) | instid1(SALU_CYCLE_1)
	v_fmac_f16_e32 v22, s38, v23
	flat_store_b16 v[20:21], v22 offset:32
	s_wait_xcnt 0x0
	s_or_b32 exec_lo, exec_lo, s25
	s_and_b32 exec_lo, exec_lo, s5
	s_cbranch_execz .LBB79_2
.LBB79_31:                              ;   in Loop: Header=BB79_4 Depth=1
	v_lshl_add_u64 v[18:19], s[10:11], 1, v[18:19]
	v_lshl_add_u64 v[20:21], s[6:7], 1, v[16:17]
	s_delay_alu instid0(VALU_DEP_2) | instskip(NEXT) | instid1(VALU_DEP_2)
	v_add_nc_u64_e32 v[16:17], v[18:19], v[14:15]
	v_add_nc_u64_e32 v[14:15], v[20:21], v[14:15]
	s_and_saveexec_b32 s25, s3
	s_cbranch_execz .LBB79_33
; %bb.32:                               ;   in Loop: Header=BB79_4 Depth=1
	flat_load_u16 v18, v[16:17]
	s_wait_loadcnt_dscnt 0x0
	v_mul_f16_e32 v18, s39, v18
	s_delay_alu instid0(VALU_DEP_1)
	v_fmac_f16_e32 v18, s38, v28
	flat_store_b16 v[14:15], v18
.LBB79_33:                              ;   in Loop: Header=BB79_4 Depth=1
	s_wait_xcnt 0x0
	s_or_b32 exec_lo, exec_lo, s25
	s_delay_alu instid0(SALU_CYCLE_1)
	s_and_b32 exec_lo, exec_lo, s4
	s_cbranch_execz .LBB79_2
; %bb.34:                               ;   in Loop: Header=BB79_4 Depth=1
	flat_load_u16 v16, v[16:17] offset:32
	s_wait_xcnt 0x0
	v_lshrrev_b32_e32 v17, 16, v28
	s_wait_loadcnt_dscnt 0x0
	v_mul_f16_e32 v16, s39, v16
	s_delay_alu instid0(VALU_DEP_1)
	v_fmac_f16_e32 v16, s38, v17
	flat_store_b16 v[14:15], v16 offset:32
	s_branch .LBB79_2
.LBB79_35:
	s_endpgm
	.section	.rodata,"a",@progbits
	.p2align	6, 0x0
	.amdhsa_kernel _ZN12_GLOBAL__N_135rocblas_gemm_batched_general_kernelIDF16_Li16ELi16ELi32ELi32ELi8ELi32ELi8ELi8ELi32ELc67ELc67EKPKDF16_S3_KPDF16_EEvlllT_PT11_llS8_llS6_PT12_llPT13_lli
		.amdhsa_group_segment_fixed_size 1024
		.amdhsa_private_segment_fixed_size 0
		.amdhsa_kernarg_size 140
		.amdhsa_user_sgpr_count 2
		.amdhsa_user_sgpr_dispatch_ptr 0
		.amdhsa_user_sgpr_queue_ptr 0
		.amdhsa_user_sgpr_kernarg_segment_ptr 1
		.amdhsa_user_sgpr_dispatch_id 0
		.amdhsa_user_sgpr_kernarg_preload_length 0
		.amdhsa_user_sgpr_kernarg_preload_offset 0
		.amdhsa_user_sgpr_private_segment_size 0
		.amdhsa_wavefront_size32 1
		.amdhsa_uses_dynamic_stack 0
		.amdhsa_enable_private_segment 0
		.amdhsa_system_sgpr_workgroup_id_x 1
		.amdhsa_system_sgpr_workgroup_id_y 1
		.amdhsa_system_sgpr_workgroup_id_z 1
		.amdhsa_system_sgpr_workgroup_info 0
		.amdhsa_system_vgpr_workitem_id 1
		.amdhsa_next_free_vgpr 47
		.amdhsa_next_free_sgpr 42
		.amdhsa_named_barrier_count 0
		.amdhsa_reserve_vcc 1
		.amdhsa_float_round_mode_32 0
		.amdhsa_float_round_mode_16_64 0
		.amdhsa_float_denorm_mode_32 3
		.amdhsa_float_denorm_mode_16_64 3
		.amdhsa_fp16_overflow 0
		.amdhsa_memory_ordered 1
		.amdhsa_forward_progress 1
		.amdhsa_inst_pref_size 15
		.amdhsa_round_robin_scheduling 0
		.amdhsa_exception_fp_ieee_invalid_op 0
		.amdhsa_exception_fp_denorm_src 0
		.amdhsa_exception_fp_ieee_div_zero 0
		.amdhsa_exception_fp_ieee_overflow 0
		.amdhsa_exception_fp_ieee_underflow 0
		.amdhsa_exception_fp_ieee_inexact 0
		.amdhsa_exception_int_div_zero 0
	.end_amdhsa_kernel
	.section	.text._ZN12_GLOBAL__N_135rocblas_gemm_batched_general_kernelIDF16_Li16ELi16ELi32ELi32ELi8ELi32ELi8ELi8ELi32ELc67ELc67EKPKDF16_S3_KPDF16_EEvlllT_PT11_llS8_llS6_PT12_llPT13_lli,"axG",@progbits,_ZN12_GLOBAL__N_135rocblas_gemm_batched_general_kernelIDF16_Li16ELi16ELi32ELi32ELi8ELi32ELi8ELi8ELi32ELc67ELc67EKPKDF16_S3_KPDF16_EEvlllT_PT11_llS8_llS6_PT12_llPT13_lli,comdat
.Lfunc_end79:
	.size	_ZN12_GLOBAL__N_135rocblas_gemm_batched_general_kernelIDF16_Li16ELi16ELi32ELi32ELi8ELi32ELi8ELi8ELi32ELc67ELc67EKPKDF16_S3_KPDF16_EEvlllT_PT11_llS8_llS6_PT12_llPT13_lli, .Lfunc_end79-_ZN12_GLOBAL__N_135rocblas_gemm_batched_general_kernelIDF16_Li16ELi16ELi32ELi32ELi8ELi32ELi8ELi8ELi32ELc67ELc67EKPKDF16_S3_KPDF16_EEvlllT_PT11_llS8_llS6_PT12_llPT13_lli
                                        ; -- End function
	.set _ZN12_GLOBAL__N_135rocblas_gemm_batched_general_kernelIDF16_Li16ELi16ELi32ELi32ELi8ELi32ELi8ELi8ELi32ELc67ELc67EKPKDF16_S3_KPDF16_EEvlllT_PT11_llS8_llS6_PT12_llPT13_lli.num_vgpr, 47
	.set _ZN12_GLOBAL__N_135rocblas_gemm_batched_general_kernelIDF16_Li16ELi16ELi32ELi32ELi8ELi32ELi8ELi8ELi32ELc67ELc67EKPKDF16_S3_KPDF16_EEvlllT_PT11_llS8_llS6_PT12_llPT13_lli.num_agpr, 0
	.set _ZN12_GLOBAL__N_135rocblas_gemm_batched_general_kernelIDF16_Li16ELi16ELi32ELi32ELi8ELi32ELi8ELi8ELi32ELc67ELc67EKPKDF16_S3_KPDF16_EEvlllT_PT11_llS8_llS6_PT12_llPT13_lli.numbered_sgpr, 42
	.set _ZN12_GLOBAL__N_135rocblas_gemm_batched_general_kernelIDF16_Li16ELi16ELi32ELi32ELi8ELi32ELi8ELi8ELi32ELc67ELc67EKPKDF16_S3_KPDF16_EEvlllT_PT11_llS8_llS6_PT12_llPT13_lli.num_named_barrier, 0
	.set _ZN12_GLOBAL__N_135rocblas_gemm_batched_general_kernelIDF16_Li16ELi16ELi32ELi32ELi8ELi32ELi8ELi8ELi32ELc67ELc67EKPKDF16_S3_KPDF16_EEvlllT_PT11_llS8_llS6_PT12_llPT13_lli.private_seg_size, 0
	.set _ZN12_GLOBAL__N_135rocblas_gemm_batched_general_kernelIDF16_Li16ELi16ELi32ELi32ELi8ELi32ELi8ELi8ELi32ELc67ELc67EKPKDF16_S3_KPDF16_EEvlllT_PT11_llS8_llS6_PT12_llPT13_lli.uses_vcc, 1
	.set _ZN12_GLOBAL__N_135rocblas_gemm_batched_general_kernelIDF16_Li16ELi16ELi32ELi32ELi8ELi32ELi8ELi8ELi32ELc67ELc67EKPKDF16_S3_KPDF16_EEvlllT_PT11_llS8_llS6_PT12_llPT13_lli.uses_flat_scratch, 0
	.set _ZN12_GLOBAL__N_135rocblas_gemm_batched_general_kernelIDF16_Li16ELi16ELi32ELi32ELi8ELi32ELi8ELi8ELi32ELc67ELc67EKPKDF16_S3_KPDF16_EEvlllT_PT11_llS8_llS6_PT12_llPT13_lli.has_dyn_sized_stack, 0
	.set _ZN12_GLOBAL__N_135rocblas_gemm_batched_general_kernelIDF16_Li16ELi16ELi32ELi32ELi8ELi32ELi8ELi8ELi32ELc67ELc67EKPKDF16_S3_KPDF16_EEvlllT_PT11_llS8_llS6_PT12_llPT13_lli.has_recursion, 0
	.set _ZN12_GLOBAL__N_135rocblas_gemm_batched_general_kernelIDF16_Li16ELi16ELi32ELi32ELi8ELi32ELi8ELi8ELi32ELc67ELc67EKPKDF16_S3_KPDF16_EEvlllT_PT11_llS8_llS6_PT12_llPT13_lli.has_indirect_call, 0
	.section	.AMDGPU.csdata,"",@progbits
; Kernel info:
; codeLenInByte = 1916
; TotalNumSgprs: 44
; NumVgprs: 47
; ScratchSize: 0
; MemoryBound: 0
; FloatMode: 240
; IeeeMode: 1
; LDSByteSize: 1024 bytes/workgroup (compile time only)
; SGPRBlocks: 0
; VGPRBlocks: 2
; NumSGPRsForWavesPerEU: 44
; NumVGPRsForWavesPerEU: 47
; NamedBarCnt: 0
; Occupancy: 16
; WaveLimiterHint : 1
; COMPUTE_PGM_RSRC2:SCRATCH_EN: 0
; COMPUTE_PGM_RSRC2:USER_SGPR: 2
; COMPUTE_PGM_RSRC2:TRAP_HANDLER: 0
; COMPUTE_PGM_RSRC2:TGID_X_EN: 1
; COMPUTE_PGM_RSRC2:TGID_Y_EN: 1
; COMPUTE_PGM_RSRC2:TGID_Z_EN: 1
; COMPUTE_PGM_RSRC2:TIDIG_COMP_CNT: 1
	.section	.text._ZN12_GLOBAL__N_135rocblas_gemm_batched_general_kernelIDF16_Li16ELi16ELi32ELi32ELi8ELi32ELi8ELi8ELi32ELc67ELc78EKPKDF16_S3_KPDF16_EEvlllT_PT11_llS8_llS6_PT12_llPT13_lli,"axG",@progbits,_ZN12_GLOBAL__N_135rocblas_gemm_batched_general_kernelIDF16_Li16ELi16ELi32ELi32ELi8ELi32ELi8ELi8ELi32ELc67ELc78EKPKDF16_S3_KPDF16_EEvlllT_PT11_llS8_llS6_PT12_llPT13_lli,comdat
	.globl	_ZN12_GLOBAL__N_135rocblas_gemm_batched_general_kernelIDF16_Li16ELi16ELi32ELi32ELi8ELi32ELi8ELi8ELi32ELc67ELc78EKPKDF16_S3_KPDF16_EEvlllT_PT11_llS8_llS6_PT12_llPT13_lli ; -- Begin function _ZN12_GLOBAL__N_135rocblas_gemm_batched_general_kernelIDF16_Li16ELi16ELi32ELi32ELi8ELi32ELi8ELi8ELi32ELc67ELc78EKPKDF16_S3_KPDF16_EEvlllT_PT11_llS8_llS6_PT12_llPT13_lli
	.p2align	8
	.type	_ZN12_GLOBAL__N_135rocblas_gemm_batched_general_kernelIDF16_Li16ELi16ELi32ELi32ELi8ELi32ELi8ELi8ELi32ELc67ELc78EKPKDF16_S3_KPDF16_EEvlllT_PT11_llS8_llS6_PT12_llPT13_lli,@function
_ZN12_GLOBAL__N_135rocblas_gemm_batched_general_kernelIDF16_Li16ELi16ELi32ELi32ELi8ELi32ELi8ELi8ELi32ELc67ELc78EKPKDF16_S3_KPDF16_EEvlllT_PT11_llS8_llS6_PT12_llPT13_lli: ; @_ZN12_GLOBAL__N_135rocblas_gemm_batched_general_kernelIDF16_Li16ELi16ELi32ELi32ELi8ELi32ELi8ELi8ELi32ELc67ELc78EKPKDF16_S3_KPDF16_EEvlllT_PT11_llS8_llS6_PT12_llPT13_lli
; %bb.0:
	s_load_b32 s33, s[0:1], 0x88
	s_bfe_u32 s2, ttmp6, 0x40014
	s_lshr_b32 s3, ttmp7, 16
	s_add_co_i32 s2, s2, 1
	s_bfe_u32 s5, ttmp6, 0x40008
	s_mul_i32 s4, s3, s2
	s_getreg_b32 s2, hwreg(HW_REG_IB_STS2, 6, 4)
	s_add_co_i32 s5, s5, s4
	s_cmp_eq_u32 s2, 0
	s_mov_b32 s35, 0
	s_cselect_b32 s34, s3, s5
	s_wait_kmcnt 0x0
	s_cmp_ge_i32 s34, s33
	s_cbranch_scc1 .LBB80_35
; %bb.1:
	s_bfe_u32 s16, ttmp6, 0x4000c
	s_bfe_u32 s18, ttmp6, 0x40010
	s_and_b32 s17, ttmp7, 0xffff
	s_add_co_i32 s16, s16, 1
	s_add_co_i32 s18, s18, 1
	v_bfe_u32 v4, v0, 10, 10
	s_and_b32 s3, ttmp6, 15
	s_mul_i32 s16, ttmp9, s16
	s_mul_i32 s18, s17, s18
	s_bfe_u32 s19, ttmp6, 0x40004
	s_add_co_i32 s3, s3, s16
	s_add_co_i32 s19, s19, s18
	s_cmp_eq_u32 s2, 0
	v_and_b32_e32 v10, 0x3ff, v0
	v_dual_lshlrev_b32 v21, 4, v4 :: v_dual_mov_b32 v1, 0
	s_cselect_b32 s2, ttmp9, s3
	s_clause 0x1
	s_load_b128 s[24:27], s[0:1], 0x40
	s_load_b96 s[36:38], s[0:1], 0x10
	s_cselect_b32 s16, s17, s19
	s_ashr_i32 s3, s2, 31
	s_clause 0x1
	s_load_b128 s[4:7], s[0:1], 0x0
	s_load_b256 s[8:15], s[0:1], 0x20
	s_lshl_b64 s[2:3], s[2:3], 5
	s_delay_alu instid0(SALU_CYCLE_1) | instskip(SKIP_3) | instid1(VALU_DEP_1)
	v_dual_add_nc_u32 v3, v21, v10 :: v_dual_mov_b32 v7, s3
	s_lshl_b32 s40, s16, 5
	s_mov_b32 s41, s35
	s_load_b128 s[28:31], s[0:1], 0x78
	v_dual_lshrrev_b32 v8, 3, v3 :: v_dual_bitop2_b32 v22, 31, v3 bitop3:0x40
	v_mov_b32_e32 v9, v1
	s_load_b256 s[16:23], s[0:1], 0x58
	v_dual_mov_b32 v5, v1 :: v_dual_bitop2_b32 v2, 7, v0 bitop3:0x40
	s_delay_alu instid0(VALU_DEP_3) | instskip(NEXT) | instid1(VALU_DEP_3)
	v_or_b32_e32 v6, s2, v22
	v_add_nc_u64_e32 v[12:13], s[40:41], v[8:9]
	s_load_b32 s39, s[0:1], 0x50
	s_delay_alu instid0(VALU_DEP_3)
	v_add_nc_u64_e32 v[18:19], s[40:41], v[4:5]
	v_dual_mov_b32 v11, v1 :: v_dual_lshrrev_b32 v0, 5, v3
	s_wait_kmcnt 0x0
	v_cmp_gt_i64_e64 s0, s[4:5], v[6:7]
	v_mul_u64_e32 v[16:17], s[10:11], v[6:7]
	v_mul_u64_e32 v[14:15], s[24:25], v[12:13]
	v_dual_mov_b32 v3, v1 :: v_dual_lshlrev_b32 v20, 1, v2
	v_lshlrev_b32_e32 v9, 1, v22
	v_add_nc_u32_e32 v27, 0x200, v21
	v_mul_u64_e32 v[4:5], s[28:29], v[18:19]
	v_mov_b32_e32 v21, v1
	v_lshl_or_b32 v22, v8, 4, v20
	v_lshl_or_b32 v24, v0, 6, v9
	v_mul_u64_e32 v[6:7], s[18:19], v[18:19]
	v_add_nc_u64_e32 v[8:9], s[2:3], v[10:11]
	v_cmp_gt_i64_e64 s1, s[6:7], v[12:13]
	v_lshlrev_b32_e32 v26, 1, v10
	v_add_nc_u64_e32 v[12:13], 16, v[18:19]
	s_cmp_eq_f16 s39, 0
	v_cmp_gt_i64_e64 s2, s[6:7], v[18:19]
	v_lshlrev_b32_e32 v18, 1, v0
	v_add_nc_u64_e32 v[10:11], 16, v[8:9]
	s_cselect_b32 s24, -1, 0
	s_lshl_b64 s[10:11], s[26:27], 1
	v_mov_b32_e32 v19, v1
	v_cmp_gt_i64_e64 s3, s[4:5], v[8:9]
	v_cmp_gt_i64_e64 s25, s[36:37], 0
	v_add_nc_u32_e32 v25, 0x200, v22
	v_cmp_gt_i64_e64 s4, s[4:5], v[10:11]
	v_cmp_gt_i64_e64 s5, s[6:7], v[12:13]
	s_lshl_b64 s[6:7], s[28:29], 4
	v_lshl_add_u64 v[14:15], v[14:15], 1, s[10:11]
	s_lshl_b64 s[10:11], s[12:13], 1
	s_lshl_b64 s[12:13], s[30:31], 1
	v_lshl_add_u64 v[16:17], v[16:17], 1, s[10:11]
	s_lshl_b64 s[10:11], s[18:19], 4
	v_add_nc_u64_e32 v[10:11], v[14:15], v[20:21]
	s_lshl_b64 s[18:19], s[20:21], 1
	s_delay_alu instid0(VALU_DEP_2)
	v_add_nc_u64_e32 v[12:13], v[16:17], v[18:19]
	s_branch .LBB80_4
.LBB80_2:                               ;   in Loop: Header=BB80_4 Depth=1
	s_wait_xcnt 0x0
	s_or_b32 exec_lo, exec_lo, s20
.LBB80_3:                               ;   in Loop: Header=BB80_4 Depth=1
	s_add_co_i32 s34, s34, 0x10000
	s_delay_alu instid0(SALU_CYCLE_1)
	s_cmp_lt_i32 s34, s33
	s_cbranch_scc0 .LBB80_35
.LBB80_4:                               ; =>This Loop Header: Depth=1
                                        ;     Child Loop BB80_7 Depth 2
	s_wait_xcnt 0x0
	v_mov_b32_e32 v18, s34
	s_and_not1_b32 vcc_lo, exec_lo, s25
	s_clause 0x1
	global_load_b64 v[14:15], v18, s[16:17] scale_offset
	global_load_b64 v[16:17], v18, s[22:23] scale_offset
	s_cbranch_vccnz .LBB80_11
; %bb.5:                                ;   in Loop: Header=BB80_4 Depth=1
	s_lshl_b64 s[20:21], s[34:35], 3
	v_dual_mov_b32 v29, 0 :: v_dual_mov_b32 v28, 0
	s_add_nc_u64 s[26:27], s[14:15], s[20:21]
	s_add_nc_u64 s[20:21], s[8:9], s[20:21]
	s_clause 0x1
	global_load_b64 v[18:19], v1, s[26:27]
	global_load_b64 v[20:21], v1, s[20:21]
	s_wait_xcnt 0x0
	s_mov_b64 s[20:21], 0
	s_wait_loadcnt 0x1
	v_add_nc_u64_e32 v[18:19], v[18:19], v[10:11]
	s_wait_loadcnt 0x0
	v_add_nc_u64_e32 v[20:21], v[20:21], v[12:13]
	s_branch .LBB80_7
.LBB80_6:                               ;   in Loop: Header=BB80_7 Depth=2
	s_wait_xcnt 0x0
	s_or_b32 exec_lo, exec_lo, s26
	s_wait_loadcnt_dscnt 0x0
	ds_store_b16 v25, v23
	s_wait_dscnt 0x0
	s_barrier_signal -1
	s_barrier_wait -1
	ds_load_u16 v22, v26
	ds_load_u16 v23, v26 offset:32
	ds_load_u16 v38, v26 offset:64
	;; [unrolled: 1-line block ×3, first 2 shown]
	ds_load_b128 v[30:33], v27
	ds_load_b128 v[34:37], v27 offset:256
	ds_load_u16 v40, v26 offset:128
	ds_load_u16 v41, v26 offset:160
	;; [unrolled: 1-line block ×6, first 2 shown]
	s_add_nc_u64 s[20:21], s[20:21], 8
	v_add_nc_u64_e32 v[18:19], 16, v[18:19]
	v_cmp_lt_i64_e64 s26, s[20:21], s[36:37]
	v_add_nc_u64_e32 v[20:21], 16, v[20:21]
	s_wait_dscnt 0xa
	v_perm_b32 v22, v23, v22, 0x5040100
	ds_load_u16 v23, v26 offset:320
	ds_load_u16 v46, v26 offset:352
	s_wait_dscnt 0xa
	v_perm_b32 v38, v39, v38, 0x5040100
	s_and_b32 vcc_lo, exec_lo, s26
	s_wait_dscnt 0x9
	v_pk_fma_f16 v29, v22, v30, v29 op_sel_hi:[1,0,1]
	s_wait_dscnt 0x8
	v_pk_fma_f16 v22, v22, v34, v28 op_sel_hi:[1,0,1]
	ds_load_u16 v28, v26 offset:384
	ds_load_u16 v39, v26 offset:416
	s_wait_dscnt 0x8
	v_perm_b32 v40, v41, v40, 0x5040100
	v_pk_fma_f16 v29, v38, v30, v29 op_sel:[0,1,0]
	v_pk_fma_f16 v22, v38, v34, v22 op_sel:[0,1,0]
	ds_load_u16 v30, v26 offset:448
	ds_load_u16 v34, v26 offset:480
	s_wait_dscnt 0x8
	v_perm_b32 v38, v43, v42, 0x5040100
	s_wait_dscnt 0x0
	v_pk_fma_f16 v29, v40, v31, v29 op_sel_hi:[1,0,1]
	v_pk_fma_f16 v22, v40, v35, v22 op_sel_hi:[1,0,1]
	v_perm_b32 v40, v45, v44, 0x5040100
	s_barrier_signal -1
	s_barrier_wait -1
	v_pk_fma_f16 v29, v38, v31, v29 op_sel:[0,1,0]
	v_pk_fma_f16 v22, v38, v35, v22 op_sel:[0,1,0]
	v_perm_b32 v23, v46, v23, 0x5040100
	s_delay_alu instid0(VALU_DEP_3) | instskip(NEXT) | instid1(VALU_DEP_3)
	v_pk_fma_f16 v29, v40, v32, v29 op_sel_hi:[1,0,1]
	v_pk_fma_f16 v22, v40, v36, v22 op_sel_hi:[1,0,1]
	v_perm_b32 v28, v39, v28, 0x5040100
	s_delay_alu instid0(VALU_DEP_3) | instskip(NEXT) | instid1(VALU_DEP_3)
	v_pk_fma_f16 v29, v23, v32, v29 op_sel:[0,1,0]
	v_pk_fma_f16 v22, v23, v36, v22 op_sel:[0,1,0]
	v_perm_b32 v23, v34, v30, 0x5040100
	s_delay_alu instid0(VALU_DEP_3) | instskip(NEXT) | instid1(VALU_DEP_3)
	v_pk_fma_f16 v29, v28, v33, v29 op_sel_hi:[1,0,1]
	v_pk_fma_f16 v22, v28, v37, v22 op_sel_hi:[1,0,1]
	s_delay_alu instid0(VALU_DEP_2) | instskip(NEXT) | instid1(VALU_DEP_2)
	v_pk_fma_f16 v29, v23, v33, v29 op_sel:[0,1,0]
	v_pk_fma_f16 v28, v23, v37, v22 op_sel:[0,1,0]
	s_cbranch_vccz .LBB80_12
.LBB80_7:                               ;   Parent Loop BB80_4 Depth=1
                                        ; =>  This Inner Loop Header: Depth=2
	v_add_nc_u64_e32 v[22:23], s[20:21], v[0:1]
	s_delay_alu instid0(VALU_DEP_1) | instskip(SKIP_2) | instid1(SALU_CYCLE_1)
	v_cmp_gt_i64_e32 vcc_lo, s[36:37], v[22:23]
	v_mov_b32_e32 v22, 0
	s_and_b32 s27, s0, vcc_lo
	s_and_saveexec_b32 s26, s27
	s_cbranch_execz .LBB80_9
; %bb.8:                                ;   in Loop: Header=BB80_7 Depth=2
	flat_load_u16 v22, v[20:21]
.LBB80_9:                               ;   in Loop: Header=BB80_7 Depth=2
	s_wait_xcnt 0x0
	s_or_b32 exec_lo, exec_lo, s26
	v_add_nc_u64_e32 v[30:31], s[20:21], v[2:3]
	v_mov_b32_e32 v23, 0
	s_wait_loadcnt_dscnt 0x0
	ds_store_b16 v24, v22
	v_cmp_gt_i64_e32 vcc_lo, s[36:37], v[30:31]
	s_and_b32 s27, vcc_lo, s1
	s_delay_alu instid0(SALU_CYCLE_1)
	s_and_saveexec_b32 s26, s27
	s_cbranch_execz .LBB80_6
; %bb.10:                               ;   in Loop: Header=BB80_7 Depth=2
	flat_load_u16 v23, v[18:19]
	s_branch .LBB80_6
.LBB80_11:                              ;   in Loop: Header=BB80_4 Depth=1
	v_dual_mov_b32 v28, 0 :: v_dual_mov_b32 v29, 0
.LBB80_12:                              ;   in Loop: Header=BB80_4 Depth=1
	s_wait_loadcnt 0x0
	v_add_nc_u64_e32 v[16:17], s[12:13], v[16:17]
	s_and_not1_b32 vcc_lo, exec_lo, s24
	s_cbranch_vccnz .LBB80_17
; %bb.13:                               ;   in Loop: Header=BB80_4 Depth=1
	s_wait_xcnt 0x0
	s_and_saveexec_b32 s20, s2
	s_cbranch_execz .LBB80_24
; %bb.14:                               ;   in Loop: Header=BB80_4 Depth=1
	s_delay_alu instid0(VALU_DEP_1) | instskip(NEXT) | instid1(VALU_DEP_1)
	v_lshl_add_u64 v[18:19], v[4:5], 1, v[16:17]
	v_lshl_add_u64 v[20:21], v[8:9], 1, v[18:19]
	s_and_saveexec_b32 s21, s3
	s_cbranch_execnz .LBB80_18
; %bb.15:                               ;   in Loop: Header=BB80_4 Depth=1
	s_or_b32 exec_lo, exec_lo, s21
	s_and_saveexec_b32 s21, s4
	s_cbranch_execnz .LBB80_19
.LBB80_16:                              ;   in Loop: Header=BB80_4 Depth=1
	s_or_b32 exec_lo, exec_lo, s21
	s_delay_alu instid0(SALU_CYCLE_1)
	s_and_b32 exec_lo, exec_lo, s5
	s_cbranch_execnz .LBB80_20
	s_branch .LBB80_24
.LBB80_17:                              ;   in Loop: Header=BB80_4 Depth=1
	s_branch .LBB80_25
.LBB80_18:                              ;   in Loop: Header=BB80_4 Depth=1
	v_mul_f16_e32 v22, s38, v29
	flat_store_b16 v[20:21], v22
	s_wait_xcnt 0x0
	s_or_b32 exec_lo, exec_lo, s21
	s_and_saveexec_b32 s21, s4
	s_cbranch_execz .LBB80_16
.LBB80_19:                              ;   in Loop: Header=BB80_4 Depth=1
	v_lshrrev_b32_e32 v22, 16, v29
	s_delay_alu instid0(VALU_DEP_1) | instskip(SKIP_3) | instid1(SALU_CYCLE_1)
	v_mul_f16_e32 v22, s38, v22
	flat_store_b16 v[20:21], v22 offset:32
	s_wait_xcnt 0x0
	s_or_b32 exec_lo, exec_lo, s21
	s_and_b32 exec_lo, exec_lo, s5
	s_cbranch_execz .LBB80_24
.LBB80_20:                              ;   in Loop: Header=BB80_4 Depth=1
	v_lshl_add_u64 v[18:19], s[6:7], 1, v[18:19]
	s_delay_alu instid0(VALU_DEP_1)
	v_lshl_add_u64 v[18:19], v[8:9], 1, v[18:19]
	s_and_saveexec_b32 s21, s3
	s_cbranch_execz .LBB80_22
; %bb.21:                               ;   in Loop: Header=BB80_4 Depth=1
	v_mul_f16_e32 v20, s38, v28
	flat_store_b16 v[18:19], v20
.LBB80_22:                              ;   in Loop: Header=BB80_4 Depth=1
	s_wait_xcnt 0x0
	s_or_b32 exec_lo, exec_lo, s21
	s_delay_alu instid0(SALU_CYCLE_1)
	s_and_b32 exec_lo, exec_lo, s4
	s_cbranch_execz .LBB80_24
; %bb.23:                               ;   in Loop: Header=BB80_4 Depth=1
	v_lshrrev_b32_e32 v20, 16, v28
	s_delay_alu instid0(VALU_DEP_1)
	v_mul_f16_e32 v20, s38, v20
	flat_store_b16 v[18:19], v20 offset:32
.LBB80_24:                              ;   in Loop: Header=BB80_4 Depth=1
	s_wait_xcnt 0x0
	s_or_b32 exec_lo, exec_lo, s20
	s_cbranch_execnz .LBB80_3
.LBB80_25:                              ;   in Loop: Header=BB80_4 Depth=1
	s_wait_xcnt 0x0
	s_and_saveexec_b32 s20, s2
	s_cbranch_execz .LBB80_2
; %bb.26:                               ;   in Loop: Header=BB80_4 Depth=1
	v_add_nc_u64_e32 v[18:19], s[18:19], v[14:15]
	v_lshlrev_b64_e32 v[14:15], 1, v[8:9]
	v_lshl_add_u64 v[16:17], v[4:5], 1, v[16:17]
	s_delay_alu instid0(VALU_DEP_3) | instskip(NEXT) | instid1(VALU_DEP_2)
	v_lshl_add_u64 v[18:19], v[6:7], 1, v[18:19]
	v_add_nc_u64_e32 v[20:21], v[16:17], v[14:15]
	s_delay_alu instid0(VALU_DEP_2)
	v_add_nc_u64_e32 v[22:23], v[18:19], v[14:15]
	s_and_saveexec_b32 s21, s3
	s_cbranch_execnz .LBB80_29
; %bb.27:                               ;   in Loop: Header=BB80_4 Depth=1
	s_or_b32 exec_lo, exec_lo, s21
	s_and_saveexec_b32 s21, s4
	s_cbranch_execnz .LBB80_30
.LBB80_28:                              ;   in Loop: Header=BB80_4 Depth=1
	s_or_b32 exec_lo, exec_lo, s21
	s_delay_alu instid0(SALU_CYCLE_1)
	s_and_b32 exec_lo, exec_lo, s5
	s_cbranch_execz .LBB80_2
	s_branch .LBB80_31
.LBB80_29:                              ;   in Loop: Header=BB80_4 Depth=1
	flat_load_u16 v30, v[22:23]
	s_wait_loadcnt_dscnt 0x0
	v_mul_f16_e32 v30, s39, v30
	s_delay_alu instid0(VALU_DEP_1)
	v_fmac_f16_e32 v30, s38, v29
	flat_store_b16 v[20:21], v30
	s_wait_xcnt 0x0
	s_or_b32 exec_lo, exec_lo, s21
	s_and_saveexec_b32 s21, s4
	s_cbranch_execz .LBB80_28
.LBB80_30:                              ;   in Loop: Header=BB80_4 Depth=1
	flat_load_u16 v22, v[22:23] offset:32
	s_wait_xcnt 0x0
	v_lshrrev_b32_e32 v23, 16, v29
	s_wait_loadcnt_dscnt 0x0
	v_mul_f16_e32 v22, s39, v22
	s_delay_alu instid0(VALU_DEP_1) | instskip(SKIP_3) | instid1(SALU_CYCLE_1)
	v_fmac_f16_e32 v22, s38, v23
	flat_store_b16 v[20:21], v22 offset:32
	s_wait_xcnt 0x0
	s_or_b32 exec_lo, exec_lo, s21
	s_and_b32 exec_lo, exec_lo, s5
	s_cbranch_execz .LBB80_2
.LBB80_31:                              ;   in Loop: Header=BB80_4 Depth=1
	v_lshl_add_u64 v[18:19], s[10:11], 1, v[18:19]
	v_lshl_add_u64 v[20:21], s[6:7], 1, v[16:17]
	s_delay_alu instid0(VALU_DEP_2) | instskip(NEXT) | instid1(VALU_DEP_2)
	v_add_nc_u64_e32 v[16:17], v[18:19], v[14:15]
	v_add_nc_u64_e32 v[14:15], v[20:21], v[14:15]
	s_and_saveexec_b32 s21, s3
	s_cbranch_execz .LBB80_33
; %bb.32:                               ;   in Loop: Header=BB80_4 Depth=1
	flat_load_u16 v18, v[16:17]
	s_wait_loadcnt_dscnt 0x0
	v_mul_f16_e32 v18, s39, v18
	s_delay_alu instid0(VALU_DEP_1)
	v_fmac_f16_e32 v18, s38, v28
	flat_store_b16 v[14:15], v18
.LBB80_33:                              ;   in Loop: Header=BB80_4 Depth=1
	s_wait_xcnt 0x0
	s_or_b32 exec_lo, exec_lo, s21
	s_delay_alu instid0(SALU_CYCLE_1)
	s_and_b32 exec_lo, exec_lo, s4
	s_cbranch_execz .LBB80_2
; %bb.34:                               ;   in Loop: Header=BB80_4 Depth=1
	flat_load_u16 v16, v[16:17] offset:32
	s_wait_xcnt 0x0
	v_lshrrev_b32_e32 v17, 16, v28
	s_wait_loadcnt_dscnt 0x0
	v_mul_f16_e32 v16, s39, v16
	s_delay_alu instid0(VALU_DEP_1)
	v_fmac_f16_e32 v16, s38, v17
	flat_store_b16 v[14:15], v16 offset:32
	s_branch .LBB80_2
.LBB80_35:
	s_endpgm
	.section	.rodata,"a",@progbits
	.p2align	6, 0x0
	.amdhsa_kernel _ZN12_GLOBAL__N_135rocblas_gemm_batched_general_kernelIDF16_Li16ELi16ELi32ELi32ELi8ELi32ELi8ELi8ELi32ELc67ELc78EKPKDF16_S3_KPDF16_EEvlllT_PT11_llS8_llS6_PT12_llPT13_lli
		.amdhsa_group_segment_fixed_size 1024
		.amdhsa_private_segment_fixed_size 0
		.amdhsa_kernarg_size 140
		.amdhsa_user_sgpr_count 2
		.amdhsa_user_sgpr_dispatch_ptr 0
		.amdhsa_user_sgpr_queue_ptr 0
		.amdhsa_user_sgpr_kernarg_segment_ptr 1
		.amdhsa_user_sgpr_dispatch_id 0
		.amdhsa_user_sgpr_kernarg_preload_length 0
		.amdhsa_user_sgpr_kernarg_preload_offset 0
		.amdhsa_user_sgpr_private_segment_size 0
		.amdhsa_wavefront_size32 1
		.amdhsa_uses_dynamic_stack 0
		.amdhsa_enable_private_segment 0
		.amdhsa_system_sgpr_workgroup_id_x 1
		.amdhsa_system_sgpr_workgroup_id_y 1
		.amdhsa_system_sgpr_workgroup_id_z 1
		.amdhsa_system_sgpr_workgroup_info 0
		.amdhsa_system_vgpr_workitem_id 1
		.amdhsa_next_free_vgpr 47
		.amdhsa_next_free_sgpr 42
		.amdhsa_named_barrier_count 0
		.amdhsa_reserve_vcc 1
		.amdhsa_float_round_mode_32 0
		.amdhsa_float_round_mode_16_64 0
		.amdhsa_float_denorm_mode_32 3
		.amdhsa_float_denorm_mode_16_64 3
		.amdhsa_fp16_overflow 0
		.amdhsa_memory_ordered 1
		.amdhsa_forward_progress 1
		.amdhsa_inst_pref_size 15
		.amdhsa_round_robin_scheduling 0
		.amdhsa_exception_fp_ieee_invalid_op 0
		.amdhsa_exception_fp_denorm_src 0
		.amdhsa_exception_fp_ieee_div_zero 0
		.amdhsa_exception_fp_ieee_overflow 0
		.amdhsa_exception_fp_ieee_underflow 0
		.amdhsa_exception_fp_ieee_inexact 0
		.amdhsa_exception_int_div_zero 0
	.end_amdhsa_kernel
	.section	.text._ZN12_GLOBAL__N_135rocblas_gemm_batched_general_kernelIDF16_Li16ELi16ELi32ELi32ELi8ELi32ELi8ELi8ELi32ELc67ELc78EKPKDF16_S3_KPDF16_EEvlllT_PT11_llS8_llS6_PT12_llPT13_lli,"axG",@progbits,_ZN12_GLOBAL__N_135rocblas_gemm_batched_general_kernelIDF16_Li16ELi16ELi32ELi32ELi8ELi32ELi8ELi8ELi32ELc67ELc78EKPKDF16_S3_KPDF16_EEvlllT_PT11_llS8_llS6_PT12_llPT13_lli,comdat
.Lfunc_end80:
	.size	_ZN12_GLOBAL__N_135rocblas_gemm_batched_general_kernelIDF16_Li16ELi16ELi32ELi32ELi8ELi32ELi8ELi8ELi32ELc67ELc78EKPKDF16_S3_KPDF16_EEvlllT_PT11_llS8_llS6_PT12_llPT13_lli, .Lfunc_end80-_ZN12_GLOBAL__N_135rocblas_gemm_batched_general_kernelIDF16_Li16ELi16ELi32ELi32ELi8ELi32ELi8ELi8ELi32ELc67ELc78EKPKDF16_S3_KPDF16_EEvlllT_PT11_llS8_llS6_PT12_llPT13_lli
                                        ; -- End function
	.set _ZN12_GLOBAL__N_135rocblas_gemm_batched_general_kernelIDF16_Li16ELi16ELi32ELi32ELi8ELi32ELi8ELi8ELi32ELc67ELc78EKPKDF16_S3_KPDF16_EEvlllT_PT11_llS8_llS6_PT12_llPT13_lli.num_vgpr, 47
	.set _ZN12_GLOBAL__N_135rocblas_gemm_batched_general_kernelIDF16_Li16ELi16ELi32ELi32ELi8ELi32ELi8ELi8ELi32ELc67ELc78EKPKDF16_S3_KPDF16_EEvlllT_PT11_llS8_llS6_PT12_llPT13_lli.num_agpr, 0
	.set _ZN12_GLOBAL__N_135rocblas_gemm_batched_general_kernelIDF16_Li16ELi16ELi32ELi32ELi8ELi32ELi8ELi8ELi32ELc67ELc78EKPKDF16_S3_KPDF16_EEvlllT_PT11_llS8_llS6_PT12_llPT13_lli.numbered_sgpr, 42
	.set _ZN12_GLOBAL__N_135rocblas_gemm_batched_general_kernelIDF16_Li16ELi16ELi32ELi32ELi8ELi32ELi8ELi8ELi32ELc67ELc78EKPKDF16_S3_KPDF16_EEvlllT_PT11_llS8_llS6_PT12_llPT13_lli.num_named_barrier, 0
	.set _ZN12_GLOBAL__N_135rocblas_gemm_batched_general_kernelIDF16_Li16ELi16ELi32ELi32ELi8ELi32ELi8ELi8ELi32ELc67ELc78EKPKDF16_S3_KPDF16_EEvlllT_PT11_llS8_llS6_PT12_llPT13_lli.private_seg_size, 0
	.set _ZN12_GLOBAL__N_135rocblas_gemm_batched_general_kernelIDF16_Li16ELi16ELi32ELi32ELi8ELi32ELi8ELi8ELi32ELc67ELc78EKPKDF16_S3_KPDF16_EEvlllT_PT11_llS8_llS6_PT12_llPT13_lli.uses_vcc, 1
	.set _ZN12_GLOBAL__N_135rocblas_gemm_batched_general_kernelIDF16_Li16ELi16ELi32ELi32ELi8ELi32ELi8ELi8ELi32ELc67ELc78EKPKDF16_S3_KPDF16_EEvlllT_PT11_llS8_llS6_PT12_llPT13_lli.uses_flat_scratch, 0
	.set _ZN12_GLOBAL__N_135rocblas_gemm_batched_general_kernelIDF16_Li16ELi16ELi32ELi32ELi8ELi32ELi8ELi8ELi32ELc67ELc78EKPKDF16_S3_KPDF16_EEvlllT_PT11_llS8_llS6_PT12_llPT13_lli.has_dyn_sized_stack, 0
	.set _ZN12_GLOBAL__N_135rocblas_gemm_batched_general_kernelIDF16_Li16ELi16ELi32ELi32ELi8ELi32ELi8ELi8ELi32ELc67ELc78EKPKDF16_S3_KPDF16_EEvlllT_PT11_llS8_llS6_PT12_llPT13_lli.has_recursion, 0
	.set _ZN12_GLOBAL__N_135rocblas_gemm_batched_general_kernelIDF16_Li16ELi16ELi32ELi32ELi8ELi32ELi8ELi8ELi32ELc67ELc78EKPKDF16_S3_KPDF16_EEvlllT_PT11_llS8_llS6_PT12_llPT13_lli.has_indirect_call, 0
	.section	.AMDGPU.csdata,"",@progbits
; Kernel info:
; codeLenInByte = 1900
; TotalNumSgprs: 44
; NumVgprs: 47
; ScratchSize: 0
; MemoryBound: 0
; FloatMode: 240
; IeeeMode: 1
; LDSByteSize: 1024 bytes/workgroup (compile time only)
; SGPRBlocks: 0
; VGPRBlocks: 2
; NumSGPRsForWavesPerEU: 44
; NumVGPRsForWavesPerEU: 47
; NamedBarCnt: 0
; Occupancy: 16
; WaveLimiterHint : 1
; COMPUTE_PGM_RSRC2:SCRATCH_EN: 0
; COMPUTE_PGM_RSRC2:USER_SGPR: 2
; COMPUTE_PGM_RSRC2:TRAP_HANDLER: 0
; COMPUTE_PGM_RSRC2:TGID_X_EN: 1
; COMPUTE_PGM_RSRC2:TGID_Y_EN: 1
; COMPUTE_PGM_RSRC2:TGID_Z_EN: 1
; COMPUTE_PGM_RSRC2:TIDIG_COMP_CNT: 1
	.section	.text._ZN12_GLOBAL__N_135rocblas_gemm_batched_general_kernelIDF16_Li16ELi16ELi32ELi32ELi8ELi32ELi8ELi8ELi32ELc67ELc84EKPKDF16_S3_KPDF16_EEvlllT_PT11_llS8_llS6_PT12_llPT13_lli,"axG",@progbits,_ZN12_GLOBAL__N_135rocblas_gemm_batched_general_kernelIDF16_Li16ELi16ELi32ELi32ELi8ELi32ELi8ELi8ELi32ELc67ELc84EKPKDF16_S3_KPDF16_EEvlllT_PT11_llS8_llS6_PT12_llPT13_lli,comdat
	.globl	_ZN12_GLOBAL__N_135rocblas_gemm_batched_general_kernelIDF16_Li16ELi16ELi32ELi32ELi8ELi32ELi8ELi8ELi32ELc67ELc84EKPKDF16_S3_KPDF16_EEvlllT_PT11_llS8_llS6_PT12_llPT13_lli ; -- Begin function _ZN12_GLOBAL__N_135rocblas_gemm_batched_general_kernelIDF16_Li16ELi16ELi32ELi32ELi8ELi32ELi8ELi8ELi32ELc67ELc84EKPKDF16_S3_KPDF16_EEvlllT_PT11_llS8_llS6_PT12_llPT13_lli
	.p2align	8
	.type	_ZN12_GLOBAL__N_135rocblas_gemm_batched_general_kernelIDF16_Li16ELi16ELi32ELi32ELi8ELi32ELi8ELi8ELi32ELc67ELc84EKPKDF16_S3_KPDF16_EEvlllT_PT11_llS8_llS6_PT12_llPT13_lli,@function
_ZN12_GLOBAL__N_135rocblas_gemm_batched_general_kernelIDF16_Li16ELi16ELi32ELi32ELi8ELi32ELi8ELi8ELi32ELc67ELc84EKPKDF16_S3_KPDF16_EEvlllT_PT11_llS8_llS6_PT12_llPT13_lli: ; @_ZN12_GLOBAL__N_135rocblas_gemm_batched_general_kernelIDF16_Li16ELi16ELi32ELi32ELi8ELi32ELi8ELi8ELi32ELc67ELc84EKPKDF16_S3_KPDF16_EEvlllT_PT11_llS8_llS6_PT12_llPT13_lli
; %bb.0:
	s_load_b32 s33, s[0:1], 0x88
	s_bfe_u32 s2, ttmp6, 0x40014
	s_lshr_b32 s3, ttmp7, 16
	s_add_co_i32 s2, s2, 1
	s_bfe_u32 s5, ttmp6, 0x40008
	s_mul_i32 s4, s3, s2
	s_getreg_b32 s2, hwreg(HW_REG_IB_STS2, 6, 4)
	s_add_co_i32 s5, s5, s4
	s_cmp_eq_u32 s2, 0
	s_mov_b32 s35, 0
	s_cselect_b32 s34, s3, s5
	s_wait_kmcnt 0x0
	s_cmp_ge_i32 s34, s33
	s_cbranch_scc1 .LBB81_35
; %bb.1:
	v_bfe_u32 v4, v0, 10, 10
	s_clause 0x2
	s_load_b128 s[4:7], s[0:1], 0x0
	s_load_b96 s[36:38], s[0:1], 0x10
	s_load_b256 s[8:15], s[0:1], 0x20
	v_and_b32_e32 v10, 0x3ff, v0
	s_clause 0x3
	s_load_b128 s[24:27], s[0:1], 0x40
	s_load_b32 s39, s[0:1], 0x50
	s_load_b128 s[28:31], s[0:1], 0x78
	s_load_b256 s[16:23], s[0:1], 0x58
	v_dual_mov_b32 v1, 0 :: v_dual_lshlrev_b32 v20, 4, v4
	s_wait_xcnt 0x0
	s_bfe_u32 s1, ttmp6, 0x4000c
	s_bfe_u32 s3, ttmp6, 0x40010
	s_add_co_i32 s1, s1, 1
	s_and_b32 s40, ttmp7, 0xffff
	s_add_co_i32 s3, s3, 1
	s_and_b32 s0, ttmp6, 15
	s_mul_i32 s1, ttmp9, s1
	s_mul_i32 s3, s40, s3
	s_bfe_u32 s41, ttmp6, 0x40004
	v_dual_mov_b32 v5, v1 :: v_dual_add_nc_u32 v8, v20, v10
	s_add_co_i32 s0, s0, s1
	s_add_co_i32 s41, s41, s3
	s_cmp_eq_u32 s2, 0
	s_delay_alu instid0(VALU_DEP_1)
	v_dual_mov_b32 v3, v1 :: v_dual_bitop2_b32 v11, 31, v8 bitop3:0x40
	s_cselect_b32 s0, ttmp9, s0
	s_cselect_b32 s41, s40, s41
	s_ashr_i32 s1, s0, 31
	v_dual_mov_b32 v15, v1 :: v_dual_lshrrev_b32 v14, 3, v8
	s_lshl_b64 s[2:3], s[0:1], 5
	s_delay_alu instid0(SALU_CYCLE_1) | instskip(SKIP_3) | instid1(VALU_DEP_2)
	v_dual_mov_b32 v7, s3 :: v_dual_bitop2_b32 v2, 7, v0 bitop3:0x40
	v_dual_lshrrev_b32 v0, 5, v8 :: v_dual_bitop2_b32 v6, s2, v11 bitop3:0x54
	s_lshl_b32 s0, s41, 5
	s_wait_kmcnt 0x0
	v_mul_u64_e32 v[12:13], s[24:25], v[2:3]
	s_mov_b32 s1, s35
	v_lshlrev_b32_e32 v21, 1, v2
	v_mul_u64_e32 v[16:17], s[10:11], v[6:7]
	v_add_nc_u64_e32 v[8:9], s[0:1], v[14:15]
	v_add_nc_u64_e32 v[18:19], s[0:1], v[4:5]
	v_dual_lshlrev_b32 v15, 1, v11 :: v_dual_mov_b32 v11, v1
	v_lshlrev_b32_e32 v26, 1, v10
	v_cmp_gt_i64_e64 s0, s[4:5], v[6:7]
	s_cmp_eq_f16 s39, 0
	v_cmp_gt_i64_e64 s1, s[6:7], v[8:9]
	v_mul_u64_e32 v[6:7], s[28:29], v[18:19]
	v_mul_u64_e32 v[8:9], s[18:19], v[18:19]
	v_add_nc_u64_e32 v[4:5], s[2:3], v[10:11]
	s_cselect_b32 s40, -1, 0
	s_lshl_b32 s10, s41, 6
	s_mov_b32 s11, s35
	s_lshl_b64 s[26:27], s[26:27], 1
	v_lshl_or_b32 v21, v14, 4, v21
	s_add_nc_u64 s[10:11], s[26:27], s[10:11]
	v_add_nc_u64_e32 v[10:11], 16, v[4:5]
	v_cmp_gt_i64_e64 s3, s[4:5], v[4:5]
	v_lshl_or_b32 v24, v0, 6, v15
	v_cmp_gt_i64_e64 s2, s[6:7], v[18:19]
	v_dual_mov_b32 v15, v1 :: v_dual_lshlrev_b32 v14, 1, v14
	v_cmp_gt_i64_e64 s26, s[36:37], 0
	v_cmp_gt_i64_e64 s4, s[4:5], v[10:11]
	v_add_nc_u64_e32 v[10:11], 16, v[18:19]
	v_dual_mov_b32 v19, v1 :: v_dual_lshlrev_b32 v18, 1, v0
	v_lshl_add_u64 v[12:13], v[12:13], 1, s[10:11]
	s_lshl_b64 s[10:11], s[12:13], 1
	v_add_nc_u32_e32 v25, 0x200, v21
	v_lshl_add_u64 v[16:17], v[16:17], 1, s[10:11]
	v_cmp_gt_i64_e64 s5, s[6:7], v[10:11]
	v_add_nc_u64_e32 v[10:11], v[12:13], v[14:15]
	v_add_nc_u32_e32 v27, 0x200, v20
	s_lshl_b64 s[6:7], s[28:29], 4
	v_add_nc_u64_e32 v[12:13], v[16:17], v[18:19]
	s_lshl_b64 s[10:11], s[18:19], 4
	s_lshl_b64 s[12:13], s[24:25], 4
	;; [unrolled: 1-line block ×4, first 2 shown]
	s_branch .LBB81_4
.LBB81_2:                               ;   in Loop: Header=BB81_4 Depth=1
	s_wait_xcnt 0x0
	s_or_b32 exec_lo, exec_lo, s24
.LBB81_3:                               ;   in Loop: Header=BB81_4 Depth=1
	s_add_co_i32 s34, s34, 0x10000
	s_delay_alu instid0(SALU_CYCLE_1)
	s_cmp_lt_i32 s34, s33
	s_cbranch_scc0 .LBB81_35
.LBB81_4:                               ; =>This Loop Header: Depth=1
                                        ;     Child Loop BB81_7 Depth 2
	s_wait_xcnt 0x0
	v_mov_b32_e32 v18, s34
	s_and_not1_b32 vcc_lo, exec_lo, s26
	s_clause 0x1
	global_load_b64 v[14:15], v18, s[16:17] scale_offset
	global_load_b64 v[16:17], v18, s[22:23] scale_offset
	s_cbranch_vccnz .LBB81_11
; %bb.5:                                ;   in Loop: Header=BB81_4 Depth=1
	s_lshl_b64 s[24:25], s[34:35], 3
	v_dual_mov_b32 v29, 0 :: v_dual_mov_b32 v28, 0
	s_add_nc_u64 s[28:29], s[14:15], s[24:25]
	s_add_nc_u64 s[24:25], s[8:9], s[24:25]
	s_clause 0x1
	global_load_b64 v[18:19], v1, s[28:29]
	global_load_b64 v[20:21], v1, s[24:25]
	s_wait_xcnt 0x0
	s_mov_b64 s[24:25], 0
	s_wait_loadcnt 0x1
	v_add_nc_u64_e32 v[18:19], v[18:19], v[10:11]
	s_wait_loadcnt 0x0
	v_add_nc_u64_e32 v[20:21], v[20:21], v[12:13]
	s_branch .LBB81_7
.LBB81_6:                               ;   in Loop: Header=BB81_7 Depth=2
	s_wait_xcnt 0x0
	s_or_b32 exec_lo, exec_lo, s27
	s_wait_loadcnt_dscnt 0x0
	ds_store_b16 v25, v23
	s_wait_dscnt 0x0
	s_barrier_signal -1
	s_barrier_wait -1
	ds_load_u16 v22, v26
	ds_load_u16 v23, v26 offset:32
	ds_load_u16 v38, v26 offset:64
	;; [unrolled: 1-line block ×3, first 2 shown]
	ds_load_b128 v[30:33], v27
	ds_load_b128 v[34:37], v27 offset:256
	ds_load_u16 v40, v26 offset:128
	ds_load_u16 v41, v26 offset:160
	;; [unrolled: 1-line block ×6, first 2 shown]
	s_add_nc_u64 s[24:25], s[24:25], 8
	v_add_nc_u64_e32 v[18:19], s[12:13], v[18:19]
	v_cmp_lt_i64_e64 s27, s[24:25], s[36:37]
	v_add_nc_u64_e32 v[20:21], 16, v[20:21]
	s_wait_dscnt 0xa
	v_perm_b32 v22, v23, v22, 0x5040100
	ds_load_u16 v23, v26 offset:320
	ds_load_u16 v46, v26 offset:352
	s_wait_dscnt 0xa
	v_perm_b32 v38, v39, v38, 0x5040100
	s_and_b32 vcc_lo, exec_lo, s27
	s_wait_dscnt 0x9
	v_pk_fma_f16 v29, v22, v30, v29 op_sel_hi:[1,0,1]
	s_wait_dscnt 0x8
	v_pk_fma_f16 v22, v22, v34, v28 op_sel_hi:[1,0,1]
	ds_load_u16 v28, v26 offset:384
	ds_load_u16 v39, v26 offset:416
	s_wait_dscnt 0x8
	v_perm_b32 v40, v41, v40, 0x5040100
	v_pk_fma_f16 v29, v38, v30, v29 op_sel:[0,1,0]
	v_pk_fma_f16 v22, v38, v34, v22 op_sel:[0,1,0]
	ds_load_u16 v30, v26 offset:448
	ds_load_u16 v34, v26 offset:480
	s_wait_dscnt 0x8
	v_perm_b32 v38, v43, v42, 0x5040100
	s_wait_dscnt 0x0
	v_pk_fma_f16 v29, v40, v31, v29 op_sel_hi:[1,0,1]
	v_pk_fma_f16 v22, v40, v35, v22 op_sel_hi:[1,0,1]
	v_perm_b32 v40, v45, v44, 0x5040100
	s_barrier_signal -1
	s_barrier_wait -1
	v_pk_fma_f16 v29, v38, v31, v29 op_sel:[0,1,0]
	v_pk_fma_f16 v22, v38, v35, v22 op_sel:[0,1,0]
	v_perm_b32 v23, v46, v23, 0x5040100
	s_delay_alu instid0(VALU_DEP_3) | instskip(NEXT) | instid1(VALU_DEP_3)
	v_pk_fma_f16 v29, v40, v32, v29 op_sel_hi:[1,0,1]
	v_pk_fma_f16 v22, v40, v36, v22 op_sel_hi:[1,0,1]
	v_perm_b32 v28, v39, v28, 0x5040100
	s_delay_alu instid0(VALU_DEP_3) | instskip(NEXT) | instid1(VALU_DEP_3)
	v_pk_fma_f16 v29, v23, v32, v29 op_sel:[0,1,0]
	v_pk_fma_f16 v22, v23, v36, v22 op_sel:[0,1,0]
	v_perm_b32 v23, v34, v30, 0x5040100
	s_delay_alu instid0(VALU_DEP_3) | instskip(NEXT) | instid1(VALU_DEP_3)
	v_pk_fma_f16 v29, v28, v33, v29 op_sel_hi:[1,0,1]
	v_pk_fma_f16 v22, v28, v37, v22 op_sel_hi:[1,0,1]
	s_delay_alu instid0(VALU_DEP_2) | instskip(NEXT) | instid1(VALU_DEP_2)
	v_pk_fma_f16 v29, v23, v33, v29 op_sel:[0,1,0]
	v_pk_fma_f16 v28, v23, v37, v22 op_sel:[0,1,0]
	s_cbranch_vccz .LBB81_12
.LBB81_7:                               ;   Parent Loop BB81_4 Depth=1
                                        ; =>  This Inner Loop Header: Depth=2
	v_add_nc_u64_e32 v[22:23], s[24:25], v[0:1]
	s_delay_alu instid0(VALU_DEP_1) | instskip(SKIP_2) | instid1(SALU_CYCLE_1)
	v_cmp_gt_i64_e32 vcc_lo, s[36:37], v[22:23]
	v_mov_b32_e32 v22, 0
	s_and_b32 s28, s0, vcc_lo
	s_and_saveexec_b32 s27, s28
	s_cbranch_execz .LBB81_9
; %bb.8:                                ;   in Loop: Header=BB81_7 Depth=2
	flat_load_u16 v22, v[20:21]
.LBB81_9:                               ;   in Loop: Header=BB81_7 Depth=2
	s_wait_xcnt 0x0
	s_or_b32 exec_lo, exec_lo, s27
	v_add_nc_u64_e32 v[30:31], s[24:25], v[2:3]
	v_mov_b32_e32 v23, 0
	s_wait_loadcnt_dscnt 0x0
	ds_store_b16 v24, v22
	v_cmp_gt_i64_e32 vcc_lo, s[36:37], v[30:31]
	s_and_b32 s28, vcc_lo, s1
	s_delay_alu instid0(SALU_CYCLE_1)
	s_and_saveexec_b32 s27, s28
	s_cbranch_execz .LBB81_6
; %bb.10:                               ;   in Loop: Header=BB81_7 Depth=2
	flat_load_u16 v23, v[18:19]
	s_branch .LBB81_6
.LBB81_11:                              ;   in Loop: Header=BB81_4 Depth=1
	v_dual_mov_b32 v28, 0 :: v_dual_mov_b32 v29, 0
.LBB81_12:                              ;   in Loop: Header=BB81_4 Depth=1
	s_wait_loadcnt 0x0
	v_add_nc_u64_e32 v[16:17], s[18:19], v[16:17]
	s_and_not1_b32 vcc_lo, exec_lo, s40
	s_cbranch_vccnz .LBB81_17
; %bb.13:                               ;   in Loop: Header=BB81_4 Depth=1
	s_wait_xcnt 0x0
	s_and_saveexec_b32 s24, s2
	s_cbranch_execz .LBB81_24
; %bb.14:                               ;   in Loop: Header=BB81_4 Depth=1
	s_delay_alu instid0(VALU_DEP_1) | instskip(NEXT) | instid1(VALU_DEP_1)
	v_lshl_add_u64 v[18:19], v[6:7], 1, v[16:17]
	v_lshl_add_u64 v[20:21], v[4:5], 1, v[18:19]
	s_and_saveexec_b32 s25, s3
	s_cbranch_execnz .LBB81_18
; %bb.15:                               ;   in Loop: Header=BB81_4 Depth=1
	s_or_b32 exec_lo, exec_lo, s25
	s_and_saveexec_b32 s25, s4
	s_cbranch_execnz .LBB81_19
.LBB81_16:                              ;   in Loop: Header=BB81_4 Depth=1
	s_or_b32 exec_lo, exec_lo, s25
	s_delay_alu instid0(SALU_CYCLE_1)
	s_and_b32 exec_lo, exec_lo, s5
	s_cbranch_execnz .LBB81_20
	s_branch .LBB81_24
.LBB81_17:                              ;   in Loop: Header=BB81_4 Depth=1
	s_branch .LBB81_25
.LBB81_18:                              ;   in Loop: Header=BB81_4 Depth=1
	v_mul_f16_e32 v22, s38, v29
	flat_store_b16 v[20:21], v22
	s_wait_xcnt 0x0
	s_or_b32 exec_lo, exec_lo, s25
	s_and_saveexec_b32 s25, s4
	s_cbranch_execz .LBB81_16
.LBB81_19:                              ;   in Loop: Header=BB81_4 Depth=1
	v_lshrrev_b32_e32 v22, 16, v29
	s_delay_alu instid0(VALU_DEP_1) | instskip(SKIP_3) | instid1(SALU_CYCLE_1)
	v_mul_f16_e32 v22, s38, v22
	flat_store_b16 v[20:21], v22 offset:32
	s_wait_xcnt 0x0
	s_or_b32 exec_lo, exec_lo, s25
	s_and_b32 exec_lo, exec_lo, s5
	s_cbranch_execz .LBB81_24
.LBB81_20:                              ;   in Loop: Header=BB81_4 Depth=1
	v_lshl_add_u64 v[18:19], s[6:7], 1, v[18:19]
	s_delay_alu instid0(VALU_DEP_1)
	v_lshl_add_u64 v[18:19], v[4:5], 1, v[18:19]
	s_and_saveexec_b32 s25, s3
	s_cbranch_execz .LBB81_22
; %bb.21:                               ;   in Loop: Header=BB81_4 Depth=1
	v_mul_f16_e32 v20, s38, v28
	flat_store_b16 v[18:19], v20
.LBB81_22:                              ;   in Loop: Header=BB81_4 Depth=1
	s_wait_xcnt 0x0
	s_or_b32 exec_lo, exec_lo, s25
	s_delay_alu instid0(SALU_CYCLE_1)
	s_and_b32 exec_lo, exec_lo, s4
	s_cbranch_execz .LBB81_24
; %bb.23:                               ;   in Loop: Header=BB81_4 Depth=1
	v_lshrrev_b32_e32 v20, 16, v28
	s_delay_alu instid0(VALU_DEP_1)
	v_mul_f16_e32 v20, s38, v20
	flat_store_b16 v[18:19], v20 offset:32
.LBB81_24:                              ;   in Loop: Header=BB81_4 Depth=1
	s_wait_xcnt 0x0
	s_or_b32 exec_lo, exec_lo, s24
	s_cbranch_execnz .LBB81_3
.LBB81_25:                              ;   in Loop: Header=BB81_4 Depth=1
	s_wait_xcnt 0x0
	s_and_saveexec_b32 s24, s2
	s_cbranch_execz .LBB81_2
; %bb.26:                               ;   in Loop: Header=BB81_4 Depth=1
	v_add_nc_u64_e32 v[18:19], s[20:21], v[14:15]
	v_lshlrev_b64_e32 v[14:15], 1, v[4:5]
	v_lshl_add_u64 v[16:17], v[6:7], 1, v[16:17]
	s_delay_alu instid0(VALU_DEP_3) | instskip(NEXT) | instid1(VALU_DEP_2)
	v_lshl_add_u64 v[18:19], v[8:9], 1, v[18:19]
	v_add_nc_u64_e32 v[20:21], v[16:17], v[14:15]
	s_delay_alu instid0(VALU_DEP_2)
	v_add_nc_u64_e32 v[22:23], v[18:19], v[14:15]
	s_and_saveexec_b32 s25, s3
	s_cbranch_execnz .LBB81_29
; %bb.27:                               ;   in Loop: Header=BB81_4 Depth=1
	s_or_b32 exec_lo, exec_lo, s25
	s_and_saveexec_b32 s25, s4
	s_cbranch_execnz .LBB81_30
.LBB81_28:                              ;   in Loop: Header=BB81_4 Depth=1
	s_or_b32 exec_lo, exec_lo, s25
	s_delay_alu instid0(SALU_CYCLE_1)
	s_and_b32 exec_lo, exec_lo, s5
	s_cbranch_execz .LBB81_2
	s_branch .LBB81_31
.LBB81_29:                              ;   in Loop: Header=BB81_4 Depth=1
	flat_load_u16 v30, v[22:23]
	s_wait_loadcnt_dscnt 0x0
	v_mul_f16_e32 v30, s39, v30
	s_delay_alu instid0(VALU_DEP_1)
	v_fmac_f16_e32 v30, s38, v29
	flat_store_b16 v[20:21], v30
	s_wait_xcnt 0x0
	s_or_b32 exec_lo, exec_lo, s25
	s_and_saveexec_b32 s25, s4
	s_cbranch_execz .LBB81_28
.LBB81_30:                              ;   in Loop: Header=BB81_4 Depth=1
	flat_load_u16 v22, v[22:23] offset:32
	s_wait_xcnt 0x0
	v_lshrrev_b32_e32 v23, 16, v29
	s_wait_loadcnt_dscnt 0x0
	v_mul_f16_e32 v22, s39, v22
	s_delay_alu instid0(VALU_DEP_1) | instskip(SKIP_3) | instid1(SALU_CYCLE_1)
	v_fmac_f16_e32 v22, s38, v23
	flat_store_b16 v[20:21], v22 offset:32
	s_wait_xcnt 0x0
	s_or_b32 exec_lo, exec_lo, s25
	s_and_b32 exec_lo, exec_lo, s5
	s_cbranch_execz .LBB81_2
.LBB81_31:                              ;   in Loop: Header=BB81_4 Depth=1
	v_lshl_add_u64 v[18:19], s[10:11], 1, v[18:19]
	v_lshl_add_u64 v[20:21], s[6:7], 1, v[16:17]
	s_delay_alu instid0(VALU_DEP_2) | instskip(NEXT) | instid1(VALU_DEP_2)
	v_add_nc_u64_e32 v[16:17], v[18:19], v[14:15]
	v_add_nc_u64_e32 v[14:15], v[20:21], v[14:15]
	s_and_saveexec_b32 s25, s3
	s_cbranch_execz .LBB81_33
; %bb.32:                               ;   in Loop: Header=BB81_4 Depth=1
	flat_load_u16 v18, v[16:17]
	s_wait_loadcnt_dscnt 0x0
	v_mul_f16_e32 v18, s39, v18
	s_delay_alu instid0(VALU_DEP_1)
	v_fmac_f16_e32 v18, s38, v28
	flat_store_b16 v[14:15], v18
.LBB81_33:                              ;   in Loop: Header=BB81_4 Depth=1
	s_wait_xcnt 0x0
	s_or_b32 exec_lo, exec_lo, s25
	s_delay_alu instid0(SALU_CYCLE_1)
	s_and_b32 exec_lo, exec_lo, s4
	s_cbranch_execz .LBB81_2
; %bb.34:                               ;   in Loop: Header=BB81_4 Depth=1
	flat_load_u16 v16, v[16:17] offset:32
	s_wait_xcnt 0x0
	v_lshrrev_b32_e32 v17, 16, v28
	s_wait_loadcnt_dscnt 0x0
	v_mul_f16_e32 v16, s39, v16
	s_delay_alu instid0(VALU_DEP_1)
	v_fmac_f16_e32 v16, s38, v17
	flat_store_b16 v[14:15], v16 offset:32
	s_branch .LBB81_2
.LBB81_35:
	s_endpgm
	.section	.rodata,"a",@progbits
	.p2align	6, 0x0
	.amdhsa_kernel _ZN12_GLOBAL__N_135rocblas_gemm_batched_general_kernelIDF16_Li16ELi16ELi32ELi32ELi8ELi32ELi8ELi8ELi32ELc67ELc84EKPKDF16_S3_KPDF16_EEvlllT_PT11_llS8_llS6_PT12_llPT13_lli
		.amdhsa_group_segment_fixed_size 1024
		.amdhsa_private_segment_fixed_size 0
		.amdhsa_kernarg_size 140
		.amdhsa_user_sgpr_count 2
		.amdhsa_user_sgpr_dispatch_ptr 0
		.amdhsa_user_sgpr_queue_ptr 0
		.amdhsa_user_sgpr_kernarg_segment_ptr 1
		.amdhsa_user_sgpr_dispatch_id 0
		.amdhsa_user_sgpr_kernarg_preload_length 0
		.amdhsa_user_sgpr_kernarg_preload_offset 0
		.amdhsa_user_sgpr_private_segment_size 0
		.amdhsa_wavefront_size32 1
		.amdhsa_uses_dynamic_stack 0
		.amdhsa_enable_private_segment 0
		.amdhsa_system_sgpr_workgroup_id_x 1
		.amdhsa_system_sgpr_workgroup_id_y 1
		.amdhsa_system_sgpr_workgroup_id_z 1
		.amdhsa_system_sgpr_workgroup_info 0
		.amdhsa_system_vgpr_workitem_id 1
		.amdhsa_next_free_vgpr 47
		.amdhsa_next_free_sgpr 42
		.amdhsa_named_barrier_count 0
		.amdhsa_reserve_vcc 1
		.amdhsa_float_round_mode_32 0
		.amdhsa_float_round_mode_16_64 0
		.amdhsa_float_denorm_mode_32 3
		.amdhsa_float_denorm_mode_16_64 3
		.amdhsa_fp16_overflow 0
		.amdhsa_memory_ordered 1
		.amdhsa_forward_progress 1
		.amdhsa_inst_pref_size 15
		.amdhsa_round_robin_scheduling 0
		.amdhsa_exception_fp_ieee_invalid_op 0
		.amdhsa_exception_fp_denorm_src 0
		.amdhsa_exception_fp_ieee_div_zero 0
		.amdhsa_exception_fp_ieee_overflow 0
		.amdhsa_exception_fp_ieee_underflow 0
		.amdhsa_exception_fp_ieee_inexact 0
		.amdhsa_exception_int_div_zero 0
	.end_amdhsa_kernel
	.section	.text._ZN12_GLOBAL__N_135rocblas_gemm_batched_general_kernelIDF16_Li16ELi16ELi32ELi32ELi8ELi32ELi8ELi8ELi32ELc67ELc84EKPKDF16_S3_KPDF16_EEvlllT_PT11_llS8_llS6_PT12_llPT13_lli,"axG",@progbits,_ZN12_GLOBAL__N_135rocblas_gemm_batched_general_kernelIDF16_Li16ELi16ELi32ELi32ELi8ELi32ELi8ELi8ELi32ELc67ELc84EKPKDF16_S3_KPDF16_EEvlllT_PT11_llS8_llS6_PT12_llPT13_lli,comdat
.Lfunc_end81:
	.size	_ZN12_GLOBAL__N_135rocblas_gemm_batched_general_kernelIDF16_Li16ELi16ELi32ELi32ELi8ELi32ELi8ELi8ELi32ELc67ELc84EKPKDF16_S3_KPDF16_EEvlllT_PT11_llS8_llS6_PT12_llPT13_lli, .Lfunc_end81-_ZN12_GLOBAL__N_135rocblas_gemm_batched_general_kernelIDF16_Li16ELi16ELi32ELi32ELi8ELi32ELi8ELi8ELi32ELc67ELc84EKPKDF16_S3_KPDF16_EEvlllT_PT11_llS8_llS6_PT12_llPT13_lli
                                        ; -- End function
	.set _ZN12_GLOBAL__N_135rocblas_gemm_batched_general_kernelIDF16_Li16ELi16ELi32ELi32ELi8ELi32ELi8ELi8ELi32ELc67ELc84EKPKDF16_S3_KPDF16_EEvlllT_PT11_llS8_llS6_PT12_llPT13_lli.num_vgpr, 47
	.set _ZN12_GLOBAL__N_135rocblas_gemm_batched_general_kernelIDF16_Li16ELi16ELi32ELi32ELi8ELi32ELi8ELi8ELi32ELc67ELc84EKPKDF16_S3_KPDF16_EEvlllT_PT11_llS8_llS6_PT12_llPT13_lli.num_agpr, 0
	.set _ZN12_GLOBAL__N_135rocblas_gemm_batched_general_kernelIDF16_Li16ELi16ELi32ELi32ELi8ELi32ELi8ELi8ELi32ELc67ELc84EKPKDF16_S3_KPDF16_EEvlllT_PT11_llS8_llS6_PT12_llPT13_lli.numbered_sgpr, 42
	.set _ZN12_GLOBAL__N_135rocblas_gemm_batched_general_kernelIDF16_Li16ELi16ELi32ELi32ELi8ELi32ELi8ELi8ELi32ELc67ELc84EKPKDF16_S3_KPDF16_EEvlllT_PT11_llS8_llS6_PT12_llPT13_lli.num_named_barrier, 0
	.set _ZN12_GLOBAL__N_135rocblas_gemm_batched_general_kernelIDF16_Li16ELi16ELi32ELi32ELi8ELi32ELi8ELi8ELi32ELc67ELc84EKPKDF16_S3_KPDF16_EEvlllT_PT11_llS8_llS6_PT12_llPT13_lli.private_seg_size, 0
	.set _ZN12_GLOBAL__N_135rocblas_gemm_batched_general_kernelIDF16_Li16ELi16ELi32ELi32ELi8ELi32ELi8ELi8ELi32ELc67ELc84EKPKDF16_S3_KPDF16_EEvlllT_PT11_llS8_llS6_PT12_llPT13_lli.uses_vcc, 1
	.set _ZN12_GLOBAL__N_135rocblas_gemm_batched_general_kernelIDF16_Li16ELi16ELi32ELi32ELi8ELi32ELi8ELi8ELi32ELc67ELc84EKPKDF16_S3_KPDF16_EEvlllT_PT11_llS8_llS6_PT12_llPT13_lli.uses_flat_scratch, 0
	.set _ZN12_GLOBAL__N_135rocblas_gemm_batched_general_kernelIDF16_Li16ELi16ELi32ELi32ELi8ELi32ELi8ELi8ELi32ELc67ELc84EKPKDF16_S3_KPDF16_EEvlllT_PT11_llS8_llS6_PT12_llPT13_lli.has_dyn_sized_stack, 0
	.set _ZN12_GLOBAL__N_135rocblas_gemm_batched_general_kernelIDF16_Li16ELi16ELi32ELi32ELi8ELi32ELi8ELi8ELi32ELc67ELc84EKPKDF16_S3_KPDF16_EEvlllT_PT11_llS8_llS6_PT12_llPT13_lli.has_recursion, 0
	.set _ZN12_GLOBAL__N_135rocblas_gemm_batched_general_kernelIDF16_Li16ELi16ELi32ELi32ELi8ELi32ELi8ELi8ELi32ELc67ELc84EKPKDF16_S3_KPDF16_EEvlllT_PT11_llS8_llS6_PT12_llPT13_lli.has_indirect_call, 0
	.section	.AMDGPU.csdata,"",@progbits
; Kernel info:
; codeLenInByte = 1916
; TotalNumSgprs: 44
; NumVgprs: 47
; ScratchSize: 0
; MemoryBound: 0
; FloatMode: 240
; IeeeMode: 1
; LDSByteSize: 1024 bytes/workgroup (compile time only)
; SGPRBlocks: 0
; VGPRBlocks: 2
; NumSGPRsForWavesPerEU: 44
; NumVGPRsForWavesPerEU: 47
; NamedBarCnt: 0
; Occupancy: 16
; WaveLimiterHint : 1
; COMPUTE_PGM_RSRC2:SCRATCH_EN: 0
; COMPUTE_PGM_RSRC2:USER_SGPR: 2
; COMPUTE_PGM_RSRC2:TRAP_HANDLER: 0
; COMPUTE_PGM_RSRC2:TGID_X_EN: 1
; COMPUTE_PGM_RSRC2:TGID_Y_EN: 1
; COMPUTE_PGM_RSRC2:TGID_Z_EN: 1
; COMPUTE_PGM_RSRC2:TIDIG_COMP_CNT: 1
	.section	.text._ZN12_GLOBAL__N_135rocblas_gemm_batched_general_kernelIDF16_Li16ELi16ELi32ELi32ELi8ELi32ELi8ELi8ELi32ELc78ELc67EKPKDF16_S3_KPDF16_EEvlllT_PT11_llS8_llS6_PT12_llPT13_lli,"axG",@progbits,_ZN12_GLOBAL__N_135rocblas_gemm_batched_general_kernelIDF16_Li16ELi16ELi32ELi32ELi8ELi32ELi8ELi8ELi32ELc78ELc67EKPKDF16_S3_KPDF16_EEvlllT_PT11_llS8_llS6_PT12_llPT13_lli,comdat
	.globl	_ZN12_GLOBAL__N_135rocblas_gemm_batched_general_kernelIDF16_Li16ELi16ELi32ELi32ELi8ELi32ELi8ELi8ELi32ELc78ELc67EKPKDF16_S3_KPDF16_EEvlllT_PT11_llS8_llS6_PT12_llPT13_lli ; -- Begin function _ZN12_GLOBAL__N_135rocblas_gemm_batched_general_kernelIDF16_Li16ELi16ELi32ELi32ELi8ELi32ELi8ELi8ELi32ELc78ELc67EKPKDF16_S3_KPDF16_EEvlllT_PT11_llS8_llS6_PT12_llPT13_lli
	.p2align	8
	.type	_ZN12_GLOBAL__N_135rocblas_gemm_batched_general_kernelIDF16_Li16ELi16ELi32ELi32ELi8ELi32ELi8ELi8ELi32ELc78ELc67EKPKDF16_S3_KPDF16_EEvlllT_PT11_llS8_llS6_PT12_llPT13_lli,@function
_ZN12_GLOBAL__N_135rocblas_gemm_batched_general_kernelIDF16_Li16ELi16ELi32ELi32ELi8ELi32ELi8ELi8ELi32ELc78ELc67EKPKDF16_S3_KPDF16_EEvlllT_PT11_llS8_llS6_PT12_llPT13_lli: ; @_ZN12_GLOBAL__N_135rocblas_gemm_batched_general_kernelIDF16_Li16ELi16ELi32ELi32ELi8ELi32ELi8ELi8ELi32ELc78ELc67EKPKDF16_S3_KPDF16_EEvlllT_PT11_llS8_llS6_PT12_llPT13_lli
; %bb.0:
	s_load_b32 s33, s[0:1], 0x88
	s_bfe_u32 s2, ttmp6, 0x40014
	s_lshr_b32 s3, ttmp7, 16
	s_add_co_i32 s2, s2, 1
	s_bfe_u32 s5, ttmp6, 0x40008
	s_mul_i32 s4, s3, s2
	s_getreg_b32 s2, hwreg(HW_REG_IB_STS2, 6, 4)
	s_add_co_i32 s5, s5, s4
	s_cmp_eq_u32 s2, 0
	s_mov_b32 s35, 0
	s_cselect_b32 s34, s3, s5
	s_wait_kmcnt 0x0
	s_cmp_ge_i32 s34, s33
	s_cbranch_scc1 .LBB82_35
; %bb.1:
	v_bfe_u32 v4, v0, 10, 10
	s_clause 0x4
	s_load_b128 s[4:7], s[0:1], 0x0
	s_load_b96 s[36:38], s[0:1], 0x10
	s_load_b256 s[8:15], s[0:1], 0x20
	s_load_b128 s[28:31], s[0:1], 0x40
	s_load_b32 s39, s[0:1], 0x50
	v_and_b32_e32 v6, 0x3ff, v0
	s_clause 0x1
	s_load_b128 s[24:27], s[0:1], 0x78
	s_load_b256 s[16:23], s[0:1], 0x58
	v_dual_lshlrev_b32 v19, 4, v4 :: v_dual_mov_b32 v3, 0
	s_wait_xcnt 0x0
	s_bfe_u32 s0, ttmp6, 0x4000c
	s_bfe_u32 s3, ttmp6, 0x40010
	s_add_co_i32 s0, s0, 1
	v_dual_add_nc_u32 v7, v19, v6 :: v_dual_bitop2_b32 v0, 7, v0 bitop3:0x40
	s_and_b32 s40, ttmp7, 0xffff
	s_add_co_i32 s3, s3, 1
	s_and_b32 s1, ttmp6, 15
	s_mul_i32 s0, ttmp9, s0
	s_mul_i32 s3, s40, s3
	s_bfe_u32 s41, ttmp6, 0x40004
	v_dual_mov_b32 v1, v3 :: v_dual_lshrrev_b32 v2, 5, v7
	s_add_co_i32 s1, s1, s0
	s_add_co_i32 s41, s41, s3
	s_cmp_eq_u32 s2, 0
	v_dual_mov_b32 v5, v3 :: v_dual_bitop2_b32 v18, 31, v7 bitop3:0x40
	s_cselect_b32 s42, ttmp9, s1
	v_dual_mov_b32 v11, v3 :: v_dual_lshrrev_b32 v10, 3, v7
	s_wait_kmcnt 0x0
	v_mul_u64_e32 v[12:13], s[28:29], v[0:1]
	v_lshlrev_b32_e32 v20, 1, v0
	v_mul_u64_e32 v[16:17], s[10:11], v[2:3]
	s_cselect_b32 s44, s40, s41
	s_ashr_i32 s43, s42, 31
	s_lshl_b32 s40, s44, 5
	s_lshl_b64 s[2:3], s[42:43], 5
	s_mov_b32 s41, s35
	v_dual_mov_b32 v9, s3 :: v_dual_bitop2_b32 v8, s2, v18 bitop3:0x54
	v_add_nc_u64_e32 v[14:15], s[40:41], v[10:11]
	v_lshlrev_b32_e32 v18, 1, v18
	v_lshl_or_b32 v11, v10, 4, v20
	v_add_nc_u64_e32 v[20:21], s[40:41], v[4:5]
	v_dual_mov_b32 v7, v3 :: v_dual_lshlrev_b32 v26, 1, v6
	v_cmp_gt_i64_e64 s0, s[4:5], v[8:9]
	v_cmp_gt_i64_e64 s1, s[6:7], v[14:15]
	s_cmp_eq_f16 s39, 0
	v_add_nc_u64_e32 v[4:5], s[2:3], v[6:7]
	v_mul_u64_e32 v[6:7], s[24:25], v[20:21]
	v_mul_u64_e32 v[8:9], s[18:19], v[20:21]
	v_cmp_gt_i64_e64 s2, s[6:7], v[20:21]
	v_add_nc_u64_e32 v[20:21], 16, v[20:21]
	s_cselect_b32 s40, -1, 0
	s_lshl_b32 s44, s44, 6
	v_add_nc_u64_e32 v[14:15], 16, v[4:5]
	v_cmp_gt_i64_e64 s3, s[4:5], v[4:5]
	s_mov_b32 s45, s35
	s_lshl_b64 s[30:31], s[30:31], 1
	s_lshl_b64 s[12:13], s[12:13], 1
	s_add_nc_u64 s[30:31], s[30:31], s[44:45]
	v_add_nc_u32_e32 v25, 0x200, v11
	v_cmp_gt_i64_e64 s4, s[4:5], v[14:15]
	v_cmp_gt_i64_e64 s5, s[6:7], v[20:21]
	s_lshl_b64 s[6:7], s[42:43], 6
	v_add_nc_u32_e32 v27, 0x200, v19
	s_add_nc_u64 s[6:7], s[12:13], s[6:7]
	v_lshl_add_u64 v[12:13], v[12:13], 1, s[30:31]
	v_dual_mov_b32 v11, v3 :: v_dual_lshlrev_b32 v10, 1, v10
	v_lshl_add_u64 v[14:15], v[16:17], 1, s[6:7]
	v_mov_b32_e32 v19, v3
	s_lshl_b64 s[12:13], s[18:19], 4
	s_lshl_b64 s[18:19], s[28:29], 4
	v_add_nc_u64_e32 v[10:11], v[12:13], v[10:11]
	v_cmp_gt_i64_e64 s28, s[36:37], 0
	v_add_nc_u64_e32 v[12:13], v[14:15], v[18:19]
	v_lshl_or_b32 v24, v2, 6, v18
	s_lshl_b64 s[6:7], s[24:25], 4
	s_lshl_b64 s[10:11], s[10:11], 4
	;; [unrolled: 1-line block ×4, first 2 shown]
	s_branch .LBB82_4
.LBB82_2:                               ;   in Loop: Header=BB82_4 Depth=1
	s_wait_xcnt 0x0
	s_or_b32 exec_lo, exec_lo, s26
.LBB82_3:                               ;   in Loop: Header=BB82_4 Depth=1
	s_add_co_i32 s34, s34, 0x10000
	s_delay_alu instid0(SALU_CYCLE_1)
	s_cmp_lt_i32 s34, s33
	s_cbranch_scc0 .LBB82_35
.LBB82_4:                               ; =>This Loop Header: Depth=1
                                        ;     Child Loop BB82_7 Depth 2
	s_wait_xcnt 0x0
	v_mov_b32_e32 v18, s34
	s_and_not1_b32 vcc_lo, exec_lo, s28
	s_clause 0x1
	global_load_b64 v[14:15], v18, s[16:17] scale_offset
	global_load_b64 v[16:17], v18, s[22:23] scale_offset
	s_cbranch_vccnz .LBB82_11
; %bb.5:                                ;   in Loop: Header=BB82_4 Depth=1
	s_lshl_b64 s[26:27], s[34:35], 3
	v_dual_mov_b32 v29, 0 :: v_dual_mov_b32 v28, 0
	s_add_nc_u64 s[30:31], s[14:15], s[26:27]
	s_add_nc_u64 s[26:27], s[8:9], s[26:27]
	s_clause 0x1
	global_load_b64 v[18:19], v3, s[30:31]
	global_load_b64 v[20:21], v3, s[26:27]
	s_wait_xcnt 0x0
	s_mov_b64 s[26:27], 0
	s_wait_loadcnt 0x1
	v_add_nc_u64_e32 v[18:19], v[18:19], v[10:11]
	s_wait_loadcnt 0x0
	v_add_nc_u64_e32 v[20:21], v[20:21], v[12:13]
	s_branch .LBB82_7
.LBB82_6:                               ;   in Loop: Header=BB82_7 Depth=2
	s_wait_xcnt 0x0
	s_or_b32 exec_lo, exec_lo, s29
	s_wait_loadcnt_dscnt 0x0
	ds_store_b16 v25, v23
	s_wait_dscnt 0x0
	s_barrier_signal -1
	s_barrier_wait -1
	ds_load_u16 v22, v26
	ds_load_u16 v23, v26 offset:32
	ds_load_u16 v38, v26 offset:64
	;; [unrolled: 1-line block ×3, first 2 shown]
	ds_load_b128 v[30:33], v27
	ds_load_b128 v[34:37], v27 offset:256
	ds_load_u16 v40, v26 offset:128
	ds_load_u16 v41, v26 offset:160
	;; [unrolled: 1-line block ×6, first 2 shown]
	s_add_nc_u64 s[26:27], s[26:27], 8
	v_add_nc_u64_e32 v[18:19], s[18:19], v[18:19]
	v_cmp_lt_i64_e64 s29, s[26:27], s[36:37]
	v_add_nc_u64_e32 v[20:21], s[10:11], v[20:21]
	s_wait_dscnt 0xa
	v_perm_b32 v22, v23, v22, 0x5040100
	ds_load_u16 v23, v26 offset:320
	ds_load_u16 v46, v26 offset:352
	s_wait_dscnt 0xa
	v_perm_b32 v38, v39, v38, 0x5040100
	s_and_b32 vcc_lo, exec_lo, s29
	s_wait_dscnt 0x9
	v_pk_fma_f16 v29, v22, v30, v29 op_sel_hi:[1,0,1]
	s_wait_dscnt 0x8
	v_pk_fma_f16 v22, v22, v34, v28 op_sel_hi:[1,0,1]
	ds_load_u16 v28, v26 offset:384
	ds_load_u16 v39, v26 offset:416
	s_wait_dscnt 0x8
	v_perm_b32 v40, v41, v40, 0x5040100
	v_pk_fma_f16 v29, v38, v30, v29 op_sel:[0,1,0]
	v_pk_fma_f16 v22, v38, v34, v22 op_sel:[0,1,0]
	ds_load_u16 v30, v26 offset:448
	ds_load_u16 v34, v26 offset:480
	s_wait_dscnt 0x8
	v_perm_b32 v38, v43, v42, 0x5040100
	s_wait_dscnt 0x0
	v_pk_fma_f16 v29, v40, v31, v29 op_sel_hi:[1,0,1]
	v_pk_fma_f16 v22, v40, v35, v22 op_sel_hi:[1,0,1]
	v_perm_b32 v40, v45, v44, 0x5040100
	s_barrier_signal -1
	s_barrier_wait -1
	v_pk_fma_f16 v29, v38, v31, v29 op_sel:[0,1,0]
	v_pk_fma_f16 v22, v38, v35, v22 op_sel:[0,1,0]
	v_perm_b32 v23, v46, v23, 0x5040100
	s_delay_alu instid0(VALU_DEP_3) | instskip(NEXT) | instid1(VALU_DEP_3)
	v_pk_fma_f16 v29, v40, v32, v29 op_sel_hi:[1,0,1]
	v_pk_fma_f16 v22, v40, v36, v22 op_sel_hi:[1,0,1]
	v_perm_b32 v28, v39, v28, 0x5040100
	s_delay_alu instid0(VALU_DEP_3) | instskip(NEXT) | instid1(VALU_DEP_3)
	v_pk_fma_f16 v29, v23, v32, v29 op_sel:[0,1,0]
	v_pk_fma_f16 v22, v23, v36, v22 op_sel:[0,1,0]
	v_perm_b32 v23, v34, v30, 0x5040100
	s_delay_alu instid0(VALU_DEP_3) | instskip(NEXT) | instid1(VALU_DEP_3)
	v_pk_fma_f16 v29, v28, v33, v29 op_sel_hi:[1,0,1]
	v_pk_fma_f16 v22, v28, v37, v22 op_sel_hi:[1,0,1]
	s_delay_alu instid0(VALU_DEP_2) | instskip(NEXT) | instid1(VALU_DEP_2)
	v_pk_fma_f16 v29, v23, v33, v29 op_sel:[0,1,0]
	v_pk_fma_f16 v28, v23, v37, v22 op_sel:[0,1,0]
	s_cbranch_vccz .LBB82_12
.LBB82_7:                               ;   Parent Loop BB82_4 Depth=1
                                        ; =>  This Inner Loop Header: Depth=2
	v_add_nc_u64_e32 v[22:23], s[26:27], v[2:3]
	s_delay_alu instid0(VALU_DEP_1) | instskip(SKIP_2) | instid1(SALU_CYCLE_1)
	v_cmp_gt_i64_e32 vcc_lo, s[36:37], v[22:23]
	v_mov_b32_e32 v22, 0
	s_and_b32 s30, s0, vcc_lo
	s_and_saveexec_b32 s29, s30
	s_cbranch_execz .LBB82_9
; %bb.8:                                ;   in Loop: Header=BB82_7 Depth=2
	flat_load_u16 v22, v[20:21]
.LBB82_9:                               ;   in Loop: Header=BB82_7 Depth=2
	s_wait_xcnt 0x0
	s_or_b32 exec_lo, exec_lo, s29
	v_add_nc_u64_e32 v[30:31], s[26:27], v[0:1]
	v_mov_b32_e32 v23, 0
	s_wait_loadcnt_dscnt 0x0
	ds_store_b16 v24, v22
	v_cmp_gt_i64_e32 vcc_lo, s[36:37], v[30:31]
	s_and_b32 s30, vcc_lo, s1
	s_delay_alu instid0(SALU_CYCLE_1)
	s_and_saveexec_b32 s29, s30
	s_cbranch_execz .LBB82_6
; %bb.10:                               ;   in Loop: Header=BB82_7 Depth=2
	flat_load_u16 v23, v[18:19]
	s_branch .LBB82_6
.LBB82_11:                              ;   in Loop: Header=BB82_4 Depth=1
	v_dual_mov_b32 v28, 0 :: v_dual_mov_b32 v29, 0
.LBB82_12:                              ;   in Loop: Header=BB82_4 Depth=1
	s_wait_loadcnt 0x0
	v_add_nc_u64_e32 v[16:17], s[24:25], v[16:17]
	s_and_not1_b32 vcc_lo, exec_lo, s40
	s_cbranch_vccnz .LBB82_17
; %bb.13:                               ;   in Loop: Header=BB82_4 Depth=1
	s_wait_xcnt 0x0
	s_and_saveexec_b32 s26, s2
	s_cbranch_execz .LBB82_24
; %bb.14:                               ;   in Loop: Header=BB82_4 Depth=1
	s_delay_alu instid0(VALU_DEP_1) | instskip(NEXT) | instid1(VALU_DEP_1)
	v_lshl_add_u64 v[18:19], v[6:7], 1, v[16:17]
	v_lshl_add_u64 v[20:21], v[4:5], 1, v[18:19]
	s_and_saveexec_b32 s27, s3
	s_cbranch_execnz .LBB82_18
; %bb.15:                               ;   in Loop: Header=BB82_4 Depth=1
	s_or_b32 exec_lo, exec_lo, s27
	s_and_saveexec_b32 s27, s4
	s_cbranch_execnz .LBB82_19
.LBB82_16:                              ;   in Loop: Header=BB82_4 Depth=1
	s_or_b32 exec_lo, exec_lo, s27
	s_delay_alu instid0(SALU_CYCLE_1)
	s_and_b32 exec_lo, exec_lo, s5
	s_cbranch_execnz .LBB82_20
	s_branch .LBB82_24
.LBB82_17:                              ;   in Loop: Header=BB82_4 Depth=1
	s_branch .LBB82_25
.LBB82_18:                              ;   in Loop: Header=BB82_4 Depth=1
	v_mul_f16_e32 v22, s38, v29
	flat_store_b16 v[20:21], v22
	s_wait_xcnt 0x0
	s_or_b32 exec_lo, exec_lo, s27
	s_and_saveexec_b32 s27, s4
	s_cbranch_execz .LBB82_16
.LBB82_19:                              ;   in Loop: Header=BB82_4 Depth=1
	v_lshrrev_b32_e32 v22, 16, v29
	s_delay_alu instid0(VALU_DEP_1) | instskip(SKIP_3) | instid1(SALU_CYCLE_1)
	v_mul_f16_e32 v22, s38, v22
	flat_store_b16 v[20:21], v22 offset:32
	s_wait_xcnt 0x0
	s_or_b32 exec_lo, exec_lo, s27
	s_and_b32 exec_lo, exec_lo, s5
	s_cbranch_execz .LBB82_24
.LBB82_20:                              ;   in Loop: Header=BB82_4 Depth=1
	v_lshl_add_u64 v[18:19], s[6:7], 1, v[18:19]
	s_delay_alu instid0(VALU_DEP_1)
	v_lshl_add_u64 v[18:19], v[4:5], 1, v[18:19]
	s_and_saveexec_b32 s27, s3
	s_cbranch_execz .LBB82_22
; %bb.21:                               ;   in Loop: Header=BB82_4 Depth=1
	v_mul_f16_e32 v20, s38, v28
	flat_store_b16 v[18:19], v20
.LBB82_22:                              ;   in Loop: Header=BB82_4 Depth=1
	s_wait_xcnt 0x0
	s_or_b32 exec_lo, exec_lo, s27
	s_delay_alu instid0(SALU_CYCLE_1)
	s_and_b32 exec_lo, exec_lo, s4
	s_cbranch_execz .LBB82_24
; %bb.23:                               ;   in Loop: Header=BB82_4 Depth=1
	v_lshrrev_b32_e32 v20, 16, v28
	s_delay_alu instid0(VALU_DEP_1)
	v_mul_f16_e32 v20, s38, v20
	flat_store_b16 v[18:19], v20 offset:32
.LBB82_24:                              ;   in Loop: Header=BB82_4 Depth=1
	s_wait_xcnt 0x0
	s_or_b32 exec_lo, exec_lo, s26
	s_cbranch_execnz .LBB82_3
.LBB82_25:                              ;   in Loop: Header=BB82_4 Depth=1
	s_wait_xcnt 0x0
	s_and_saveexec_b32 s26, s2
	s_cbranch_execz .LBB82_2
; %bb.26:                               ;   in Loop: Header=BB82_4 Depth=1
	v_add_nc_u64_e32 v[18:19], s[20:21], v[14:15]
	v_lshlrev_b64_e32 v[14:15], 1, v[4:5]
	v_lshl_add_u64 v[16:17], v[6:7], 1, v[16:17]
	s_delay_alu instid0(VALU_DEP_3) | instskip(NEXT) | instid1(VALU_DEP_2)
	v_lshl_add_u64 v[18:19], v[8:9], 1, v[18:19]
	v_add_nc_u64_e32 v[20:21], v[16:17], v[14:15]
	s_delay_alu instid0(VALU_DEP_2)
	v_add_nc_u64_e32 v[22:23], v[18:19], v[14:15]
	s_and_saveexec_b32 s27, s3
	s_cbranch_execnz .LBB82_29
; %bb.27:                               ;   in Loop: Header=BB82_4 Depth=1
	s_or_b32 exec_lo, exec_lo, s27
	s_and_saveexec_b32 s27, s4
	s_cbranch_execnz .LBB82_30
.LBB82_28:                              ;   in Loop: Header=BB82_4 Depth=1
	s_or_b32 exec_lo, exec_lo, s27
	s_delay_alu instid0(SALU_CYCLE_1)
	s_and_b32 exec_lo, exec_lo, s5
	s_cbranch_execz .LBB82_2
	s_branch .LBB82_31
.LBB82_29:                              ;   in Loop: Header=BB82_4 Depth=1
	flat_load_u16 v30, v[22:23]
	s_wait_loadcnt_dscnt 0x0
	v_mul_f16_e32 v30, s39, v30
	s_delay_alu instid0(VALU_DEP_1)
	v_fmac_f16_e32 v30, s38, v29
	flat_store_b16 v[20:21], v30
	s_wait_xcnt 0x0
	s_or_b32 exec_lo, exec_lo, s27
	s_and_saveexec_b32 s27, s4
	s_cbranch_execz .LBB82_28
.LBB82_30:                              ;   in Loop: Header=BB82_4 Depth=1
	flat_load_u16 v22, v[22:23] offset:32
	s_wait_xcnt 0x0
	v_lshrrev_b32_e32 v23, 16, v29
	s_wait_loadcnt_dscnt 0x0
	v_mul_f16_e32 v22, s39, v22
	s_delay_alu instid0(VALU_DEP_1) | instskip(SKIP_3) | instid1(SALU_CYCLE_1)
	v_fmac_f16_e32 v22, s38, v23
	flat_store_b16 v[20:21], v22 offset:32
	s_wait_xcnt 0x0
	s_or_b32 exec_lo, exec_lo, s27
	s_and_b32 exec_lo, exec_lo, s5
	s_cbranch_execz .LBB82_2
.LBB82_31:                              ;   in Loop: Header=BB82_4 Depth=1
	v_lshl_add_u64 v[18:19], s[12:13], 1, v[18:19]
	v_lshl_add_u64 v[20:21], s[6:7], 1, v[16:17]
	s_delay_alu instid0(VALU_DEP_2) | instskip(NEXT) | instid1(VALU_DEP_2)
	v_add_nc_u64_e32 v[16:17], v[18:19], v[14:15]
	v_add_nc_u64_e32 v[14:15], v[20:21], v[14:15]
	s_and_saveexec_b32 s27, s3
	s_cbranch_execz .LBB82_33
; %bb.32:                               ;   in Loop: Header=BB82_4 Depth=1
	flat_load_u16 v18, v[16:17]
	s_wait_loadcnt_dscnt 0x0
	v_mul_f16_e32 v18, s39, v18
	s_delay_alu instid0(VALU_DEP_1)
	v_fmac_f16_e32 v18, s38, v28
	flat_store_b16 v[14:15], v18
.LBB82_33:                              ;   in Loop: Header=BB82_4 Depth=1
	s_wait_xcnt 0x0
	s_or_b32 exec_lo, exec_lo, s27
	s_delay_alu instid0(SALU_CYCLE_1)
	s_and_b32 exec_lo, exec_lo, s4
	s_cbranch_execz .LBB82_2
; %bb.34:                               ;   in Loop: Header=BB82_4 Depth=1
	flat_load_u16 v16, v[16:17] offset:32
	s_wait_xcnt 0x0
	v_lshrrev_b32_e32 v17, 16, v28
	s_wait_loadcnt_dscnt 0x0
	v_mul_f16_e32 v16, s39, v16
	s_delay_alu instid0(VALU_DEP_1)
	v_fmac_f16_e32 v16, s38, v17
	flat_store_b16 v[14:15], v16 offset:32
	s_branch .LBB82_2
.LBB82_35:
	s_endpgm
	.section	.rodata,"a",@progbits
	.p2align	6, 0x0
	.amdhsa_kernel _ZN12_GLOBAL__N_135rocblas_gemm_batched_general_kernelIDF16_Li16ELi16ELi32ELi32ELi8ELi32ELi8ELi8ELi32ELc78ELc67EKPKDF16_S3_KPDF16_EEvlllT_PT11_llS8_llS6_PT12_llPT13_lli
		.amdhsa_group_segment_fixed_size 1024
		.amdhsa_private_segment_fixed_size 0
		.amdhsa_kernarg_size 140
		.amdhsa_user_sgpr_count 2
		.amdhsa_user_sgpr_dispatch_ptr 0
		.amdhsa_user_sgpr_queue_ptr 0
		.amdhsa_user_sgpr_kernarg_segment_ptr 1
		.amdhsa_user_sgpr_dispatch_id 0
		.amdhsa_user_sgpr_kernarg_preload_length 0
		.amdhsa_user_sgpr_kernarg_preload_offset 0
		.amdhsa_user_sgpr_private_segment_size 0
		.amdhsa_wavefront_size32 1
		.amdhsa_uses_dynamic_stack 0
		.amdhsa_enable_private_segment 0
		.amdhsa_system_sgpr_workgroup_id_x 1
		.amdhsa_system_sgpr_workgroup_id_y 1
		.amdhsa_system_sgpr_workgroup_id_z 1
		.amdhsa_system_sgpr_workgroup_info 0
		.amdhsa_system_vgpr_workitem_id 1
		.amdhsa_next_free_vgpr 47
		.amdhsa_next_free_sgpr 46
		.amdhsa_named_barrier_count 0
		.amdhsa_reserve_vcc 1
		.amdhsa_float_round_mode_32 0
		.amdhsa_float_round_mode_16_64 0
		.amdhsa_float_denorm_mode_32 3
		.amdhsa_float_denorm_mode_16_64 3
		.amdhsa_fp16_overflow 0
		.amdhsa_memory_ordered 1
		.amdhsa_forward_progress 1
		.amdhsa_inst_pref_size 15
		.amdhsa_round_robin_scheduling 0
		.amdhsa_exception_fp_ieee_invalid_op 0
		.amdhsa_exception_fp_denorm_src 0
		.amdhsa_exception_fp_ieee_div_zero 0
		.amdhsa_exception_fp_ieee_overflow 0
		.amdhsa_exception_fp_ieee_underflow 0
		.amdhsa_exception_fp_ieee_inexact 0
		.amdhsa_exception_int_div_zero 0
	.end_amdhsa_kernel
	.section	.text._ZN12_GLOBAL__N_135rocblas_gemm_batched_general_kernelIDF16_Li16ELi16ELi32ELi32ELi8ELi32ELi8ELi8ELi32ELc78ELc67EKPKDF16_S3_KPDF16_EEvlllT_PT11_llS8_llS6_PT12_llPT13_lli,"axG",@progbits,_ZN12_GLOBAL__N_135rocblas_gemm_batched_general_kernelIDF16_Li16ELi16ELi32ELi32ELi8ELi32ELi8ELi8ELi32ELc78ELc67EKPKDF16_S3_KPDF16_EEvlllT_PT11_llS8_llS6_PT12_llPT13_lli,comdat
.Lfunc_end82:
	.size	_ZN12_GLOBAL__N_135rocblas_gemm_batched_general_kernelIDF16_Li16ELi16ELi32ELi32ELi8ELi32ELi8ELi8ELi32ELc78ELc67EKPKDF16_S3_KPDF16_EEvlllT_PT11_llS8_llS6_PT12_llPT13_lli, .Lfunc_end82-_ZN12_GLOBAL__N_135rocblas_gemm_batched_general_kernelIDF16_Li16ELi16ELi32ELi32ELi8ELi32ELi8ELi8ELi32ELc78ELc67EKPKDF16_S3_KPDF16_EEvlllT_PT11_llS8_llS6_PT12_llPT13_lli
                                        ; -- End function
	.set _ZN12_GLOBAL__N_135rocblas_gemm_batched_general_kernelIDF16_Li16ELi16ELi32ELi32ELi8ELi32ELi8ELi8ELi32ELc78ELc67EKPKDF16_S3_KPDF16_EEvlllT_PT11_llS8_llS6_PT12_llPT13_lli.num_vgpr, 47
	.set _ZN12_GLOBAL__N_135rocblas_gemm_batched_general_kernelIDF16_Li16ELi16ELi32ELi32ELi8ELi32ELi8ELi8ELi32ELc78ELc67EKPKDF16_S3_KPDF16_EEvlllT_PT11_llS8_llS6_PT12_llPT13_lli.num_agpr, 0
	.set _ZN12_GLOBAL__N_135rocblas_gemm_batched_general_kernelIDF16_Li16ELi16ELi32ELi32ELi8ELi32ELi8ELi8ELi32ELc78ELc67EKPKDF16_S3_KPDF16_EEvlllT_PT11_llS8_llS6_PT12_llPT13_lli.numbered_sgpr, 46
	.set _ZN12_GLOBAL__N_135rocblas_gemm_batched_general_kernelIDF16_Li16ELi16ELi32ELi32ELi8ELi32ELi8ELi8ELi32ELc78ELc67EKPKDF16_S3_KPDF16_EEvlllT_PT11_llS8_llS6_PT12_llPT13_lli.num_named_barrier, 0
	.set _ZN12_GLOBAL__N_135rocblas_gemm_batched_general_kernelIDF16_Li16ELi16ELi32ELi32ELi8ELi32ELi8ELi8ELi32ELc78ELc67EKPKDF16_S3_KPDF16_EEvlllT_PT11_llS8_llS6_PT12_llPT13_lli.private_seg_size, 0
	.set _ZN12_GLOBAL__N_135rocblas_gemm_batched_general_kernelIDF16_Li16ELi16ELi32ELi32ELi8ELi32ELi8ELi8ELi32ELc78ELc67EKPKDF16_S3_KPDF16_EEvlllT_PT11_llS8_llS6_PT12_llPT13_lli.uses_vcc, 1
	.set _ZN12_GLOBAL__N_135rocblas_gemm_batched_general_kernelIDF16_Li16ELi16ELi32ELi32ELi8ELi32ELi8ELi8ELi32ELc78ELc67EKPKDF16_S3_KPDF16_EEvlllT_PT11_llS8_llS6_PT12_llPT13_lli.uses_flat_scratch, 0
	.set _ZN12_GLOBAL__N_135rocblas_gemm_batched_general_kernelIDF16_Li16ELi16ELi32ELi32ELi8ELi32ELi8ELi8ELi32ELc78ELc67EKPKDF16_S3_KPDF16_EEvlllT_PT11_llS8_llS6_PT12_llPT13_lli.has_dyn_sized_stack, 0
	.set _ZN12_GLOBAL__N_135rocblas_gemm_batched_general_kernelIDF16_Li16ELi16ELi32ELi32ELi8ELi32ELi8ELi8ELi32ELc78ELc67EKPKDF16_S3_KPDF16_EEvlllT_PT11_llS8_llS6_PT12_llPT13_lli.has_recursion, 0
	.set _ZN12_GLOBAL__N_135rocblas_gemm_batched_general_kernelIDF16_Li16ELi16ELi32ELi32ELi8ELi32ELi8ELi8ELi32ELc78ELc67EKPKDF16_S3_KPDF16_EEvlllT_PT11_llS8_llS6_PT12_llPT13_lli.has_indirect_call, 0
	.section	.AMDGPU.csdata,"",@progbits
; Kernel info:
; codeLenInByte = 1916
; TotalNumSgprs: 48
; NumVgprs: 47
; ScratchSize: 0
; MemoryBound: 0
; FloatMode: 240
; IeeeMode: 1
; LDSByteSize: 1024 bytes/workgroup (compile time only)
; SGPRBlocks: 0
; VGPRBlocks: 2
; NumSGPRsForWavesPerEU: 48
; NumVGPRsForWavesPerEU: 47
; NamedBarCnt: 0
; Occupancy: 16
; WaveLimiterHint : 1
; COMPUTE_PGM_RSRC2:SCRATCH_EN: 0
; COMPUTE_PGM_RSRC2:USER_SGPR: 2
; COMPUTE_PGM_RSRC2:TRAP_HANDLER: 0
; COMPUTE_PGM_RSRC2:TGID_X_EN: 1
; COMPUTE_PGM_RSRC2:TGID_Y_EN: 1
; COMPUTE_PGM_RSRC2:TGID_Z_EN: 1
; COMPUTE_PGM_RSRC2:TIDIG_COMP_CNT: 1
	.section	.text._ZN12_GLOBAL__N_135rocblas_gemm_batched_general_kernelIDF16_Li16ELi16ELi32ELi32ELi8ELi32ELi8ELi8ELi32ELc84ELc67EKPKDF16_S3_KPDF16_EEvlllT_PT11_llS8_llS6_PT12_llPT13_lli,"axG",@progbits,_ZN12_GLOBAL__N_135rocblas_gemm_batched_general_kernelIDF16_Li16ELi16ELi32ELi32ELi8ELi32ELi8ELi8ELi32ELc84ELc67EKPKDF16_S3_KPDF16_EEvlllT_PT11_llS8_llS6_PT12_llPT13_lli,comdat
	.globl	_ZN12_GLOBAL__N_135rocblas_gemm_batched_general_kernelIDF16_Li16ELi16ELi32ELi32ELi8ELi32ELi8ELi8ELi32ELc84ELc67EKPKDF16_S3_KPDF16_EEvlllT_PT11_llS8_llS6_PT12_llPT13_lli ; -- Begin function _ZN12_GLOBAL__N_135rocblas_gemm_batched_general_kernelIDF16_Li16ELi16ELi32ELi32ELi8ELi32ELi8ELi8ELi32ELc84ELc67EKPKDF16_S3_KPDF16_EEvlllT_PT11_llS8_llS6_PT12_llPT13_lli
	.p2align	8
	.type	_ZN12_GLOBAL__N_135rocblas_gemm_batched_general_kernelIDF16_Li16ELi16ELi32ELi32ELi8ELi32ELi8ELi8ELi32ELc84ELc67EKPKDF16_S3_KPDF16_EEvlllT_PT11_llS8_llS6_PT12_llPT13_lli,@function
_ZN12_GLOBAL__N_135rocblas_gemm_batched_general_kernelIDF16_Li16ELi16ELi32ELi32ELi8ELi32ELi8ELi8ELi32ELc84ELc67EKPKDF16_S3_KPDF16_EEvlllT_PT11_llS8_llS6_PT12_llPT13_lli: ; @_ZN12_GLOBAL__N_135rocblas_gemm_batched_general_kernelIDF16_Li16ELi16ELi32ELi32ELi8ELi32ELi8ELi8ELi32ELc84ELc67EKPKDF16_S3_KPDF16_EEvlllT_PT11_llS8_llS6_PT12_llPT13_lli
; %bb.0:
	s_load_b32 s33, s[0:1], 0x88
	s_bfe_u32 s2, ttmp6, 0x40014
	s_lshr_b32 s3, ttmp7, 16
	s_add_co_i32 s2, s2, 1
	s_bfe_u32 s5, ttmp6, 0x40008
	s_mul_i32 s4, s3, s2
	s_getreg_b32 s2, hwreg(HW_REG_IB_STS2, 6, 4)
	s_add_co_i32 s5, s5, s4
	s_cmp_eq_u32 s2, 0
	s_mov_b32 s35, 0
	s_cselect_b32 s34, s3, s5
	s_wait_kmcnt 0x0
	s_cmp_ge_i32 s34, s33
	s_cbranch_scc1 .LBB83_35
; %bb.1:
	v_bfe_u32 v4, v0, 10, 10
	s_clause 0x2
	s_load_b128 s[4:7], s[0:1], 0x0
	s_load_b96 s[36:38], s[0:1], 0x10
	s_load_b256 s[8:15], s[0:1], 0x20
	v_and_b32_e32 v10, 0x3ff, v0
	s_clause 0x3
	s_load_b128 s[24:27], s[0:1], 0x40
	s_load_b32 s39, s[0:1], 0x50
	s_load_b128 s[28:31], s[0:1], 0x78
	s_load_b256 s[16:23], s[0:1], 0x58
	v_dual_mov_b32 v1, 0 :: v_dual_lshlrev_b32 v20, 4, v4
	s_wait_xcnt 0x0
	s_bfe_u32 s1, ttmp6, 0x4000c
	s_bfe_u32 s3, ttmp6, 0x40010
	s_add_co_i32 s1, s1, 1
	s_and_b32 s40, ttmp7, 0xffff
	s_add_co_i32 s3, s3, 1
	s_and_b32 s0, ttmp6, 15
	s_mul_i32 s1, ttmp9, s1
	s_mul_i32 s3, s40, s3
	s_bfe_u32 s41, ttmp6, 0x40004
	v_dual_mov_b32 v5, v1 :: v_dual_add_nc_u32 v8, v20, v10
	s_add_co_i32 s0, s0, s1
	s_add_co_i32 s41, s41, s3
	s_cmp_eq_u32 s2, 0
	s_delay_alu instid0(VALU_DEP_1)
	v_dual_mov_b32 v3, v1 :: v_dual_bitop2_b32 v11, 31, v8 bitop3:0x40
	s_cselect_b32 s0, ttmp9, s0
	s_cselect_b32 s41, s40, s41
	s_ashr_i32 s1, s0, 31
	v_dual_mov_b32 v15, v1 :: v_dual_lshrrev_b32 v14, 3, v8
	s_lshl_b64 s[2:3], s[0:1], 5
	s_delay_alu instid0(SALU_CYCLE_1) | instskip(SKIP_3) | instid1(VALU_DEP_2)
	v_dual_mov_b32 v7, s3 :: v_dual_bitop2_b32 v2, 7, v0 bitop3:0x40
	v_dual_lshrrev_b32 v0, 5, v8 :: v_dual_bitop2_b32 v6, s2, v11 bitop3:0x54
	s_lshl_b32 s0, s41, 5
	s_wait_kmcnt 0x0
	v_mul_u64_e32 v[12:13], s[24:25], v[2:3]
	s_mov_b32 s1, s35
	v_lshlrev_b32_e32 v21, 1, v2
	v_mul_u64_e32 v[16:17], s[10:11], v[6:7]
	v_add_nc_u64_e32 v[8:9], s[0:1], v[14:15]
	v_add_nc_u64_e32 v[18:19], s[0:1], v[4:5]
	v_dual_lshlrev_b32 v15, 1, v11 :: v_dual_mov_b32 v11, v1
	v_lshlrev_b32_e32 v26, 1, v10
	v_cmp_gt_i64_e64 s0, s[4:5], v[6:7]
	s_cmp_eq_f16 s39, 0
	v_cmp_gt_i64_e64 s1, s[6:7], v[8:9]
	v_mul_u64_e32 v[6:7], s[28:29], v[18:19]
	v_mul_u64_e32 v[8:9], s[18:19], v[18:19]
	v_add_nc_u64_e32 v[4:5], s[2:3], v[10:11]
	s_cselect_b32 s40, -1, 0
	s_lshl_b32 s10, s41, 6
	s_mov_b32 s11, s35
	s_lshl_b64 s[26:27], s[26:27], 1
	v_lshl_or_b32 v21, v14, 4, v21
	s_add_nc_u64 s[10:11], s[26:27], s[10:11]
	v_add_nc_u64_e32 v[10:11], 16, v[4:5]
	v_cmp_gt_i64_e64 s3, s[4:5], v[4:5]
	v_lshl_or_b32 v24, v0, 6, v15
	v_cmp_gt_i64_e64 s2, s[6:7], v[18:19]
	v_dual_mov_b32 v15, v1 :: v_dual_lshlrev_b32 v14, 1, v14
	v_cmp_gt_i64_e64 s26, s[36:37], 0
	v_cmp_gt_i64_e64 s4, s[4:5], v[10:11]
	v_add_nc_u64_e32 v[10:11], 16, v[18:19]
	v_dual_mov_b32 v19, v1 :: v_dual_lshlrev_b32 v18, 1, v0
	v_lshl_add_u64 v[12:13], v[12:13], 1, s[10:11]
	s_lshl_b64 s[10:11], s[12:13], 1
	v_add_nc_u32_e32 v25, 0x200, v21
	v_lshl_add_u64 v[16:17], v[16:17], 1, s[10:11]
	v_cmp_gt_i64_e64 s5, s[6:7], v[10:11]
	v_add_nc_u64_e32 v[10:11], v[12:13], v[14:15]
	v_add_nc_u32_e32 v27, 0x200, v20
	s_lshl_b64 s[6:7], s[28:29], 4
	v_add_nc_u64_e32 v[12:13], v[16:17], v[18:19]
	s_lshl_b64 s[10:11], s[18:19], 4
	s_lshl_b64 s[12:13], s[24:25], 4
	;; [unrolled: 1-line block ×4, first 2 shown]
	s_branch .LBB83_4
.LBB83_2:                               ;   in Loop: Header=BB83_4 Depth=1
	s_wait_xcnt 0x0
	s_or_b32 exec_lo, exec_lo, s24
.LBB83_3:                               ;   in Loop: Header=BB83_4 Depth=1
	s_add_co_i32 s34, s34, 0x10000
	s_delay_alu instid0(SALU_CYCLE_1)
	s_cmp_lt_i32 s34, s33
	s_cbranch_scc0 .LBB83_35
.LBB83_4:                               ; =>This Loop Header: Depth=1
                                        ;     Child Loop BB83_7 Depth 2
	s_wait_xcnt 0x0
	v_mov_b32_e32 v18, s34
	s_and_not1_b32 vcc_lo, exec_lo, s26
	s_clause 0x1
	global_load_b64 v[14:15], v18, s[16:17] scale_offset
	global_load_b64 v[16:17], v18, s[22:23] scale_offset
	s_cbranch_vccnz .LBB83_11
; %bb.5:                                ;   in Loop: Header=BB83_4 Depth=1
	s_lshl_b64 s[24:25], s[34:35], 3
	v_dual_mov_b32 v29, 0 :: v_dual_mov_b32 v28, 0
	s_add_nc_u64 s[28:29], s[14:15], s[24:25]
	s_add_nc_u64 s[24:25], s[8:9], s[24:25]
	s_clause 0x1
	global_load_b64 v[18:19], v1, s[28:29]
	global_load_b64 v[20:21], v1, s[24:25]
	s_wait_xcnt 0x0
	s_mov_b64 s[24:25], 0
	s_wait_loadcnt 0x1
	v_add_nc_u64_e32 v[18:19], v[18:19], v[10:11]
	s_wait_loadcnt 0x0
	v_add_nc_u64_e32 v[20:21], v[20:21], v[12:13]
	s_branch .LBB83_7
.LBB83_6:                               ;   in Loop: Header=BB83_7 Depth=2
	s_wait_xcnt 0x0
	s_or_b32 exec_lo, exec_lo, s27
	s_wait_loadcnt_dscnt 0x0
	ds_store_b16 v25, v23
	s_wait_dscnt 0x0
	s_barrier_signal -1
	s_barrier_wait -1
	ds_load_u16 v22, v26
	ds_load_u16 v23, v26 offset:32
	ds_load_u16 v38, v26 offset:64
	;; [unrolled: 1-line block ×3, first 2 shown]
	ds_load_b128 v[30:33], v27
	ds_load_b128 v[34:37], v27 offset:256
	ds_load_u16 v40, v26 offset:128
	ds_load_u16 v41, v26 offset:160
	;; [unrolled: 1-line block ×6, first 2 shown]
	s_add_nc_u64 s[24:25], s[24:25], 8
	v_add_nc_u64_e32 v[18:19], s[12:13], v[18:19]
	v_cmp_lt_i64_e64 s27, s[24:25], s[36:37]
	v_add_nc_u64_e32 v[20:21], 16, v[20:21]
	s_wait_dscnt 0xa
	v_perm_b32 v22, v23, v22, 0x5040100
	ds_load_u16 v23, v26 offset:320
	ds_load_u16 v46, v26 offset:352
	s_wait_dscnt 0xa
	v_perm_b32 v38, v39, v38, 0x5040100
	s_and_b32 vcc_lo, exec_lo, s27
	s_wait_dscnt 0x9
	v_pk_fma_f16 v29, v22, v30, v29 op_sel_hi:[1,0,1]
	s_wait_dscnt 0x8
	v_pk_fma_f16 v22, v22, v34, v28 op_sel_hi:[1,0,1]
	ds_load_u16 v28, v26 offset:384
	ds_load_u16 v39, v26 offset:416
	s_wait_dscnt 0x8
	v_perm_b32 v40, v41, v40, 0x5040100
	v_pk_fma_f16 v29, v38, v30, v29 op_sel:[0,1,0]
	v_pk_fma_f16 v22, v38, v34, v22 op_sel:[0,1,0]
	ds_load_u16 v30, v26 offset:448
	ds_load_u16 v34, v26 offset:480
	s_wait_dscnt 0x8
	v_perm_b32 v38, v43, v42, 0x5040100
	s_wait_dscnt 0x0
	v_pk_fma_f16 v29, v40, v31, v29 op_sel_hi:[1,0,1]
	v_pk_fma_f16 v22, v40, v35, v22 op_sel_hi:[1,0,1]
	v_perm_b32 v40, v45, v44, 0x5040100
	s_barrier_signal -1
	s_barrier_wait -1
	v_pk_fma_f16 v29, v38, v31, v29 op_sel:[0,1,0]
	v_pk_fma_f16 v22, v38, v35, v22 op_sel:[0,1,0]
	v_perm_b32 v23, v46, v23, 0x5040100
	s_delay_alu instid0(VALU_DEP_3) | instskip(NEXT) | instid1(VALU_DEP_3)
	v_pk_fma_f16 v29, v40, v32, v29 op_sel_hi:[1,0,1]
	v_pk_fma_f16 v22, v40, v36, v22 op_sel_hi:[1,0,1]
	v_perm_b32 v28, v39, v28, 0x5040100
	s_delay_alu instid0(VALU_DEP_3) | instskip(NEXT) | instid1(VALU_DEP_3)
	v_pk_fma_f16 v29, v23, v32, v29 op_sel:[0,1,0]
	v_pk_fma_f16 v22, v23, v36, v22 op_sel:[0,1,0]
	v_perm_b32 v23, v34, v30, 0x5040100
	s_delay_alu instid0(VALU_DEP_3) | instskip(NEXT) | instid1(VALU_DEP_3)
	v_pk_fma_f16 v29, v28, v33, v29 op_sel_hi:[1,0,1]
	v_pk_fma_f16 v22, v28, v37, v22 op_sel_hi:[1,0,1]
	s_delay_alu instid0(VALU_DEP_2) | instskip(NEXT) | instid1(VALU_DEP_2)
	v_pk_fma_f16 v29, v23, v33, v29 op_sel:[0,1,0]
	v_pk_fma_f16 v28, v23, v37, v22 op_sel:[0,1,0]
	s_cbranch_vccz .LBB83_12
.LBB83_7:                               ;   Parent Loop BB83_4 Depth=1
                                        ; =>  This Inner Loop Header: Depth=2
	v_add_nc_u64_e32 v[22:23], s[24:25], v[0:1]
	s_delay_alu instid0(VALU_DEP_1) | instskip(SKIP_2) | instid1(SALU_CYCLE_1)
	v_cmp_gt_i64_e32 vcc_lo, s[36:37], v[22:23]
	v_mov_b32_e32 v22, 0
	s_and_b32 s28, s0, vcc_lo
	s_and_saveexec_b32 s27, s28
	s_cbranch_execz .LBB83_9
; %bb.8:                                ;   in Loop: Header=BB83_7 Depth=2
	flat_load_u16 v22, v[20:21]
.LBB83_9:                               ;   in Loop: Header=BB83_7 Depth=2
	s_wait_xcnt 0x0
	s_or_b32 exec_lo, exec_lo, s27
	v_add_nc_u64_e32 v[30:31], s[24:25], v[2:3]
	v_mov_b32_e32 v23, 0
	s_wait_loadcnt_dscnt 0x0
	ds_store_b16 v24, v22
	v_cmp_gt_i64_e32 vcc_lo, s[36:37], v[30:31]
	s_and_b32 s28, vcc_lo, s1
	s_delay_alu instid0(SALU_CYCLE_1)
	s_and_saveexec_b32 s27, s28
	s_cbranch_execz .LBB83_6
; %bb.10:                               ;   in Loop: Header=BB83_7 Depth=2
	flat_load_u16 v23, v[18:19]
	s_branch .LBB83_6
.LBB83_11:                              ;   in Loop: Header=BB83_4 Depth=1
	v_dual_mov_b32 v28, 0 :: v_dual_mov_b32 v29, 0
.LBB83_12:                              ;   in Loop: Header=BB83_4 Depth=1
	s_wait_loadcnt 0x0
	v_add_nc_u64_e32 v[16:17], s[18:19], v[16:17]
	s_and_not1_b32 vcc_lo, exec_lo, s40
	s_cbranch_vccnz .LBB83_17
; %bb.13:                               ;   in Loop: Header=BB83_4 Depth=1
	s_wait_xcnt 0x0
	s_and_saveexec_b32 s24, s2
	s_cbranch_execz .LBB83_24
; %bb.14:                               ;   in Loop: Header=BB83_4 Depth=1
	s_delay_alu instid0(VALU_DEP_1) | instskip(NEXT) | instid1(VALU_DEP_1)
	v_lshl_add_u64 v[18:19], v[6:7], 1, v[16:17]
	v_lshl_add_u64 v[20:21], v[4:5], 1, v[18:19]
	s_and_saveexec_b32 s25, s3
	s_cbranch_execnz .LBB83_18
; %bb.15:                               ;   in Loop: Header=BB83_4 Depth=1
	s_or_b32 exec_lo, exec_lo, s25
	s_and_saveexec_b32 s25, s4
	s_cbranch_execnz .LBB83_19
.LBB83_16:                              ;   in Loop: Header=BB83_4 Depth=1
	s_or_b32 exec_lo, exec_lo, s25
	s_delay_alu instid0(SALU_CYCLE_1)
	s_and_b32 exec_lo, exec_lo, s5
	s_cbranch_execnz .LBB83_20
	s_branch .LBB83_24
.LBB83_17:                              ;   in Loop: Header=BB83_4 Depth=1
	s_branch .LBB83_25
.LBB83_18:                              ;   in Loop: Header=BB83_4 Depth=1
	v_mul_f16_e32 v22, s38, v29
	flat_store_b16 v[20:21], v22
	s_wait_xcnt 0x0
	s_or_b32 exec_lo, exec_lo, s25
	s_and_saveexec_b32 s25, s4
	s_cbranch_execz .LBB83_16
.LBB83_19:                              ;   in Loop: Header=BB83_4 Depth=1
	v_lshrrev_b32_e32 v22, 16, v29
	s_delay_alu instid0(VALU_DEP_1) | instskip(SKIP_3) | instid1(SALU_CYCLE_1)
	v_mul_f16_e32 v22, s38, v22
	flat_store_b16 v[20:21], v22 offset:32
	s_wait_xcnt 0x0
	s_or_b32 exec_lo, exec_lo, s25
	s_and_b32 exec_lo, exec_lo, s5
	s_cbranch_execz .LBB83_24
.LBB83_20:                              ;   in Loop: Header=BB83_4 Depth=1
	v_lshl_add_u64 v[18:19], s[6:7], 1, v[18:19]
	s_delay_alu instid0(VALU_DEP_1)
	v_lshl_add_u64 v[18:19], v[4:5], 1, v[18:19]
	s_and_saveexec_b32 s25, s3
	s_cbranch_execz .LBB83_22
; %bb.21:                               ;   in Loop: Header=BB83_4 Depth=1
	v_mul_f16_e32 v20, s38, v28
	flat_store_b16 v[18:19], v20
.LBB83_22:                              ;   in Loop: Header=BB83_4 Depth=1
	s_wait_xcnt 0x0
	s_or_b32 exec_lo, exec_lo, s25
	s_delay_alu instid0(SALU_CYCLE_1)
	s_and_b32 exec_lo, exec_lo, s4
	s_cbranch_execz .LBB83_24
; %bb.23:                               ;   in Loop: Header=BB83_4 Depth=1
	v_lshrrev_b32_e32 v20, 16, v28
	s_delay_alu instid0(VALU_DEP_1)
	v_mul_f16_e32 v20, s38, v20
	flat_store_b16 v[18:19], v20 offset:32
.LBB83_24:                              ;   in Loop: Header=BB83_4 Depth=1
	s_wait_xcnt 0x0
	s_or_b32 exec_lo, exec_lo, s24
	s_cbranch_execnz .LBB83_3
.LBB83_25:                              ;   in Loop: Header=BB83_4 Depth=1
	s_wait_xcnt 0x0
	s_and_saveexec_b32 s24, s2
	s_cbranch_execz .LBB83_2
; %bb.26:                               ;   in Loop: Header=BB83_4 Depth=1
	v_add_nc_u64_e32 v[18:19], s[20:21], v[14:15]
	v_lshlrev_b64_e32 v[14:15], 1, v[4:5]
	v_lshl_add_u64 v[16:17], v[6:7], 1, v[16:17]
	s_delay_alu instid0(VALU_DEP_3) | instskip(NEXT) | instid1(VALU_DEP_2)
	v_lshl_add_u64 v[18:19], v[8:9], 1, v[18:19]
	v_add_nc_u64_e32 v[20:21], v[16:17], v[14:15]
	s_delay_alu instid0(VALU_DEP_2)
	v_add_nc_u64_e32 v[22:23], v[18:19], v[14:15]
	s_and_saveexec_b32 s25, s3
	s_cbranch_execnz .LBB83_29
; %bb.27:                               ;   in Loop: Header=BB83_4 Depth=1
	s_or_b32 exec_lo, exec_lo, s25
	s_and_saveexec_b32 s25, s4
	s_cbranch_execnz .LBB83_30
.LBB83_28:                              ;   in Loop: Header=BB83_4 Depth=1
	s_or_b32 exec_lo, exec_lo, s25
	s_delay_alu instid0(SALU_CYCLE_1)
	s_and_b32 exec_lo, exec_lo, s5
	s_cbranch_execz .LBB83_2
	s_branch .LBB83_31
.LBB83_29:                              ;   in Loop: Header=BB83_4 Depth=1
	flat_load_u16 v30, v[22:23]
	s_wait_loadcnt_dscnt 0x0
	v_mul_f16_e32 v30, s39, v30
	s_delay_alu instid0(VALU_DEP_1)
	v_fmac_f16_e32 v30, s38, v29
	flat_store_b16 v[20:21], v30
	s_wait_xcnt 0x0
	s_or_b32 exec_lo, exec_lo, s25
	s_and_saveexec_b32 s25, s4
	s_cbranch_execz .LBB83_28
.LBB83_30:                              ;   in Loop: Header=BB83_4 Depth=1
	flat_load_u16 v22, v[22:23] offset:32
	s_wait_xcnt 0x0
	v_lshrrev_b32_e32 v23, 16, v29
	s_wait_loadcnt_dscnt 0x0
	v_mul_f16_e32 v22, s39, v22
	s_delay_alu instid0(VALU_DEP_1) | instskip(SKIP_3) | instid1(SALU_CYCLE_1)
	v_fmac_f16_e32 v22, s38, v23
	flat_store_b16 v[20:21], v22 offset:32
	s_wait_xcnt 0x0
	s_or_b32 exec_lo, exec_lo, s25
	s_and_b32 exec_lo, exec_lo, s5
	s_cbranch_execz .LBB83_2
.LBB83_31:                              ;   in Loop: Header=BB83_4 Depth=1
	v_lshl_add_u64 v[18:19], s[10:11], 1, v[18:19]
	v_lshl_add_u64 v[20:21], s[6:7], 1, v[16:17]
	s_delay_alu instid0(VALU_DEP_2) | instskip(NEXT) | instid1(VALU_DEP_2)
	v_add_nc_u64_e32 v[16:17], v[18:19], v[14:15]
	v_add_nc_u64_e32 v[14:15], v[20:21], v[14:15]
	s_and_saveexec_b32 s25, s3
	s_cbranch_execz .LBB83_33
; %bb.32:                               ;   in Loop: Header=BB83_4 Depth=1
	flat_load_u16 v18, v[16:17]
	s_wait_loadcnt_dscnt 0x0
	v_mul_f16_e32 v18, s39, v18
	s_delay_alu instid0(VALU_DEP_1)
	v_fmac_f16_e32 v18, s38, v28
	flat_store_b16 v[14:15], v18
.LBB83_33:                              ;   in Loop: Header=BB83_4 Depth=1
	s_wait_xcnt 0x0
	s_or_b32 exec_lo, exec_lo, s25
	s_delay_alu instid0(SALU_CYCLE_1)
	s_and_b32 exec_lo, exec_lo, s4
	s_cbranch_execz .LBB83_2
; %bb.34:                               ;   in Loop: Header=BB83_4 Depth=1
	flat_load_u16 v16, v[16:17] offset:32
	s_wait_xcnt 0x0
	v_lshrrev_b32_e32 v17, 16, v28
	s_wait_loadcnt_dscnt 0x0
	v_mul_f16_e32 v16, s39, v16
	s_delay_alu instid0(VALU_DEP_1)
	v_fmac_f16_e32 v16, s38, v17
	flat_store_b16 v[14:15], v16 offset:32
	s_branch .LBB83_2
.LBB83_35:
	s_endpgm
	.section	.rodata,"a",@progbits
	.p2align	6, 0x0
	.amdhsa_kernel _ZN12_GLOBAL__N_135rocblas_gemm_batched_general_kernelIDF16_Li16ELi16ELi32ELi32ELi8ELi32ELi8ELi8ELi32ELc84ELc67EKPKDF16_S3_KPDF16_EEvlllT_PT11_llS8_llS6_PT12_llPT13_lli
		.amdhsa_group_segment_fixed_size 1024
		.amdhsa_private_segment_fixed_size 0
		.amdhsa_kernarg_size 140
		.amdhsa_user_sgpr_count 2
		.amdhsa_user_sgpr_dispatch_ptr 0
		.amdhsa_user_sgpr_queue_ptr 0
		.amdhsa_user_sgpr_kernarg_segment_ptr 1
		.amdhsa_user_sgpr_dispatch_id 0
		.amdhsa_user_sgpr_kernarg_preload_length 0
		.amdhsa_user_sgpr_kernarg_preload_offset 0
		.amdhsa_user_sgpr_private_segment_size 0
		.amdhsa_wavefront_size32 1
		.amdhsa_uses_dynamic_stack 0
		.amdhsa_enable_private_segment 0
		.amdhsa_system_sgpr_workgroup_id_x 1
		.amdhsa_system_sgpr_workgroup_id_y 1
		.amdhsa_system_sgpr_workgroup_id_z 1
		.amdhsa_system_sgpr_workgroup_info 0
		.amdhsa_system_vgpr_workitem_id 1
		.amdhsa_next_free_vgpr 47
		.amdhsa_next_free_sgpr 42
		.amdhsa_named_barrier_count 0
		.amdhsa_reserve_vcc 1
		.amdhsa_float_round_mode_32 0
		.amdhsa_float_round_mode_16_64 0
		.amdhsa_float_denorm_mode_32 3
		.amdhsa_float_denorm_mode_16_64 3
		.amdhsa_fp16_overflow 0
		.amdhsa_memory_ordered 1
		.amdhsa_forward_progress 1
		.amdhsa_inst_pref_size 15
		.amdhsa_round_robin_scheduling 0
		.amdhsa_exception_fp_ieee_invalid_op 0
		.amdhsa_exception_fp_denorm_src 0
		.amdhsa_exception_fp_ieee_div_zero 0
		.amdhsa_exception_fp_ieee_overflow 0
		.amdhsa_exception_fp_ieee_underflow 0
		.amdhsa_exception_fp_ieee_inexact 0
		.amdhsa_exception_int_div_zero 0
	.end_amdhsa_kernel
	.section	.text._ZN12_GLOBAL__N_135rocblas_gemm_batched_general_kernelIDF16_Li16ELi16ELi32ELi32ELi8ELi32ELi8ELi8ELi32ELc84ELc67EKPKDF16_S3_KPDF16_EEvlllT_PT11_llS8_llS6_PT12_llPT13_lli,"axG",@progbits,_ZN12_GLOBAL__N_135rocblas_gemm_batched_general_kernelIDF16_Li16ELi16ELi32ELi32ELi8ELi32ELi8ELi8ELi32ELc84ELc67EKPKDF16_S3_KPDF16_EEvlllT_PT11_llS8_llS6_PT12_llPT13_lli,comdat
.Lfunc_end83:
	.size	_ZN12_GLOBAL__N_135rocblas_gemm_batched_general_kernelIDF16_Li16ELi16ELi32ELi32ELi8ELi32ELi8ELi8ELi32ELc84ELc67EKPKDF16_S3_KPDF16_EEvlllT_PT11_llS8_llS6_PT12_llPT13_lli, .Lfunc_end83-_ZN12_GLOBAL__N_135rocblas_gemm_batched_general_kernelIDF16_Li16ELi16ELi32ELi32ELi8ELi32ELi8ELi8ELi32ELc84ELc67EKPKDF16_S3_KPDF16_EEvlllT_PT11_llS8_llS6_PT12_llPT13_lli
                                        ; -- End function
	.set _ZN12_GLOBAL__N_135rocblas_gemm_batched_general_kernelIDF16_Li16ELi16ELi32ELi32ELi8ELi32ELi8ELi8ELi32ELc84ELc67EKPKDF16_S3_KPDF16_EEvlllT_PT11_llS8_llS6_PT12_llPT13_lli.num_vgpr, 47
	.set _ZN12_GLOBAL__N_135rocblas_gemm_batched_general_kernelIDF16_Li16ELi16ELi32ELi32ELi8ELi32ELi8ELi8ELi32ELc84ELc67EKPKDF16_S3_KPDF16_EEvlllT_PT11_llS8_llS6_PT12_llPT13_lli.num_agpr, 0
	.set _ZN12_GLOBAL__N_135rocblas_gemm_batched_general_kernelIDF16_Li16ELi16ELi32ELi32ELi8ELi32ELi8ELi8ELi32ELc84ELc67EKPKDF16_S3_KPDF16_EEvlllT_PT11_llS8_llS6_PT12_llPT13_lli.numbered_sgpr, 42
	.set _ZN12_GLOBAL__N_135rocblas_gemm_batched_general_kernelIDF16_Li16ELi16ELi32ELi32ELi8ELi32ELi8ELi8ELi32ELc84ELc67EKPKDF16_S3_KPDF16_EEvlllT_PT11_llS8_llS6_PT12_llPT13_lli.num_named_barrier, 0
	.set _ZN12_GLOBAL__N_135rocblas_gemm_batched_general_kernelIDF16_Li16ELi16ELi32ELi32ELi8ELi32ELi8ELi8ELi32ELc84ELc67EKPKDF16_S3_KPDF16_EEvlllT_PT11_llS8_llS6_PT12_llPT13_lli.private_seg_size, 0
	.set _ZN12_GLOBAL__N_135rocblas_gemm_batched_general_kernelIDF16_Li16ELi16ELi32ELi32ELi8ELi32ELi8ELi8ELi32ELc84ELc67EKPKDF16_S3_KPDF16_EEvlllT_PT11_llS8_llS6_PT12_llPT13_lli.uses_vcc, 1
	.set _ZN12_GLOBAL__N_135rocblas_gemm_batched_general_kernelIDF16_Li16ELi16ELi32ELi32ELi8ELi32ELi8ELi8ELi32ELc84ELc67EKPKDF16_S3_KPDF16_EEvlllT_PT11_llS8_llS6_PT12_llPT13_lli.uses_flat_scratch, 0
	.set _ZN12_GLOBAL__N_135rocblas_gemm_batched_general_kernelIDF16_Li16ELi16ELi32ELi32ELi8ELi32ELi8ELi8ELi32ELc84ELc67EKPKDF16_S3_KPDF16_EEvlllT_PT11_llS8_llS6_PT12_llPT13_lli.has_dyn_sized_stack, 0
	.set _ZN12_GLOBAL__N_135rocblas_gemm_batched_general_kernelIDF16_Li16ELi16ELi32ELi32ELi8ELi32ELi8ELi8ELi32ELc84ELc67EKPKDF16_S3_KPDF16_EEvlllT_PT11_llS8_llS6_PT12_llPT13_lli.has_recursion, 0
	.set _ZN12_GLOBAL__N_135rocblas_gemm_batched_general_kernelIDF16_Li16ELi16ELi32ELi32ELi8ELi32ELi8ELi8ELi32ELc84ELc67EKPKDF16_S3_KPDF16_EEvlllT_PT11_llS8_llS6_PT12_llPT13_lli.has_indirect_call, 0
	.section	.AMDGPU.csdata,"",@progbits
; Kernel info:
; codeLenInByte = 1916
; TotalNumSgprs: 44
; NumVgprs: 47
; ScratchSize: 0
; MemoryBound: 0
; FloatMode: 240
; IeeeMode: 1
; LDSByteSize: 1024 bytes/workgroup (compile time only)
; SGPRBlocks: 0
; VGPRBlocks: 2
; NumSGPRsForWavesPerEU: 44
; NumVGPRsForWavesPerEU: 47
; NamedBarCnt: 0
; Occupancy: 16
; WaveLimiterHint : 1
; COMPUTE_PGM_RSRC2:SCRATCH_EN: 0
; COMPUTE_PGM_RSRC2:USER_SGPR: 2
; COMPUTE_PGM_RSRC2:TRAP_HANDLER: 0
; COMPUTE_PGM_RSRC2:TGID_X_EN: 1
; COMPUTE_PGM_RSRC2:TGID_Y_EN: 1
; COMPUTE_PGM_RSRC2:TGID_Z_EN: 1
; COMPUTE_PGM_RSRC2:TIDIG_COMP_CNT: 1
	.section	.text._ZN12_GLOBAL__N_120gemm_ex_scale_kernelILi32ELi32EfPKPKDF16_PKPDF16_EEviiT1_T2_lllT3_llli,"axG",@progbits,_ZN12_GLOBAL__N_120gemm_ex_scale_kernelILi32ELi32EfPKPKDF16_PKPDF16_EEviiT1_T2_lllT3_llli,comdat
	.globl	_ZN12_GLOBAL__N_120gemm_ex_scale_kernelILi32ELi32EfPKPKDF16_PKPDF16_EEviiT1_T2_lllT3_llli ; -- Begin function _ZN12_GLOBAL__N_120gemm_ex_scale_kernelILi32ELi32EfPKPKDF16_PKPDF16_EEviiT1_T2_lllT3_llli
	.p2align	8
	.type	_ZN12_GLOBAL__N_120gemm_ex_scale_kernelILi32ELi32EfPKPKDF16_PKPDF16_EEviiT1_T2_lllT3_llli,@function
_ZN12_GLOBAL__N_120gemm_ex_scale_kernelILi32ELi32EfPKPKDF16_PKPDF16_EEviiT1_T2_lllT3_llli: ; @_ZN12_GLOBAL__N_120gemm_ex_scale_kernelILi32ELi32EfPKPKDF16_PKPDF16_EEviiT1_T2_lllT3_llli
; %bb.0:
	s_load_b32 s15, s[0:1], 0x50
	s_bfe_u32 s2, ttmp6, 0x40014
	s_lshr_b32 s3, ttmp7, 16
	s_add_co_i32 s2, s2, 1
	s_bfe_u32 s4, ttmp6, 0x40008
	s_mul_i32 s2, s3, s2
	s_getreg_b32 s8, hwreg(HW_REG_IB_STS2, 6, 4)
	s_add_co_i32 s4, s4, s2
	s_cmp_eq_u32 s8, 0
	s_cselect_b32 s2, s3, s4
	s_mov_b32 s3, 0
	s_wait_kmcnt 0x0
	s_cmp_ge_u32 s2, s15
	s_cbranch_scc1 .LBB84_10
; %bb.1:
	s_clause 0x3
	s_load_b96 s[12:14], s[0:1], 0x0
	s_load_b128 s[4:7], s[0:1], 0x10
	s_load_b64 s[18:19], s[0:1], 0x20
	s_load_b64 s[20:21], s[0:1], 0x40
	v_bfe_u32 v1, v0, 10, 10
	v_mov_b32_e32 v7, 0
	v_and_b32_e32 v0, 0x3ff, v0
	s_wait_kmcnt 0x0
	s_cmp_neq_f32 s14, 0
	s_cselect_b32 s16, -1, 0
	s_bfe_u32 s10, ttmp6, 0x40010
	s_bfe_u32 s22, ttmp6, 0x4000c
	s_and_b32 s9, ttmp7, 0xffff
	s_add_co_i32 s10, s10, 1
	s_add_co_i32 s22, s22, 1
	s_bfe_u32 s11, ttmp6, 0x40004
	s_and_b32 s17, ttmp6, 15
	s_mul_i32 s10, s9, s10
	s_mul_i32 s22, ttmp9, s22
	s_add_co_i32 s11, s11, s10
	s_add_co_i32 s17, s17, s22
	s_cmp_eq_u32 s8, 0
	s_cselect_b32 s8, s9, s11
	s_delay_alu instid0(SALU_CYCLE_1)
	v_lshl_add_u32 v6, s8, 5, v1
	s_load_b128 s[8:11], s[0:1], 0x30
	s_wait_xcnt 0x0
	s_cselect_b32 s0, ttmp9, s17
	v_mov_b32_e32 v1, v7
	v_lshl_add_u32 v0, s0, 5, v0
	v_mul_u64_e32 v[2:3], s[18:19], v[6:7]
	v_mul_u64_e32 v[4:5], s[20:21], v[6:7]
	v_cmp_gt_u32_e64 s0, s13, v6
	s_delay_alu instid0(VALU_DEP_4)
	v_cmp_gt_u32_e32 vcc_lo, s12, v0
	s_and_b32 s12, vcc_lo, s0
	s_lshl_b64 s[0:1], s[6:7], 1
	s_wait_kmcnt 0x0
	s_lshl_b64 s[6:7], s[10:11], 1
	s_branch .LBB84_5
.LBB84_2:                               ;   in Loop: Header=BB84_5 Depth=1
	v_lshl_add_u64 v[6:7], v[2:3], 1, s[10:11]
	s_delay_alu instid0(VALU_DEP_1)
	v_lshl_add_u64 v[6:7], v[0:1], 1, v[6:7]
	flat_load_u16 v6, v[6:7]
	s_wait_loadcnt_dscnt 0x0
	s_wait_xcnt 0x0
	v_fma_mixlo_f16 v6, s14, v6, 0 op_sel_hi:[0,1,0]
.LBB84_3:                               ;   in Loop: Header=BB84_5 Depth=1
	s_lshl_b64 s[10:11], s[2:3], 3
	s_delay_alu instid0(SALU_CYCLE_1) | instskip(SKIP_4) | instid1(SALU_CYCLE_1)
	s_add_nc_u64 s[10:11], s[8:9], s[10:11]
	s_load_b64 s[10:11], s[10:11], 0x0
	s_wait_kmcnt 0x0
	s_wait_xcnt 0x0
	s_add_nc_u64 s[10:11], s[10:11], s[6:7]
	v_lshl_add_u64 v[8:9], v[4:5], 1, s[10:11]
	s_delay_alu instid0(VALU_DEP_1)
	v_lshl_add_u64 v[8:9], v[0:1], 1, v[8:9]
	flat_store_b16 v[8:9], v6
.LBB84_4:                               ;   in Loop: Header=BB84_5 Depth=1
	s_wait_xcnt 0x0
	s_or_b32 exec_lo, exec_lo, s13
	s_add_co_i32 s2, s2, 0x10000
	s_delay_alu instid0(SALU_CYCLE_1)
	s_cmp_lt_u32 s2, s15
	s_cbranch_scc0 .LBB84_10
.LBB84_5:                               ; =>This Inner Loop Header: Depth=1
	s_and_not1_b32 vcc_lo, exec_lo, s16
	s_cbranch_vccnz .LBB84_7
; %bb.6:                                ;   in Loop: Header=BB84_5 Depth=1
	s_lshl_b64 s[10:11], s[2:3], 3
	s_delay_alu instid0(SALU_CYCLE_1)
	s_add_nc_u64 s[10:11], s[4:5], s[10:11]
	s_load_b64 s[10:11], s[10:11], 0x0
	s_wait_kmcnt 0x0
	s_wait_xcnt 0x0
	s_add_nc_u64 s[10:11], s[10:11], s[0:1]
	s_and_saveexec_b32 s13, s12
	s_cbranch_execz .LBB84_4
	s_branch .LBB84_8
.LBB84_7:                               ;   in Loop: Header=BB84_5 Depth=1
	s_mov_b64 s[10:11], 0
	s_and_saveexec_b32 s13, s12
	s_cbranch_execz .LBB84_4
.LBB84_8:                               ;   in Loop: Header=BB84_5 Depth=1
	s_and_not1_b32 vcc_lo, exec_lo, s16
	s_cbranch_vccz .LBB84_2
; %bb.9:                                ;   in Loop: Header=BB84_5 Depth=1
	v_mov_b32_e32 v6, 0
	s_branch .LBB84_3
.LBB84_10:
	s_endpgm
	.section	.rodata,"a",@progbits
	.p2align	6, 0x0
	.amdhsa_kernel _ZN12_GLOBAL__N_120gemm_ex_scale_kernelILi32ELi32EfPKPKDF16_PKPDF16_EEviiT1_T2_lllT3_llli
		.amdhsa_group_segment_fixed_size 0
		.amdhsa_private_segment_fixed_size 0
		.amdhsa_kernarg_size 84
		.amdhsa_user_sgpr_count 2
		.amdhsa_user_sgpr_dispatch_ptr 0
		.amdhsa_user_sgpr_queue_ptr 0
		.amdhsa_user_sgpr_kernarg_segment_ptr 1
		.amdhsa_user_sgpr_dispatch_id 0
		.amdhsa_user_sgpr_kernarg_preload_length 0
		.amdhsa_user_sgpr_kernarg_preload_offset 0
		.amdhsa_user_sgpr_private_segment_size 0
		.amdhsa_wavefront_size32 1
		.amdhsa_uses_dynamic_stack 0
		.amdhsa_enable_private_segment 0
		.amdhsa_system_sgpr_workgroup_id_x 1
		.amdhsa_system_sgpr_workgroup_id_y 1
		.amdhsa_system_sgpr_workgroup_id_z 1
		.amdhsa_system_sgpr_workgroup_info 0
		.amdhsa_system_vgpr_workitem_id 1
		.amdhsa_next_free_vgpr 10
		.amdhsa_next_free_sgpr 23
		.amdhsa_named_barrier_count 0
		.amdhsa_reserve_vcc 1
		.amdhsa_float_round_mode_32 0
		.amdhsa_float_round_mode_16_64 0
		.amdhsa_float_denorm_mode_32 3
		.amdhsa_float_denorm_mode_16_64 3
		.amdhsa_fp16_overflow 0
		.amdhsa_memory_ordered 1
		.amdhsa_forward_progress 1
		.amdhsa_inst_pref_size 4
		.amdhsa_round_robin_scheduling 0
		.amdhsa_exception_fp_ieee_invalid_op 0
		.amdhsa_exception_fp_denorm_src 0
		.amdhsa_exception_fp_ieee_div_zero 0
		.amdhsa_exception_fp_ieee_overflow 0
		.amdhsa_exception_fp_ieee_underflow 0
		.amdhsa_exception_fp_ieee_inexact 0
		.amdhsa_exception_int_div_zero 0
	.end_amdhsa_kernel
	.section	.text._ZN12_GLOBAL__N_120gemm_ex_scale_kernelILi32ELi32EfPKPKDF16_PKPDF16_EEviiT1_T2_lllT3_llli,"axG",@progbits,_ZN12_GLOBAL__N_120gemm_ex_scale_kernelILi32ELi32EfPKPKDF16_PKPDF16_EEviiT1_T2_lllT3_llli,comdat
.Lfunc_end84:
	.size	_ZN12_GLOBAL__N_120gemm_ex_scale_kernelILi32ELi32EfPKPKDF16_PKPDF16_EEviiT1_T2_lllT3_llli, .Lfunc_end84-_ZN12_GLOBAL__N_120gemm_ex_scale_kernelILi32ELi32EfPKPKDF16_PKPDF16_EEviiT1_T2_lllT3_llli
                                        ; -- End function
	.set _ZN12_GLOBAL__N_120gemm_ex_scale_kernelILi32ELi32EfPKPKDF16_PKPDF16_EEviiT1_T2_lllT3_llli.num_vgpr, 10
	.set _ZN12_GLOBAL__N_120gemm_ex_scale_kernelILi32ELi32EfPKPKDF16_PKPDF16_EEviiT1_T2_lllT3_llli.num_agpr, 0
	.set _ZN12_GLOBAL__N_120gemm_ex_scale_kernelILi32ELi32EfPKPKDF16_PKPDF16_EEviiT1_T2_lllT3_llli.numbered_sgpr, 23
	.set _ZN12_GLOBAL__N_120gemm_ex_scale_kernelILi32ELi32EfPKPKDF16_PKPDF16_EEviiT1_T2_lllT3_llli.num_named_barrier, 0
	.set _ZN12_GLOBAL__N_120gemm_ex_scale_kernelILi32ELi32EfPKPKDF16_PKPDF16_EEviiT1_T2_lllT3_llli.private_seg_size, 0
	.set _ZN12_GLOBAL__N_120gemm_ex_scale_kernelILi32ELi32EfPKPKDF16_PKPDF16_EEviiT1_T2_lllT3_llli.uses_vcc, 1
	.set _ZN12_GLOBAL__N_120gemm_ex_scale_kernelILi32ELi32EfPKPKDF16_PKPDF16_EEviiT1_T2_lllT3_llli.uses_flat_scratch, 0
	.set _ZN12_GLOBAL__N_120gemm_ex_scale_kernelILi32ELi32EfPKPKDF16_PKPDF16_EEviiT1_T2_lllT3_llli.has_dyn_sized_stack, 0
	.set _ZN12_GLOBAL__N_120gemm_ex_scale_kernelILi32ELi32EfPKPKDF16_PKPDF16_EEviiT1_T2_lllT3_llli.has_recursion, 0
	.set _ZN12_GLOBAL__N_120gemm_ex_scale_kernelILi32ELi32EfPKPKDF16_PKPDF16_EEviiT1_T2_lllT3_llli.has_indirect_call, 0
	.section	.AMDGPU.csdata,"",@progbits
; Kernel info:
; codeLenInByte = 512
; TotalNumSgprs: 25
; NumVgprs: 10
; ScratchSize: 0
; MemoryBound: 0
; FloatMode: 240
; IeeeMode: 1
; LDSByteSize: 0 bytes/workgroup (compile time only)
; SGPRBlocks: 0
; VGPRBlocks: 0
; NumSGPRsForWavesPerEU: 25
; NumVGPRsForWavesPerEU: 10
; NamedBarCnt: 0
; Occupancy: 16
; WaveLimiterHint : 1
; COMPUTE_PGM_RSRC2:SCRATCH_EN: 0
; COMPUTE_PGM_RSRC2:USER_SGPR: 2
; COMPUTE_PGM_RSRC2:TRAP_HANDLER: 0
; COMPUTE_PGM_RSRC2:TGID_X_EN: 1
; COMPUTE_PGM_RSRC2:TGID_Y_EN: 1
; COMPUTE_PGM_RSRC2:TGID_Z_EN: 1
; COMPUTE_PGM_RSRC2:TIDIG_COMP_CNT: 1
	.section	.text._ZN12_GLOBAL__N_127rocblas_gemm_batched_kernelIfLi16ELi16ELi64ELi64ELi4ELi64ELi4ELi4ELi64ELc78ELc78EKPKDF16_S3_KPDF16_EEvlllT_PT11_llS8_llS6_PT12_llPT13_lli,"axG",@progbits,_ZN12_GLOBAL__N_127rocblas_gemm_batched_kernelIfLi16ELi16ELi64ELi64ELi4ELi64ELi4ELi4ELi64ELc78ELc78EKPKDF16_S3_KPDF16_EEvlllT_PT11_llS8_llS6_PT12_llPT13_lli,comdat
	.globl	_ZN12_GLOBAL__N_127rocblas_gemm_batched_kernelIfLi16ELi16ELi64ELi64ELi4ELi64ELi4ELi4ELi64ELc78ELc78EKPKDF16_S3_KPDF16_EEvlllT_PT11_llS8_llS6_PT12_llPT13_lli ; -- Begin function _ZN12_GLOBAL__N_127rocblas_gemm_batched_kernelIfLi16ELi16ELi64ELi64ELi4ELi64ELi4ELi4ELi64ELc78ELc78EKPKDF16_S3_KPDF16_EEvlllT_PT11_llS8_llS6_PT12_llPT13_lli
	.p2align	8
	.type	_ZN12_GLOBAL__N_127rocblas_gemm_batched_kernelIfLi16ELi16ELi64ELi64ELi4ELi64ELi4ELi4ELi64ELc78ELc78EKPKDF16_S3_KPDF16_EEvlllT_PT11_llS8_llS6_PT12_llPT13_lli,@function
_ZN12_GLOBAL__N_127rocblas_gemm_batched_kernelIfLi16ELi16ELi64ELi64ELi4ELi64ELi4ELi4ELi64ELc78ELc78EKPKDF16_S3_KPDF16_EEvlllT_PT11_llS8_llS6_PT12_llPT13_lli: ; @_ZN12_GLOBAL__N_127rocblas_gemm_batched_kernelIfLi16ELi16ELi64ELi64ELi4ELi64ELi4ELi4ELi64ELc78ELc78EKPKDF16_S3_KPDF16_EEvlllT_PT11_llS8_llS6_PT12_llPT13_lli
; %bb.0:
	s_load_b32 s31, s[0:1], 0x88
	s_bfe_u32 s2, ttmp6, 0x40014
	s_lshr_b32 s3, ttmp7, 16
	s_add_co_i32 s2, s2, 1
	s_bfe_u32 s4, ttmp6, 0x40008
	s_mul_i32 s2, s3, s2
	s_getreg_b32 s12, hwreg(HW_REG_IB_STS2, 6, 4)
	s_add_co_i32 s4, s4, s2
	s_cmp_eq_u32 s12, 0
	s_cselect_b32 s2, s3, s4
	s_mov_b32 s3, 0
	s_wait_kmcnt 0x0
	s_cmp_ge_i32 s2, s31
	s_cbranch_scc1 .LBB85_10
; %bb.1:
	v_bfe_u32 v2, v0, 10, 10
	v_mov_b32_e32 v3, 0
	v_and_b32_e32 v6, 0x3ff, v0
	s_clause 0x1
	s_load_b256 s[4:11], s[0:1], 0x20
	s_load_b128 s[20:23], s[0:1], 0x40
	s_bfe_u32 s14, ttmp6, 0x4000c
	v_lshlrev_b32_e32 v16, 4, v2
	s_bfe_u32 s16, ttmp6, 0x40010
	s_and_b32 s15, ttmp7, 0xffff
	s_add_co_i32 s14, s14, 1
	s_add_co_i32 s16, s16, 1
	v_dual_mov_b32 v9, v3 :: v_dual_add_nc_u32 v14, v16, v6
	s_and_b32 s13, ttmp6, 15
	s_mul_i32 s14, ttmp9, s14
	s_mul_i32 s16, s15, s16
	s_bfe_u32 s17, ttmp6, 0x40004
	s_add_co_i32 s13, s13, s14
	s_add_co_i32 s17, s17, s16
	s_cmp_eq_u32 s12, 0
	v_dual_lshrrev_b32 v8, 2, v14 :: v_dual_lshrrev_b32 v18, 6, v14
	s_cselect_b32 s12, s15, s17
	s_cselect_b32 s28, ttmp9, s13
	s_lshl_b32 s34, s12, 6
	s_mov_b32 s35, s3
	s_clause 0x1
	s_load_b128 s[24:27], s[0:1], 0x78
	s_load_b256 s[12:19], s[0:1], 0x58
	v_add_nc_u64_e32 v[4:5], s[34:35], v[8:9]
	s_ashr_i32 s29, s28, 31
	s_load_b32 s33, s[0:1], 0x50
	s_lshl_b64 s[36:37], s[28:29], 6
	s_load_b96 s[28:30], s[0:1], 0x10
	s_wait_kmcnt 0x0
	v_mad_nc_u64_u32 v[12:13], s6, v18, s[36:37]
	v_mov_b32_e32 v7, v3
	v_mul_u64_e32 v[10:11], s[20:21], v[4:5]
	v_add_nc_u64_e32 v[4:5], s[34:35], v[2:3]
	v_dual_mov_b32 v15, v3 :: v_dual_bitop2_b32 v2, 3, v0 bitop3:0x40
	v_and_b32_e32 v14, 63, v14
	v_lshlrev_b32_e32 v36, 2, v6
	v_add_nc_u32_e32 v37, 0x400, v16
	s_delay_alu instid0(VALU_DEP_4)
	v_lshlrev_b32_e32 v9, 2, v2
	v_add_nc_u64_e32 v[16:17], s[36:37], v[6:7]
	v_mad_u32 v13, s7, v18, v13
	v_lshlrev_b32_e32 v2, 1, v2
	v_mul_u64_e32 v[0:1], s[24:25], v[4:5]
	v_mul_u64_e32 v[4:5], s[14:15], v[4:5]
	v_lshlrev_b32_e32 v19, 2, v14
	s_cmp_eq_f32 s33, 0
	v_cmp_gt_i64_e64 s0, s[28:29], 0
	s_delay_alu instid0(VALU_DEP_2)
	v_lshl_or_b32 v38, v18, 8, v19
	s_cselect_b32 s1, -1, 0
	v_add_nc_u64_e32 v[6:7], v[12:13], v[14:15]
	s_lshl_b64 s[22:23], s[22:23], 1
	v_lshl_or_b32 v12, v8, 4, v9
	s_lshl_b64 s[20:21], s[24:25], 4
	v_cndmask_b32_e64 v13, 0, 1, s0
	s_lshl_b64 s[24:25], s[14:15], 4
	s_lshl_b64 s[6:7], s[6:7], 3
	v_lshlrev_b64_e32 v[6:7], 1, v[6:7]
	v_add_nc_u32_e32 v39, 0x400, v12
	v_cmp_ne_u32_e64 s0, 1, v13
	s_lshl_b64 s[14:15], s[20:21], 1
	s_lshl_b64 s[16:17], s[16:17], 1
	v_lshl_add_u64 v[8:9], v[10:11], 1, s[22:23]
	v_lshlrev_b64_e32 v[10:11], 1, v[16:17]
	v_lshl_add_u64 v[6:7], s[8:9], 1, v[6:7]
	s_lshl_b64 s[8:9], s[26:27], 1
	s_lshl_b64 s[20:21], s[24:25], 1
	v_add_nc_u64_e32 v[8:9], v[8:9], v[2:3]
	s_branch .LBB85_3
.LBB85_2:                               ;   in Loop: Header=BB85_3 Depth=1
	s_add_co_i32 s2, s2, 0x10000
	s_delay_alu instid0(SALU_CYCLE_1)
	s_cmp_lt_i32 s2, s31
	s_cbranch_scc0 .LBB85_10
.LBB85_3:                               ; =>This Loop Header: Depth=1
                                        ;     Child Loop BB85_5 Depth 2
	s_wait_xcnt 0x0
	v_dual_mov_b32 v2, s2 :: v_dual_mov_b32 v29, 0
	v_dual_mov_b32 v28, 0 :: v_dual_mov_b32 v27, 0
	;; [unrolled: 1-line block ×3, first 2 shown]
	s_clause 0x1
	global_load_b64 v[20:21], v2, s[12:13] scale_offset
	global_load_b64 v[30:31], v2, s[18:19] scale_offset
	v_dual_mov_b32 v24, 0 :: v_dual_mov_b32 v23, 0
	v_dual_mov_b32 v22, 0 :: v_dual_mov_b32 v19, 0
	;; [unrolled: 1-line block ×5, first 2 shown]
	v_mov_b32_e32 v12, 0
	s_and_b32 vcc_lo, exec_lo, s0
	s_cbranch_vccnz .LBB85_6
; %bb.4:                                ;   in Loop: Header=BB85_3 Depth=1
	s_lshl_b64 s[22:23], s[2:3], 3
	v_mov_b32_e32 v12, 0
	s_add_nc_u64 s[24:25], s[10:11], s[22:23]
	s_add_nc_u64 s[22:23], s[4:5], s[22:23]
	s_clause 0x1
	global_load_b64 v[28:29], v3, s[24:25]
	global_load_b64 v[34:35], v3, s[22:23]
	s_wait_xcnt 0x0
	s_mov_b64 s[22:23], 0
	v_dual_mov_b32 v13, v12 :: v_dual_mov_b32 v14, v12
	v_dual_mov_b32 v15, v12 :: v_dual_mov_b32 v16, v12
	;; [unrolled: 1-line block ×6, first 2 shown]
	v_mov_b32_e32 v27, v12
	s_wait_loadcnt 0x1
	v_add_nc_u64_e32 v[32:33], v[28:29], v[8:9]
	s_wait_loadcnt 0x0
	v_add_nc_u64_e32 v[34:35], v[34:35], v[6:7]
	v_dual_mov_b32 v28, v12 :: v_dual_mov_b32 v29, v12
.LBB85_5:                               ;   Parent Loop BB85_3 Depth=1
                                        ; =>  This Inner Loop Header: Depth=2
	flat_load_u16 v2, v[34:35]
	flat_load_u16 v40, v[32:33]
	s_add_nc_u64 s[22:23], s[22:23], 4
	s_wait_xcnt 0x0
	v_add_nc_u64_e32 v[32:33], 8, v[32:33]
	v_cmp_lt_i64_e64 s24, s[22:23], s[28:29]
	v_add_nc_u64_e32 v[34:35], s[6:7], v[34:35]
	s_and_b32 vcc_lo, exec_lo, s24
	s_wait_loadcnt_dscnt 0x101
	v_cvt_f32_f16_e32 v2, v2
	s_wait_loadcnt_dscnt 0x0
	v_cvt_f32_f16_e32 v40, v40
	ds_store_b32 v38, v2
	ds_store_b32 v39, v40
	s_wait_dscnt 0x0
	s_barrier_signal -1
	s_barrier_wait -1
	ds_load_2addr_b32 v[56:57], v36 offset1:16
	ds_load_2addr_b32 v[58:59], v36 offset0:64 offset1:80
	ds_load_2addr_b32 v[60:61], v36 offset0:128 offset1:144
	ds_load_2addr_b32 v[62:63], v36 offset0:192 offset1:208
	ds_load_2addr_b32 v[64:65], v36 offset0:32 offset1:48
	ds_load_2addr_b32 v[66:67], v36 offset0:96 offset1:112
	ds_load_2addr_b32 v[68:69], v36 offset0:160 offset1:176
	ds_load_b128 v[40:43], v37
	ds_load_b128 v[44:47], v37 offset:256
	ds_load_2addr_b32 v[70:71], v36 offset0:224 offset1:240
	ds_load_b128 v[48:51], v37 offset:512
	ds_load_b128 v[52:55], v37 offset:768
	s_wait_dscnt 0x0
	s_barrier_signal -1
	s_barrier_wait -1
	v_dual_mov_b32 v72, v57 :: v_dual_mov_b32 v73, v56
	v_dual_mov_b32 v56, v59 :: v_dual_mov_b32 v57, v58
	;; [unrolled: 1-line block ×6, first 2 shown]
	v_pk_fma_f32 v[28:29], v[72:73], v[40:41], v[28:29] op_sel_hi:[1,0,1]
	v_pk_fma_f32 v[24:25], v[72:73], v[44:45], v[24:25] op_sel_hi:[1,0,1]
	s_delay_alu instid0(VALU_DEP_4)
	v_pk_fma_f32 v[26:27], v[62:63], v[40:41], v[26:27] op_sel_hi:[1,0,1]
	v_pk_fma_f32 v[18:19], v[72:73], v[48:49], v[18:19] op_sel_hi:[1,0,1]
	;; [unrolled: 1-line block ×6, first 2 shown]
	v_dual_mov_b32 v66, v69 :: v_dual_mov_b32 v67, v68
	v_pk_fma_f32 v[28:29], v[56:57], v[40:41], v[28:29] op_sel:[0,1,0]
	v_pk_fma_f32 v[26:27], v[64:65], v[40:41], v[26:27] op_sel:[0,1,0]
	;; [unrolled: 1-line block ×8, first 2 shown]
	v_dual_mov_b32 v2, v43 :: v_dual_mov_b32 v68, v71
	v_dual_mov_b32 v69, v70 :: v_dual_mov_b32 v70, v47
	;; [unrolled: 1-line block ×3, first 2 shown]
	v_pk_fma_f32 v[28:29], v[58:59], v[42:43], v[28:29] op_sel_hi:[1,0,1]
	v_pk_fma_f32 v[26:27], v[66:67], v[42:43], v[26:27] op_sel_hi:[1,0,1]
	;; [unrolled: 1-line block ×16, first 2 shown]
	s_cbranch_vccnz .LBB85_5
.LBB85_6:                               ;   in Loop: Header=BB85_3 Depth=1
	s_wait_loadcnt 0x0
	v_add_nc_u64_e32 v[30:31], s[8:9], v[30:31]
	s_and_not1_b32 vcc_lo, exec_lo, s1
	s_delay_alu instid0(VALU_DEP_1) | instskip(NEXT) | instid1(VALU_DEP_1)
	v_lshl_add_u64 v[30:31], v[0:1], 1, v[30:31]
	v_add_nc_u64_e32 v[32:33], v[30:31], v[10:11]
	v_add_nc_u64_e32 v[30:31], s[14:15], v[30:31]
	s_cbranch_vccnz .LBB85_8
; %bb.7:                                ;   in Loop: Header=BB85_3 Depth=1
	s_wait_xcnt 0x0
	v_fma_mixlo_f16 v2, s30, v29, 0
	v_fma_mixlo_f16 v40, s30, v28, 0
	s_delay_alu instid0(VALU_DEP_3)
	v_add_nc_u64_e32 v[34:35], s[14:15], v[30:31]
	v_fma_mixlo_f16 v41, s30, v27, 0
	v_fma_mixlo_f16 v42, s30, v26, 0
	s_clause 0x3
	flat_store_b16 v[32:33], v2
	flat_store_b16 v[32:33], v40 offset:32
	flat_store_b16 v[32:33], v41 offset:64
	flat_store_b16 v[32:33], v42 offset:96
	s_wait_xcnt 0x1
	v_add_nc_u64_e32 v[40:41], v[30:31], v[10:11]
	v_fma_mixlo_f16 v2, s30, v25, 0
	v_fma_mixlo_f16 v44, s30, v24, 0
	s_wait_xcnt 0x0
	v_add_nc_u64_e32 v[42:43], v[34:35], v[10:11]
	v_add_nc_u64_e32 v[34:35], s[14:15], v[34:35]
	v_fma_mixlo_f16 v45, s30, v23, 0
	v_fma_mixlo_f16 v46, s30, v22, 0
	s_clause 0x3
	flat_store_b16 v[40:41], v2
	flat_store_b16 v[40:41], v44 offset:32
	flat_store_b16 v[40:41], v45 offset:64
	;; [unrolled: 1-line block ×3, first 2 shown]
	s_wait_xcnt 0x3
	v_fma_mixlo_f16 v2, s30, v19, 0
	s_wait_xcnt 0x0
	v_fma_mixlo_f16 v40, s30, v18, 0
	v_fma_mixlo_f16 v41, s30, v17, 0
	;; [unrolled: 1-line block ×3, first 2 shown]
	v_add_nc_u64_e32 v[34:35], v[34:35], v[10:11]
	s_clause 0x3
	flat_store_b16 v[42:43], v2
	flat_store_b16 v[42:43], v40 offset:32
	flat_store_b16 v[42:43], v41 offset:64
	;; [unrolled: 1-line block ×3, first 2 shown]
	s_wait_xcnt 0x3
	v_fma_mixlo_f16 v2, s30, v15, 0
	s_wait_xcnt 0x2
	v_fma_mixlo_f16 v40, s30, v14, 0
	;; [unrolled: 2-line block ×4, first 2 shown]
	s_clause 0x3
	flat_store_b16 v[34:35], v2
	flat_store_b16 v[34:35], v40 offset:32
	flat_store_b16 v[34:35], v41 offset:64
	;; [unrolled: 1-line block ×3, first 2 shown]
	s_cbranch_execnz .LBB85_2
	s_branch .LBB85_9
.LBB85_8:                               ;   in Loop: Header=BB85_3 Depth=1
.LBB85_9:                               ;   in Loop: Header=BB85_3 Depth=1
	v_add_nc_u64_e32 v[20:21], s[16:17], v[20:21]
	s_delay_alu instid0(VALU_DEP_1) | instskip(SKIP_1) | instid1(VALU_DEP_1)
	v_lshl_add_u64 v[20:21], v[4:5], 1, v[20:21]
	s_wait_xcnt 0x0
	v_add_nc_u64_e32 v[34:35], v[20:21], v[10:11]
	v_add_nc_u64_e32 v[20:21], s[20:21], v[20:21]
	flat_load_u16 v2, v[34:35]
	s_wait_loadcnt_dscnt 0x0
	v_cvt_f32_f16_e32 v2, v2
	s_delay_alu instid0(VALU_DEP_1) | instskip(NEXT) | instid1(VALU_DEP_1)
	v_mul_f32_e32 v2, s33, v2
	v_fma_mixlo_f16 v2, s30, v29, v2
	flat_store_b16 v[32:33], v2
	flat_load_u16 v2, v[34:35] offset:32
	s_wait_loadcnt_dscnt 0x0
	v_cvt_f32_f16_e32 v2, v2
	s_delay_alu instid0(VALU_DEP_1) | instskip(NEXT) | instid1(VALU_DEP_1)
	v_mul_f32_e32 v2, s33, v2
	v_fma_mixlo_f16 v2, s30, v28, v2
	v_add_nc_u64_e32 v[28:29], v[20:21], v[10:11]
	v_add_nc_u64_e32 v[20:21], s[20:21], v[20:21]
	flat_store_b16 v[32:33], v2 offset:32
	flat_load_u16 v2, v[34:35] offset:64
	s_wait_loadcnt_dscnt 0x0
	v_cvt_f32_f16_e32 v2, v2
	s_delay_alu instid0(VALU_DEP_1) | instskip(NEXT) | instid1(VALU_DEP_1)
	v_mul_f32_e32 v2, s33, v2
	v_fma_mixlo_f16 v2, s30, v27, v2
	flat_store_b16 v[32:33], v2 offset:64
	flat_load_u16 v2, v[34:35] offset:96
	s_wait_loadcnt_dscnt 0x0
	v_cvt_f32_f16_e32 v2, v2
	s_delay_alu instid0(VALU_DEP_1) | instskip(NEXT) | instid1(VALU_DEP_1)
	v_mul_f32_e32 v2, s33, v2
	v_fma_mixlo_f16 v2, s30, v26, v2
	v_add_nc_u64_e32 v[26:27], v[30:31], v[10:11]
	flat_store_b16 v[32:33], v2 offset:96
	flat_load_u16 v2, v[28:29]
	s_wait_loadcnt_dscnt 0x0
	v_cvt_f32_f16_e32 v2, v2
	s_delay_alu instid0(VALU_DEP_1) | instskip(NEXT) | instid1(VALU_DEP_1)
	v_mul_f32_e32 v2, s33, v2
	v_fma_mixlo_f16 v2, s30, v25, v2
	flat_store_b16 v[26:27], v2
	flat_load_u16 v2, v[28:29] offset:32
	s_wait_loadcnt_dscnt 0x0
	v_cvt_f32_f16_e32 v2, v2
	s_delay_alu instid0(VALU_DEP_1) | instskip(NEXT) | instid1(VALU_DEP_1)
	v_mul_f32_e32 v2, s33, v2
	v_fma_mixlo_f16 v2, s30, v24, v2
	v_add_nc_u64_e32 v[24:25], v[20:21], v[10:11]
	flat_store_b16 v[26:27], v2 offset:32
	flat_load_u16 v2, v[28:29] offset:64
	s_wait_loadcnt_dscnt 0x0
	v_cvt_f32_f16_e32 v2, v2
	s_delay_alu instid0(VALU_DEP_1) | instskip(NEXT) | instid1(VALU_DEP_1)
	v_mul_f32_e32 v2, s33, v2
	v_fma_mixlo_f16 v2, s30, v23, v2
	flat_store_b16 v[26:27], v2 offset:64
	flat_load_u16 v2, v[28:29] offset:96
	s_wait_loadcnt_dscnt 0x0
	v_cvt_f32_f16_e32 v2, v2
	s_delay_alu instid0(VALU_DEP_1) | instskip(NEXT) | instid1(VALU_DEP_1)
	v_mul_f32_e32 v2, s33, v2
	v_fma_mixlo_f16 v2, s30, v22, v2
	v_add_nc_u64_e32 v[22:23], s[14:15], v[30:31]
	flat_store_b16 v[26:27], v2 offset:96
	flat_load_u16 v2, v[24:25]
	v_add_nc_u64_e32 v[26:27], v[22:23], v[10:11]
	s_wait_loadcnt_dscnt 0x0
	v_cvt_f32_f16_e32 v2, v2
	s_delay_alu instid0(VALU_DEP_1) | instskip(NEXT) | instid1(VALU_DEP_1)
	v_mul_f32_e32 v2, s33, v2
	v_fma_mixlo_f16 v2, s30, v19, v2
	flat_store_b16 v[26:27], v2
	flat_load_u16 v2, v[24:25] offset:32
	s_wait_loadcnt_dscnt 0x0
	v_cvt_f32_f16_e32 v2, v2
	s_delay_alu instid0(VALU_DEP_1) | instskip(NEXT) | instid1(VALU_DEP_1)
	v_mul_f32_e32 v2, s33, v2
	v_fma_mixlo_f16 v2, s30, v18, v2
	v_add_nc_u64_e32 v[18:19], s[20:21], v[20:21]
	flat_store_b16 v[26:27], v2 offset:32
	flat_load_u16 v2, v[24:25] offset:64
	v_add_nc_u64_e32 v[18:19], v[18:19], v[10:11]
	s_wait_loadcnt_dscnt 0x0
	v_cvt_f32_f16_e32 v2, v2
	s_delay_alu instid0(VALU_DEP_1) | instskip(NEXT) | instid1(VALU_DEP_1)
	v_mul_f32_e32 v2, s33, v2
	v_fma_mixlo_f16 v2, s30, v17, v2
	flat_store_b16 v[26:27], v2 offset:64
	flat_load_u16 v2, v[24:25] offset:96
	s_wait_loadcnt_dscnt 0x0
	v_cvt_f32_f16_e32 v2, v2
	s_delay_alu instid0(VALU_DEP_1) | instskip(NEXT) | instid1(VALU_DEP_1)
	v_mul_f32_e32 v2, s33, v2
	v_fma_mixlo_f16 v2, s30, v16, v2
	v_add_nc_u64_e32 v[16:17], s[14:15], v[22:23]
	flat_store_b16 v[26:27], v2 offset:96
	flat_load_u16 v2, v[18:19]
	v_add_nc_u64_e32 v[16:17], v[16:17], v[10:11]
	s_wait_loadcnt_dscnt 0x0
	v_cvt_f32_f16_e32 v2, v2
	s_delay_alu instid0(VALU_DEP_1) | instskip(NEXT) | instid1(VALU_DEP_1)
	v_mul_f32_e32 v2, s33, v2
	v_fma_mixlo_f16 v2, s30, v15, v2
	flat_store_b16 v[16:17], v2
	flat_load_u16 v2, v[18:19] offset:32
	s_wait_loadcnt_dscnt 0x0
	v_cvt_f32_f16_e32 v2, v2
	s_delay_alu instid0(VALU_DEP_1) | instskip(NEXT) | instid1(VALU_DEP_1)
	v_mul_f32_e32 v2, s33, v2
	v_fma_mixlo_f16 v2, s30, v14, v2
	flat_store_b16 v[16:17], v2 offset:32
	flat_load_u16 v2, v[18:19] offset:64
	s_wait_loadcnt_dscnt 0x0
	v_cvt_f32_f16_e32 v2, v2
	s_delay_alu instid0(VALU_DEP_1) | instskip(NEXT) | instid1(VALU_DEP_1)
	v_mul_f32_e32 v2, s33, v2
	v_fma_mixlo_f16 v2, s30, v13, v2
	flat_store_b16 v[16:17], v2 offset:64
	;; [unrolled: 7-line block ×3, first 2 shown]
	s_branch .LBB85_2
.LBB85_10:
	s_sendmsg sendmsg(MSG_DEALLOC_VGPRS)
	s_endpgm
	.section	.rodata,"a",@progbits
	.p2align	6, 0x0
	.amdhsa_kernel _ZN12_GLOBAL__N_127rocblas_gemm_batched_kernelIfLi16ELi16ELi64ELi64ELi4ELi64ELi4ELi4ELi64ELc78ELc78EKPKDF16_S3_KPDF16_EEvlllT_PT11_llS8_llS6_PT12_llPT13_lli
		.amdhsa_group_segment_fixed_size 2048
		.amdhsa_private_segment_fixed_size 0
		.amdhsa_kernarg_size 140
		.amdhsa_user_sgpr_count 2
		.amdhsa_user_sgpr_dispatch_ptr 0
		.amdhsa_user_sgpr_queue_ptr 0
		.amdhsa_user_sgpr_kernarg_segment_ptr 1
		.amdhsa_user_sgpr_dispatch_id 0
		.amdhsa_user_sgpr_kernarg_preload_length 0
		.amdhsa_user_sgpr_kernarg_preload_offset 0
		.amdhsa_user_sgpr_private_segment_size 0
		.amdhsa_wavefront_size32 1
		.amdhsa_uses_dynamic_stack 0
		.amdhsa_enable_private_segment 0
		.amdhsa_system_sgpr_workgroup_id_x 1
		.amdhsa_system_sgpr_workgroup_id_y 1
		.amdhsa_system_sgpr_workgroup_id_z 1
		.amdhsa_system_sgpr_workgroup_info 0
		.amdhsa_system_vgpr_workitem_id 1
		.amdhsa_next_free_vgpr 78
		.amdhsa_next_free_sgpr 38
		.amdhsa_named_barrier_count 0
		.amdhsa_reserve_vcc 1
		.amdhsa_float_round_mode_32 0
		.amdhsa_float_round_mode_16_64 0
		.amdhsa_float_denorm_mode_32 3
		.amdhsa_float_denorm_mode_16_64 3
		.amdhsa_fp16_overflow 0
		.amdhsa_memory_ordered 1
		.amdhsa_forward_progress 1
		.amdhsa_inst_pref_size 21
		.amdhsa_round_robin_scheduling 0
		.amdhsa_exception_fp_ieee_invalid_op 0
		.amdhsa_exception_fp_denorm_src 0
		.amdhsa_exception_fp_ieee_div_zero 0
		.amdhsa_exception_fp_ieee_overflow 0
		.amdhsa_exception_fp_ieee_underflow 0
		.amdhsa_exception_fp_ieee_inexact 0
		.amdhsa_exception_int_div_zero 0
	.end_amdhsa_kernel
	.section	.text._ZN12_GLOBAL__N_127rocblas_gemm_batched_kernelIfLi16ELi16ELi64ELi64ELi4ELi64ELi4ELi4ELi64ELc78ELc78EKPKDF16_S3_KPDF16_EEvlllT_PT11_llS8_llS6_PT12_llPT13_lli,"axG",@progbits,_ZN12_GLOBAL__N_127rocblas_gemm_batched_kernelIfLi16ELi16ELi64ELi64ELi4ELi64ELi4ELi4ELi64ELc78ELc78EKPKDF16_S3_KPDF16_EEvlllT_PT11_llS8_llS6_PT12_llPT13_lli,comdat
.Lfunc_end85:
	.size	_ZN12_GLOBAL__N_127rocblas_gemm_batched_kernelIfLi16ELi16ELi64ELi64ELi4ELi64ELi4ELi4ELi64ELc78ELc78EKPKDF16_S3_KPDF16_EEvlllT_PT11_llS8_llS6_PT12_llPT13_lli, .Lfunc_end85-_ZN12_GLOBAL__N_127rocblas_gemm_batched_kernelIfLi16ELi16ELi64ELi64ELi4ELi64ELi4ELi4ELi64ELc78ELc78EKPKDF16_S3_KPDF16_EEvlllT_PT11_llS8_llS6_PT12_llPT13_lli
                                        ; -- End function
	.set _ZN12_GLOBAL__N_127rocblas_gemm_batched_kernelIfLi16ELi16ELi64ELi64ELi4ELi64ELi4ELi4ELi64ELc78ELc78EKPKDF16_S3_KPDF16_EEvlllT_PT11_llS8_llS6_PT12_llPT13_lli.num_vgpr, 78
	.set _ZN12_GLOBAL__N_127rocblas_gemm_batched_kernelIfLi16ELi16ELi64ELi64ELi4ELi64ELi4ELi4ELi64ELc78ELc78EKPKDF16_S3_KPDF16_EEvlllT_PT11_llS8_llS6_PT12_llPT13_lli.num_agpr, 0
	.set _ZN12_GLOBAL__N_127rocblas_gemm_batched_kernelIfLi16ELi16ELi64ELi64ELi4ELi64ELi4ELi4ELi64ELc78ELc78EKPKDF16_S3_KPDF16_EEvlllT_PT11_llS8_llS6_PT12_llPT13_lli.numbered_sgpr, 38
	.set _ZN12_GLOBAL__N_127rocblas_gemm_batched_kernelIfLi16ELi16ELi64ELi64ELi4ELi64ELi4ELi4ELi64ELc78ELc78EKPKDF16_S3_KPDF16_EEvlllT_PT11_llS8_llS6_PT12_llPT13_lli.num_named_barrier, 0
	.set _ZN12_GLOBAL__N_127rocblas_gemm_batched_kernelIfLi16ELi16ELi64ELi64ELi4ELi64ELi4ELi4ELi64ELc78ELc78EKPKDF16_S3_KPDF16_EEvlllT_PT11_llS8_llS6_PT12_llPT13_lli.private_seg_size, 0
	.set _ZN12_GLOBAL__N_127rocblas_gemm_batched_kernelIfLi16ELi16ELi64ELi64ELi4ELi64ELi4ELi4ELi64ELc78ELc78EKPKDF16_S3_KPDF16_EEvlllT_PT11_llS8_llS6_PT12_llPT13_lli.uses_vcc, 1
	.set _ZN12_GLOBAL__N_127rocblas_gemm_batched_kernelIfLi16ELi16ELi64ELi64ELi4ELi64ELi4ELi4ELi64ELc78ELc78EKPKDF16_S3_KPDF16_EEvlllT_PT11_llS8_llS6_PT12_llPT13_lli.uses_flat_scratch, 1
	.set _ZN12_GLOBAL__N_127rocblas_gemm_batched_kernelIfLi16ELi16ELi64ELi64ELi4ELi64ELi4ELi4ELi64ELc78ELc78EKPKDF16_S3_KPDF16_EEvlllT_PT11_llS8_llS6_PT12_llPT13_lli.has_dyn_sized_stack, 0
	.set _ZN12_GLOBAL__N_127rocblas_gemm_batched_kernelIfLi16ELi16ELi64ELi64ELi4ELi64ELi4ELi4ELi64ELc78ELc78EKPKDF16_S3_KPDF16_EEvlllT_PT11_llS8_llS6_PT12_llPT13_lli.has_recursion, 0
	.set _ZN12_GLOBAL__N_127rocblas_gemm_batched_kernelIfLi16ELi16ELi64ELi64ELi4ELi64ELi4ELi4ELi64ELc78ELc78EKPKDF16_S3_KPDF16_EEvlllT_PT11_llS8_llS6_PT12_llPT13_lli.has_indirect_call, 0
	.section	.AMDGPU.csdata,"",@progbits
; Kernel info:
; codeLenInByte = 2576
; TotalNumSgprs: 40
; NumVgprs: 78
; ScratchSize: 0
; MemoryBound: 0
; FloatMode: 240
; IeeeMode: 1
; LDSByteSize: 2048 bytes/workgroup (compile time only)
; SGPRBlocks: 0
; VGPRBlocks: 4
; NumSGPRsForWavesPerEU: 40
; NumVGPRsForWavesPerEU: 78
; NamedBarCnt: 0
; Occupancy: 12
; WaveLimiterHint : 1
; COMPUTE_PGM_RSRC2:SCRATCH_EN: 0
; COMPUTE_PGM_RSRC2:USER_SGPR: 2
; COMPUTE_PGM_RSRC2:TRAP_HANDLER: 0
; COMPUTE_PGM_RSRC2:TGID_X_EN: 1
; COMPUTE_PGM_RSRC2:TGID_Y_EN: 1
; COMPUTE_PGM_RSRC2:TGID_Z_EN: 1
; COMPUTE_PGM_RSRC2:TIDIG_COMP_CNT: 1
	.section	.text._ZN12_GLOBAL__N_127rocblas_gemm_batched_kernelIfLi16ELi16ELi64ELi64ELi4ELi64ELi4ELi4ELi64ELc84ELc78EKPKDF16_S3_KPDF16_EEvlllT_PT11_llS8_llS6_PT12_llPT13_lli,"axG",@progbits,_ZN12_GLOBAL__N_127rocblas_gemm_batched_kernelIfLi16ELi16ELi64ELi64ELi4ELi64ELi4ELi4ELi64ELc84ELc78EKPKDF16_S3_KPDF16_EEvlllT_PT11_llS8_llS6_PT12_llPT13_lli,comdat
	.globl	_ZN12_GLOBAL__N_127rocblas_gemm_batched_kernelIfLi16ELi16ELi64ELi64ELi4ELi64ELi4ELi4ELi64ELc84ELc78EKPKDF16_S3_KPDF16_EEvlllT_PT11_llS8_llS6_PT12_llPT13_lli ; -- Begin function _ZN12_GLOBAL__N_127rocblas_gemm_batched_kernelIfLi16ELi16ELi64ELi64ELi4ELi64ELi4ELi4ELi64ELc84ELc78EKPKDF16_S3_KPDF16_EEvlllT_PT11_llS8_llS6_PT12_llPT13_lli
	.p2align	8
	.type	_ZN12_GLOBAL__N_127rocblas_gemm_batched_kernelIfLi16ELi16ELi64ELi64ELi4ELi64ELi4ELi4ELi64ELc84ELc78EKPKDF16_S3_KPDF16_EEvlllT_PT11_llS8_llS6_PT12_llPT13_lli,@function
_ZN12_GLOBAL__N_127rocblas_gemm_batched_kernelIfLi16ELi16ELi64ELi64ELi4ELi64ELi4ELi4ELi64ELc84ELc78EKPKDF16_S3_KPDF16_EEvlllT_PT11_llS8_llS6_PT12_llPT13_lli: ; @_ZN12_GLOBAL__N_127rocblas_gemm_batched_kernelIfLi16ELi16ELi64ELi64ELi4ELi64ELi4ELi4ELi64ELc84ELc78EKPKDF16_S3_KPDF16_EEvlllT_PT11_llS8_llS6_PT12_llPT13_lli
; %bb.0:
	s_load_b32 s31, s[0:1], 0x88
	s_bfe_u32 s2, ttmp6, 0x40014
	s_lshr_b32 s3, ttmp7, 16
	s_add_co_i32 s2, s2, 1
	s_bfe_u32 s4, ttmp6, 0x40008
	s_mul_i32 s2, s3, s2
	s_getreg_b32 s12, hwreg(HW_REG_IB_STS2, 6, 4)
	s_add_co_i32 s4, s4, s2
	s_cmp_eq_u32 s12, 0
	s_cselect_b32 s2, s3, s4
	s_mov_b32 s3, 0
	s_wait_kmcnt 0x0
	s_cmp_ge_i32 s2, s31
	s_cbranch_scc1 .LBB86_10
; %bb.1:
	v_bfe_u32 v2, v0, 10, 10
	v_and_b32_e32 v6, 0x3ff, v0
	s_bfe_u32 s14, ttmp6, 0x4000c
	s_bfe_u32 s16, ttmp6, 0x40010
	s_clause 0x2
	s_load_b256 s[4:11], s[0:1], 0x20
	s_load_b128 s[20:23], s[0:1], 0x40
	s_load_b32 s33, s[0:1], 0x50
	v_dual_mov_b32 v3, 0 :: v_dual_lshlrev_b32 v14, 4, v2
	s_and_b32 s15, ttmp7, 0xffff
	s_add_co_i32 s14, s14, 1
	s_add_co_i32 s16, s16, 1
	s_delay_alu instid0(VALU_DEP_1)
	v_dual_add_nc_u32 v15, v14, v6 :: v_dual_mov_b32 v9, v3
	s_and_b32 s13, ttmp6, 15
	s_mul_i32 s14, ttmp9, s14
	s_mul_i32 s16, s15, s16
	s_bfe_u32 s17, ttmp6, 0x40004
	s_add_co_i32 s13, s13, s14
	s_add_co_i32 s17, s17, s16
	s_cmp_eq_u32 s12, 0
	v_dual_lshrrev_b32 v8, 2, v15 :: v_dual_bitop2_b32 v16, 63, v15 bitop3:0x40
	s_cselect_b32 s14, s15, s17
	s_cselect_b32 s12, ttmp9, s13
	s_lshl_b32 s28, s14, 6
	s_mov_b32 s29, s3
	s_ashr_i32 s13, s12, 31
	v_add_nc_u64_e32 v[4:5], s[28:29], v[8:9]
	s_load_b128 s[24:27], s[0:1], 0x78
	s_lshl_b64 s[34:35], s[12:13], 6
	s_load_b256 s[12:19], s[0:1], 0x58
	v_dual_mov_b32 v11, s35 :: v_dual_bitop2_b32 v10, s34, v16 bitop3:0x54
	s_wait_kmcnt 0x0
	s_cmp_eq_f32 s33, 0
	v_mul_u64_e32 v[12:13], s[20:21], v[4:5]
	v_add_nc_u64_e32 v[4:5], s[28:29], v[2:3]
	s_load_b96 s[28:30], s[0:1], 0x10
	v_mul_u64_e32 v[10:11], s[6:7], v[10:11]
	v_dual_mov_b32 v7, v3 :: v_dual_bitop2_b32 v2, 3, v0 bitop3:0x40
	s_wait_xcnt 0x0
	s_cselect_b32 s1, -1, 0
	s_lshl_b64 s[6:7], s[22:23], 1
	v_dual_lshlrev_b32 v36, 2, v6 :: v_dual_lshrrev_b32 v17, 6, v15
	v_dual_lshlrev_b32 v9, 2, v2 :: v_dual_lshlrev_b32 v2, 1, v2
	v_add_nc_u32_e32 v37, 0x400, v14
	v_add_nc_u64_e32 v[14:15], s[34:35], v[6:7]
	v_mul_u64_e32 v[0:1], s[24:25], v[4:5]
	v_lshlrev_b32_e32 v16, 2, v16
	v_mul_u64_e32 v[4:5], s[14:15], v[4:5]
	v_lshl_or_b32 v18, v8, 4, v9
	s_lshl_b64 s[20:21], s[14:15], 4
	s_lshl_b64 s[14:15], s[16:17], 1
	;; [unrolled: 1-line block ×3, first 2 shown]
	s_wait_kmcnt 0x0
	v_cmp_gt_i64_e64 s0, s[28:29], 0
	v_add_nc_u32_e32 v39, 0x400, v18
	v_lshl_add_u64 v[6:7], v[12:13], 1, s[6:7]
	s_lshl_b64 s[6:7], s[8:9], 1
	v_cndmask_b32_e64 v12, 0, 1, s0
	v_lshl_add_u64 v[8:9], v[10:11], 1, s[6:7]
	v_lshlrev_b64_e32 v[10:11], 1, v[14:15]
	v_add_nc_u64_e32 v[6:7], v[6:7], v[2:3]
	v_lshlrev_b32_e32 v2, 1, v17
	v_lshl_or_b32 v38, v17, 8, v16
	v_cmp_ne_u32_e64 s0, 1, v12
	s_lshl_b64 s[8:9], s[24:25], 4
	s_lshl_b64 s[6:7], s[26:27], 1
	v_add_nc_u64_e32 v[8:9], v[8:9], v[2:3]
	s_lshl_b64 s[8:9], s[8:9], 1
	s_branch .LBB86_3
.LBB86_2:                               ;   in Loop: Header=BB86_3 Depth=1
	s_add_co_i32 s2, s2, 0x10000
	s_delay_alu instid0(SALU_CYCLE_1)
	s_cmp_lt_i32 s2, s31
	s_cbranch_scc0 .LBB86_10
.LBB86_3:                               ; =>This Loop Header: Depth=1
                                        ;     Child Loop BB86_5 Depth 2
	s_wait_xcnt 0x0
	v_dual_mov_b32 v2, s2 :: v_dual_mov_b32 v29, 0
	v_dual_mov_b32 v28, 0 :: v_dual_mov_b32 v27, 0
	v_dual_mov_b32 v26, 0 :: v_dual_mov_b32 v25, 0
	s_clause 0x1
	global_load_b64 v[20:21], v2, s[12:13] scale_offset
	global_load_b64 v[30:31], v2, s[18:19] scale_offset
	v_dual_mov_b32 v24, 0 :: v_dual_mov_b32 v23, 0
	v_dual_mov_b32 v22, 0 :: v_dual_mov_b32 v19, 0
	v_dual_mov_b32 v18, 0 :: v_dual_mov_b32 v17, 0
	v_dual_mov_b32 v16, 0 :: v_dual_mov_b32 v15, 0
	v_dual_mov_b32 v14, 0 :: v_dual_mov_b32 v13, 0
	v_mov_b32_e32 v12, 0
	s_and_b32 vcc_lo, exec_lo, s0
	s_cbranch_vccnz .LBB86_6
; %bb.4:                                ;   in Loop: Header=BB86_3 Depth=1
	s_lshl_b64 s[20:21], s[2:3], 3
	v_mov_b32_e32 v12, 0
	s_add_nc_u64 s[22:23], s[10:11], s[20:21]
	s_add_nc_u64 s[20:21], s[4:5], s[20:21]
	s_clause 0x1
	global_load_b64 v[28:29], v3, s[22:23]
	global_load_b64 v[34:35], v3, s[20:21]
	s_wait_xcnt 0x0
	s_mov_b64 s[20:21], 0
	v_dual_mov_b32 v13, v12 :: v_dual_mov_b32 v14, v12
	v_dual_mov_b32 v15, v12 :: v_dual_mov_b32 v16, v12
	;; [unrolled: 1-line block ×6, first 2 shown]
	v_mov_b32_e32 v27, v12
	s_wait_loadcnt 0x1
	v_add_nc_u64_e32 v[32:33], v[28:29], v[6:7]
	s_wait_loadcnt 0x0
	v_add_nc_u64_e32 v[34:35], v[34:35], v[8:9]
	v_dual_mov_b32 v28, v12 :: v_dual_mov_b32 v29, v12
.LBB86_5:                               ;   Parent Loop BB86_3 Depth=1
                                        ; =>  This Inner Loop Header: Depth=2
	flat_load_u16 v2, v[34:35]
	flat_load_u16 v40, v[32:33]
	s_add_nc_u64 s[20:21], s[20:21], 4
	s_wait_xcnt 0x0
	v_add_nc_u64_e32 v[32:33], 8, v[32:33]
	v_cmp_lt_i64_e64 s22, s[20:21], s[28:29]
	v_add_nc_u64_e32 v[34:35], 8, v[34:35]
	s_and_b32 vcc_lo, exec_lo, s22
	s_wait_loadcnt_dscnt 0x101
	v_cvt_f32_f16_e32 v2, v2
	s_wait_loadcnt_dscnt 0x0
	v_cvt_f32_f16_e32 v40, v40
	ds_store_b32 v38, v2
	ds_store_b32 v39, v40
	s_wait_dscnt 0x0
	s_barrier_signal -1
	s_barrier_wait -1
	ds_load_2addr_b32 v[56:57], v36 offset1:16
	ds_load_2addr_b32 v[58:59], v36 offset0:64 offset1:80
	ds_load_2addr_b32 v[60:61], v36 offset0:128 offset1:144
	;; [unrolled: 1-line block ×6, first 2 shown]
	ds_load_b128 v[40:43], v37
	ds_load_b128 v[44:47], v37 offset:256
	ds_load_2addr_b32 v[70:71], v36 offset0:224 offset1:240
	ds_load_b128 v[48:51], v37 offset:512
	ds_load_b128 v[52:55], v37 offset:768
	s_wait_dscnt 0x0
	s_barrier_signal -1
	s_barrier_wait -1
	v_dual_mov_b32 v72, v57 :: v_dual_mov_b32 v73, v56
	v_dual_mov_b32 v56, v59 :: v_dual_mov_b32 v57, v58
	;; [unrolled: 1-line block ×6, first 2 shown]
	v_pk_fma_f32 v[28:29], v[72:73], v[40:41], v[28:29] op_sel_hi:[1,0,1]
	v_pk_fma_f32 v[24:25], v[72:73], v[44:45], v[24:25] op_sel_hi:[1,0,1]
	s_delay_alu instid0(VALU_DEP_4)
	v_pk_fma_f32 v[26:27], v[62:63], v[40:41], v[26:27] op_sel_hi:[1,0,1]
	v_pk_fma_f32 v[18:19], v[72:73], v[48:49], v[18:19] op_sel_hi:[1,0,1]
	v_pk_fma_f32 v[14:15], v[72:73], v[52:53], v[14:15] op_sel_hi:[1,0,1]
	v_pk_fma_f32 v[22:23], v[62:63], v[44:45], v[22:23] op_sel_hi:[1,0,1]
	v_pk_fma_f32 v[16:17], v[62:63], v[48:49], v[16:17] op_sel_hi:[1,0,1]
	v_pk_fma_f32 v[12:13], v[62:63], v[52:53], v[12:13] op_sel_hi:[1,0,1]
	v_dual_mov_b32 v66, v69 :: v_dual_mov_b32 v67, v68
	v_pk_fma_f32 v[28:29], v[56:57], v[40:41], v[28:29] op_sel:[0,1,0]
	v_pk_fma_f32 v[26:27], v[64:65], v[40:41], v[26:27] op_sel:[0,1,0]
	;; [unrolled: 1-line block ×8, first 2 shown]
	v_dual_mov_b32 v2, v43 :: v_dual_mov_b32 v68, v71
	v_dual_mov_b32 v69, v70 :: v_dual_mov_b32 v70, v47
	v_dual_mov_b32 v74, v51 :: v_dual_mov_b32 v76, v55
	v_pk_fma_f32 v[28:29], v[58:59], v[42:43], v[28:29] op_sel_hi:[1,0,1]
	v_pk_fma_f32 v[26:27], v[66:67], v[42:43], v[26:27] op_sel_hi:[1,0,1]
	;; [unrolled: 1-line block ×16, first 2 shown]
	s_cbranch_vccnz .LBB86_5
.LBB86_6:                               ;   in Loop: Header=BB86_3 Depth=1
	s_wait_loadcnt 0x0
	v_add_nc_u64_e32 v[30:31], s[6:7], v[30:31]
	s_and_not1_b32 vcc_lo, exec_lo, s1
	s_delay_alu instid0(VALU_DEP_1) | instskip(NEXT) | instid1(VALU_DEP_1)
	v_lshl_add_u64 v[30:31], v[0:1], 1, v[30:31]
	v_add_nc_u64_e32 v[32:33], v[30:31], v[10:11]
	v_add_nc_u64_e32 v[30:31], s[8:9], v[30:31]
	s_cbranch_vccnz .LBB86_8
; %bb.7:                                ;   in Loop: Header=BB86_3 Depth=1
	s_wait_xcnt 0x0
	v_fma_mixlo_f16 v2, s30, v29, 0
	v_fma_mixlo_f16 v40, s30, v28, 0
	s_delay_alu instid0(VALU_DEP_3)
	v_add_nc_u64_e32 v[34:35], s[8:9], v[30:31]
	v_fma_mixlo_f16 v41, s30, v27, 0
	v_fma_mixlo_f16 v42, s30, v26, 0
	s_clause 0x3
	flat_store_b16 v[32:33], v2
	flat_store_b16 v[32:33], v40 offset:32
	flat_store_b16 v[32:33], v41 offset:64
	;; [unrolled: 1-line block ×3, first 2 shown]
	s_wait_xcnt 0x1
	v_add_nc_u64_e32 v[40:41], v[30:31], v[10:11]
	v_fma_mixlo_f16 v2, s30, v25, 0
	v_fma_mixlo_f16 v44, s30, v24, 0
	s_wait_xcnt 0x0
	v_add_nc_u64_e32 v[42:43], v[34:35], v[10:11]
	v_add_nc_u64_e32 v[34:35], s[8:9], v[34:35]
	v_fma_mixlo_f16 v45, s30, v23, 0
	v_fma_mixlo_f16 v46, s30, v22, 0
	s_clause 0x3
	flat_store_b16 v[40:41], v2
	flat_store_b16 v[40:41], v44 offset:32
	flat_store_b16 v[40:41], v45 offset:64
	;; [unrolled: 1-line block ×3, first 2 shown]
	s_wait_xcnt 0x3
	v_fma_mixlo_f16 v2, s30, v19, 0
	s_wait_xcnt 0x0
	v_fma_mixlo_f16 v40, s30, v18, 0
	v_fma_mixlo_f16 v41, s30, v17, 0
	;; [unrolled: 1-line block ×3, first 2 shown]
	v_add_nc_u64_e32 v[34:35], v[34:35], v[10:11]
	s_clause 0x3
	flat_store_b16 v[42:43], v2
	flat_store_b16 v[42:43], v40 offset:32
	flat_store_b16 v[42:43], v41 offset:64
	;; [unrolled: 1-line block ×3, first 2 shown]
	s_wait_xcnt 0x3
	v_fma_mixlo_f16 v2, s30, v15, 0
	s_wait_xcnt 0x2
	v_fma_mixlo_f16 v40, s30, v14, 0
	;; [unrolled: 2-line block ×4, first 2 shown]
	s_clause 0x3
	flat_store_b16 v[34:35], v2
	flat_store_b16 v[34:35], v40 offset:32
	flat_store_b16 v[34:35], v41 offset:64
	;; [unrolled: 1-line block ×3, first 2 shown]
	s_cbranch_execnz .LBB86_2
	s_branch .LBB86_9
.LBB86_8:                               ;   in Loop: Header=BB86_3 Depth=1
.LBB86_9:                               ;   in Loop: Header=BB86_3 Depth=1
	v_add_nc_u64_e32 v[20:21], s[14:15], v[20:21]
	s_delay_alu instid0(VALU_DEP_1) | instskip(SKIP_1) | instid1(VALU_DEP_1)
	v_lshl_add_u64 v[20:21], v[4:5], 1, v[20:21]
	s_wait_xcnt 0x0
	v_add_nc_u64_e32 v[34:35], v[20:21], v[10:11]
	v_add_nc_u64_e32 v[20:21], s[16:17], v[20:21]
	flat_load_u16 v2, v[34:35]
	s_wait_loadcnt_dscnt 0x0
	v_cvt_f32_f16_e32 v2, v2
	s_delay_alu instid0(VALU_DEP_1) | instskip(NEXT) | instid1(VALU_DEP_1)
	v_mul_f32_e32 v2, s33, v2
	v_fma_mixlo_f16 v2, s30, v29, v2
	flat_store_b16 v[32:33], v2
	flat_load_u16 v2, v[34:35] offset:32
	s_wait_loadcnt_dscnt 0x0
	v_cvt_f32_f16_e32 v2, v2
	s_delay_alu instid0(VALU_DEP_1) | instskip(NEXT) | instid1(VALU_DEP_1)
	v_mul_f32_e32 v2, s33, v2
	v_fma_mixlo_f16 v2, s30, v28, v2
	v_add_nc_u64_e32 v[28:29], v[20:21], v[10:11]
	v_add_nc_u64_e32 v[20:21], s[16:17], v[20:21]
	flat_store_b16 v[32:33], v2 offset:32
	flat_load_u16 v2, v[34:35] offset:64
	s_wait_loadcnt_dscnt 0x0
	v_cvt_f32_f16_e32 v2, v2
	s_delay_alu instid0(VALU_DEP_1) | instskip(NEXT) | instid1(VALU_DEP_1)
	v_mul_f32_e32 v2, s33, v2
	v_fma_mixlo_f16 v2, s30, v27, v2
	flat_store_b16 v[32:33], v2 offset:64
	flat_load_u16 v2, v[34:35] offset:96
	s_wait_loadcnt_dscnt 0x0
	v_cvt_f32_f16_e32 v2, v2
	s_delay_alu instid0(VALU_DEP_1) | instskip(NEXT) | instid1(VALU_DEP_1)
	v_mul_f32_e32 v2, s33, v2
	v_fma_mixlo_f16 v2, s30, v26, v2
	v_add_nc_u64_e32 v[26:27], v[30:31], v[10:11]
	flat_store_b16 v[32:33], v2 offset:96
	flat_load_u16 v2, v[28:29]
	s_wait_loadcnt_dscnt 0x0
	v_cvt_f32_f16_e32 v2, v2
	s_delay_alu instid0(VALU_DEP_1) | instskip(NEXT) | instid1(VALU_DEP_1)
	v_mul_f32_e32 v2, s33, v2
	v_fma_mixlo_f16 v2, s30, v25, v2
	flat_store_b16 v[26:27], v2
	flat_load_u16 v2, v[28:29] offset:32
	s_wait_loadcnt_dscnt 0x0
	v_cvt_f32_f16_e32 v2, v2
	s_delay_alu instid0(VALU_DEP_1) | instskip(NEXT) | instid1(VALU_DEP_1)
	v_mul_f32_e32 v2, s33, v2
	v_fma_mixlo_f16 v2, s30, v24, v2
	v_add_nc_u64_e32 v[24:25], v[20:21], v[10:11]
	flat_store_b16 v[26:27], v2 offset:32
	flat_load_u16 v2, v[28:29] offset:64
	s_wait_loadcnt_dscnt 0x0
	v_cvt_f32_f16_e32 v2, v2
	s_delay_alu instid0(VALU_DEP_1) | instskip(NEXT) | instid1(VALU_DEP_1)
	v_mul_f32_e32 v2, s33, v2
	v_fma_mixlo_f16 v2, s30, v23, v2
	flat_store_b16 v[26:27], v2 offset:64
	flat_load_u16 v2, v[28:29] offset:96
	s_wait_loadcnt_dscnt 0x0
	v_cvt_f32_f16_e32 v2, v2
	s_delay_alu instid0(VALU_DEP_1) | instskip(NEXT) | instid1(VALU_DEP_1)
	v_mul_f32_e32 v2, s33, v2
	v_fma_mixlo_f16 v2, s30, v22, v2
	v_add_nc_u64_e32 v[22:23], s[8:9], v[30:31]
	flat_store_b16 v[26:27], v2 offset:96
	flat_load_u16 v2, v[24:25]
	v_add_nc_u64_e32 v[26:27], v[22:23], v[10:11]
	s_wait_loadcnt_dscnt 0x0
	v_cvt_f32_f16_e32 v2, v2
	s_delay_alu instid0(VALU_DEP_1) | instskip(NEXT) | instid1(VALU_DEP_1)
	v_mul_f32_e32 v2, s33, v2
	v_fma_mixlo_f16 v2, s30, v19, v2
	flat_store_b16 v[26:27], v2
	flat_load_u16 v2, v[24:25] offset:32
	s_wait_loadcnt_dscnt 0x0
	v_cvt_f32_f16_e32 v2, v2
	s_delay_alu instid0(VALU_DEP_1) | instskip(NEXT) | instid1(VALU_DEP_1)
	v_mul_f32_e32 v2, s33, v2
	v_fma_mixlo_f16 v2, s30, v18, v2
	v_add_nc_u64_e32 v[18:19], s[16:17], v[20:21]
	flat_store_b16 v[26:27], v2 offset:32
	flat_load_u16 v2, v[24:25] offset:64
	v_add_nc_u64_e32 v[18:19], v[18:19], v[10:11]
	s_wait_loadcnt_dscnt 0x0
	v_cvt_f32_f16_e32 v2, v2
	s_delay_alu instid0(VALU_DEP_1) | instskip(NEXT) | instid1(VALU_DEP_1)
	v_mul_f32_e32 v2, s33, v2
	v_fma_mixlo_f16 v2, s30, v17, v2
	flat_store_b16 v[26:27], v2 offset:64
	flat_load_u16 v2, v[24:25] offset:96
	s_wait_loadcnt_dscnt 0x0
	v_cvt_f32_f16_e32 v2, v2
	s_delay_alu instid0(VALU_DEP_1) | instskip(NEXT) | instid1(VALU_DEP_1)
	v_mul_f32_e32 v2, s33, v2
	v_fma_mixlo_f16 v2, s30, v16, v2
	v_add_nc_u64_e32 v[16:17], s[8:9], v[22:23]
	flat_store_b16 v[26:27], v2 offset:96
	flat_load_u16 v2, v[18:19]
	v_add_nc_u64_e32 v[16:17], v[16:17], v[10:11]
	s_wait_loadcnt_dscnt 0x0
	v_cvt_f32_f16_e32 v2, v2
	s_delay_alu instid0(VALU_DEP_1) | instskip(NEXT) | instid1(VALU_DEP_1)
	v_mul_f32_e32 v2, s33, v2
	v_fma_mixlo_f16 v2, s30, v15, v2
	flat_store_b16 v[16:17], v2
	flat_load_u16 v2, v[18:19] offset:32
	s_wait_loadcnt_dscnt 0x0
	v_cvt_f32_f16_e32 v2, v2
	s_delay_alu instid0(VALU_DEP_1) | instskip(NEXT) | instid1(VALU_DEP_1)
	v_mul_f32_e32 v2, s33, v2
	v_fma_mixlo_f16 v2, s30, v14, v2
	flat_store_b16 v[16:17], v2 offset:32
	flat_load_u16 v2, v[18:19] offset:64
	s_wait_loadcnt_dscnt 0x0
	v_cvt_f32_f16_e32 v2, v2
	s_delay_alu instid0(VALU_DEP_1) | instskip(NEXT) | instid1(VALU_DEP_1)
	v_mul_f32_e32 v2, s33, v2
	v_fma_mixlo_f16 v2, s30, v13, v2
	flat_store_b16 v[16:17], v2 offset:64
	;; [unrolled: 7-line block ×3, first 2 shown]
	s_branch .LBB86_2
.LBB86_10:
	s_sendmsg sendmsg(MSG_DEALLOC_VGPRS)
	s_endpgm
	.section	.rodata,"a",@progbits
	.p2align	6, 0x0
	.amdhsa_kernel _ZN12_GLOBAL__N_127rocblas_gemm_batched_kernelIfLi16ELi16ELi64ELi64ELi4ELi64ELi4ELi4ELi64ELc84ELc78EKPKDF16_S3_KPDF16_EEvlllT_PT11_llS8_llS6_PT12_llPT13_lli
		.amdhsa_group_segment_fixed_size 2048
		.amdhsa_private_segment_fixed_size 0
		.amdhsa_kernarg_size 140
		.amdhsa_user_sgpr_count 2
		.amdhsa_user_sgpr_dispatch_ptr 0
		.amdhsa_user_sgpr_queue_ptr 0
		.amdhsa_user_sgpr_kernarg_segment_ptr 1
		.amdhsa_user_sgpr_dispatch_id 0
		.amdhsa_user_sgpr_kernarg_preload_length 0
		.amdhsa_user_sgpr_kernarg_preload_offset 0
		.amdhsa_user_sgpr_private_segment_size 0
		.amdhsa_wavefront_size32 1
		.amdhsa_uses_dynamic_stack 0
		.amdhsa_enable_private_segment 0
		.amdhsa_system_sgpr_workgroup_id_x 1
		.amdhsa_system_sgpr_workgroup_id_y 1
		.amdhsa_system_sgpr_workgroup_id_z 1
		.amdhsa_system_sgpr_workgroup_info 0
		.amdhsa_system_vgpr_workitem_id 1
		.amdhsa_next_free_vgpr 78
		.amdhsa_next_free_sgpr 36
		.amdhsa_named_barrier_count 0
		.amdhsa_reserve_vcc 1
		.amdhsa_float_round_mode_32 0
		.amdhsa_float_round_mode_16_64 0
		.amdhsa_float_denorm_mode_32 3
		.amdhsa_float_denorm_mode_16_64 3
		.amdhsa_fp16_overflow 0
		.amdhsa_memory_ordered 1
		.amdhsa_forward_progress 1
		.amdhsa_inst_pref_size 21
		.amdhsa_round_robin_scheduling 0
		.amdhsa_exception_fp_ieee_invalid_op 0
		.amdhsa_exception_fp_denorm_src 0
		.amdhsa_exception_fp_ieee_div_zero 0
		.amdhsa_exception_fp_ieee_overflow 0
		.amdhsa_exception_fp_ieee_underflow 0
		.amdhsa_exception_fp_ieee_inexact 0
		.amdhsa_exception_int_div_zero 0
	.end_amdhsa_kernel
	.section	.text._ZN12_GLOBAL__N_127rocblas_gemm_batched_kernelIfLi16ELi16ELi64ELi64ELi4ELi64ELi4ELi4ELi64ELc84ELc78EKPKDF16_S3_KPDF16_EEvlllT_PT11_llS8_llS6_PT12_llPT13_lli,"axG",@progbits,_ZN12_GLOBAL__N_127rocblas_gemm_batched_kernelIfLi16ELi16ELi64ELi64ELi4ELi64ELi4ELi4ELi64ELc84ELc78EKPKDF16_S3_KPDF16_EEvlllT_PT11_llS8_llS6_PT12_llPT13_lli,comdat
.Lfunc_end86:
	.size	_ZN12_GLOBAL__N_127rocblas_gemm_batched_kernelIfLi16ELi16ELi64ELi64ELi4ELi64ELi4ELi4ELi64ELc84ELc78EKPKDF16_S3_KPDF16_EEvlllT_PT11_llS8_llS6_PT12_llPT13_lli, .Lfunc_end86-_ZN12_GLOBAL__N_127rocblas_gemm_batched_kernelIfLi16ELi16ELi64ELi64ELi4ELi64ELi4ELi4ELi64ELc84ELc78EKPKDF16_S3_KPDF16_EEvlllT_PT11_llS8_llS6_PT12_llPT13_lli
                                        ; -- End function
	.set _ZN12_GLOBAL__N_127rocblas_gemm_batched_kernelIfLi16ELi16ELi64ELi64ELi4ELi64ELi4ELi4ELi64ELc84ELc78EKPKDF16_S3_KPDF16_EEvlllT_PT11_llS8_llS6_PT12_llPT13_lli.num_vgpr, 78
	.set _ZN12_GLOBAL__N_127rocblas_gemm_batched_kernelIfLi16ELi16ELi64ELi64ELi4ELi64ELi4ELi4ELi64ELc84ELc78EKPKDF16_S3_KPDF16_EEvlllT_PT11_llS8_llS6_PT12_llPT13_lli.num_agpr, 0
	.set _ZN12_GLOBAL__N_127rocblas_gemm_batched_kernelIfLi16ELi16ELi64ELi64ELi4ELi64ELi4ELi4ELi64ELc84ELc78EKPKDF16_S3_KPDF16_EEvlllT_PT11_llS8_llS6_PT12_llPT13_lli.numbered_sgpr, 36
	.set _ZN12_GLOBAL__N_127rocblas_gemm_batched_kernelIfLi16ELi16ELi64ELi64ELi4ELi64ELi4ELi4ELi64ELc84ELc78EKPKDF16_S3_KPDF16_EEvlllT_PT11_llS8_llS6_PT12_llPT13_lli.num_named_barrier, 0
	.set _ZN12_GLOBAL__N_127rocblas_gemm_batched_kernelIfLi16ELi16ELi64ELi64ELi4ELi64ELi4ELi4ELi64ELc84ELc78EKPKDF16_S3_KPDF16_EEvlllT_PT11_llS8_llS6_PT12_llPT13_lli.private_seg_size, 0
	.set _ZN12_GLOBAL__N_127rocblas_gemm_batched_kernelIfLi16ELi16ELi64ELi64ELi4ELi64ELi4ELi4ELi64ELc84ELc78EKPKDF16_S3_KPDF16_EEvlllT_PT11_llS8_llS6_PT12_llPT13_lli.uses_vcc, 1
	.set _ZN12_GLOBAL__N_127rocblas_gemm_batched_kernelIfLi16ELi16ELi64ELi64ELi4ELi64ELi4ELi4ELi64ELc84ELc78EKPKDF16_S3_KPDF16_EEvlllT_PT11_llS8_llS6_PT12_llPT13_lli.uses_flat_scratch, 1
	.set _ZN12_GLOBAL__N_127rocblas_gemm_batched_kernelIfLi16ELi16ELi64ELi64ELi4ELi64ELi4ELi4ELi64ELc84ELc78EKPKDF16_S3_KPDF16_EEvlllT_PT11_llS8_llS6_PT12_llPT13_lli.has_dyn_sized_stack, 0
	.set _ZN12_GLOBAL__N_127rocblas_gemm_batched_kernelIfLi16ELi16ELi64ELi64ELi4ELi64ELi4ELi4ELi64ELc84ELc78EKPKDF16_S3_KPDF16_EEvlllT_PT11_llS8_llS6_PT12_llPT13_lli.has_recursion, 0
	.set _ZN12_GLOBAL__N_127rocblas_gemm_batched_kernelIfLi16ELi16ELi64ELi64ELi4ELi64ELi4ELi4ELi64ELc84ELc78EKPKDF16_S3_KPDF16_EEvlllT_PT11_llS8_llS6_PT12_llPT13_lli.has_indirect_call, 0
	.section	.AMDGPU.csdata,"",@progbits
; Kernel info:
; codeLenInByte = 2584
; TotalNumSgprs: 38
; NumVgprs: 78
; ScratchSize: 0
; MemoryBound: 0
; FloatMode: 240
; IeeeMode: 1
; LDSByteSize: 2048 bytes/workgroup (compile time only)
; SGPRBlocks: 0
; VGPRBlocks: 4
; NumSGPRsForWavesPerEU: 38
; NumVGPRsForWavesPerEU: 78
; NamedBarCnt: 0
; Occupancy: 12
; WaveLimiterHint : 1
; COMPUTE_PGM_RSRC2:SCRATCH_EN: 0
; COMPUTE_PGM_RSRC2:USER_SGPR: 2
; COMPUTE_PGM_RSRC2:TRAP_HANDLER: 0
; COMPUTE_PGM_RSRC2:TGID_X_EN: 1
; COMPUTE_PGM_RSRC2:TGID_Y_EN: 1
; COMPUTE_PGM_RSRC2:TGID_Z_EN: 1
; COMPUTE_PGM_RSRC2:TIDIG_COMP_CNT: 1
	.section	.text._ZN12_GLOBAL__N_127rocblas_gemm_batched_kernelIfLi16ELi16ELi64ELi64ELi4ELi64ELi4ELi4ELi64ELc78ELc84EKPKDF16_S3_KPDF16_EEvlllT_PT11_llS8_llS6_PT12_llPT13_lli,"axG",@progbits,_ZN12_GLOBAL__N_127rocblas_gemm_batched_kernelIfLi16ELi16ELi64ELi64ELi4ELi64ELi4ELi4ELi64ELc78ELc84EKPKDF16_S3_KPDF16_EEvlllT_PT11_llS8_llS6_PT12_llPT13_lli,comdat
	.globl	_ZN12_GLOBAL__N_127rocblas_gemm_batched_kernelIfLi16ELi16ELi64ELi64ELi4ELi64ELi4ELi4ELi64ELc78ELc84EKPKDF16_S3_KPDF16_EEvlllT_PT11_llS8_llS6_PT12_llPT13_lli ; -- Begin function _ZN12_GLOBAL__N_127rocblas_gemm_batched_kernelIfLi16ELi16ELi64ELi64ELi4ELi64ELi4ELi4ELi64ELc78ELc84EKPKDF16_S3_KPDF16_EEvlllT_PT11_llS8_llS6_PT12_llPT13_lli
	.p2align	8
	.type	_ZN12_GLOBAL__N_127rocblas_gemm_batched_kernelIfLi16ELi16ELi64ELi64ELi4ELi64ELi4ELi4ELi64ELc78ELc84EKPKDF16_S3_KPDF16_EEvlllT_PT11_llS8_llS6_PT12_llPT13_lli,@function
_ZN12_GLOBAL__N_127rocblas_gemm_batched_kernelIfLi16ELi16ELi64ELi64ELi4ELi64ELi4ELi4ELi64ELc78ELc84EKPKDF16_S3_KPDF16_EEvlllT_PT11_llS8_llS6_PT12_llPT13_lli: ; @_ZN12_GLOBAL__N_127rocblas_gemm_batched_kernelIfLi16ELi16ELi64ELi64ELi4ELi64ELi4ELi4ELi64ELc78ELc84EKPKDF16_S3_KPDF16_EEvlllT_PT11_llS8_llS6_PT12_llPT13_lli
; %bb.0:
	s_load_b32 s31, s[0:1], 0x88
	s_bfe_u32 s2, ttmp6, 0x40014
	s_lshr_b32 s3, ttmp7, 16
	s_add_co_i32 s2, s2, 1
	s_bfe_u32 s4, ttmp6, 0x40008
	s_mul_i32 s2, s3, s2
	s_getreg_b32 s28, hwreg(HW_REG_IB_STS2, 6, 4)
	s_add_co_i32 s4, s4, s2
	s_cmp_eq_u32 s28, 0
	s_cselect_b32 s2, s3, s4
	s_mov_b32 s3, 0
	s_wait_kmcnt 0x0
	s_cmp_ge_i32 s2, s31
	s_cbranch_scc1 .LBB87_10
; %bb.1:
	v_bfe_u32 v2, v0, 10, 10
	s_clause 0x2
	s_load_b256 s[4:11], s[0:1], 0x20
	s_load_b128 s[24:27], s[0:1], 0x40
	s_load_b32 s33, s[0:1], 0x50
	v_and_b32_e32 v6, 0x3ff, v0
	s_bfe_u32 s29, ttmp6, 0x4000c
	s_bfe_u32 s34, ttmp6, 0x40010
	v_dual_mov_b32 v3, 0 :: v_dual_lshlrev_b32 v16, 4, v2
	s_add_co_i32 s29, s29, 1
	s_and_b32 s35, ttmp7, 0xffff
	s_add_co_i32 s34, s34, 1
	s_and_b32 s30, ttmp6, 15
	s_mul_i32 s29, ttmp9, s29
	s_mul_i32 s34, s35, s34
	s_bfe_u32 s36, ttmp6, 0x40004
	v_dual_add_nc_u32 v1, v16, v6 :: v_dual_bitop2_b32 v0, 3, v0 bitop3:0x40
	s_clause 0x1
	s_load_b128 s[20:23], s[0:1], 0x78
	s_load_b256 s[12:19], s[0:1], 0x58
	s_add_co_i32 s30, s30, s29
	s_add_co_i32 s36, s36, s34
	s_cmp_eq_u32 s28, 0
	v_dual_mov_b32 v9, v3 :: v_dual_lshrrev_b32 v8, 2, v1
	s_cselect_b32 s28, ttmp9, s30
	v_dual_lshrrev_b32 v17, 6, v1 :: v_dual_bitop2_b32 v14, 63, v1 bitop3:0x40
	s_cselect_b32 s30, s35, s36
	s_ashr_i32 s29, s28, 31
	s_wait_kmcnt 0x0
	v_mad_nc_u64_u32 v[10:11], s24, v0, v[8:9]
	s_lshl_b64 s[34:35], s[28:29], 6
	s_lshl_b32 s36, s30, 6
	v_mad_nc_u64_u32 v[12:13], s6, v17, s[34:35]
	s_mov_b32 s37, s3
	s_load_b96 s[28:30], s[0:1], 0x10
	v_add_nc_u64_e32 v[4:5], s[36:37], v[2:3]
	v_dual_lshlrev_b32 v2, 2, v0 :: v_dual_lshlrev_b32 v18, 2, v14
	v_dual_mov_b32 v15, v3 :: v_dual_mov_b32 v7, v3
	v_mad_u32 v11, s25, v0, v11
	s_delay_alu instid0(VALU_DEP_3)
	v_lshl_or_b32 v19, v8, 4, v2
	v_mul_u64_e32 v[0:1], s[20:21], v[4:5]
	v_mad_u32 v13, s7, v17, v13
	v_mul_u64_e32 v[4:5], s[14:15], v[4:5]
	s_cmp_eq_f32 s33, 0
	v_lshlrev_b32_e32 v37, 2, v6
	v_lshl_or_b32 v2, v17, 8, v18
	v_add_nc_u32_e32 v36, 0x400, v19
	v_add_nc_u32_e32 v38, 0x400, v16
	s_wait_xcnt 0x0
	s_cselect_b32 s1, -1, 0
	v_add_nc_u64_e32 v[8:9], s[36:37], v[10:11]
	s_lshl_b64 s[20:21], s[20:21], 4
	s_lshl_b64 s[6:7], s[6:7], 3
	v_add_nc_u64_e32 v[10:11], v[12:13], v[14:15]
	s_wait_kmcnt 0x0
	v_cmp_gt_i64_e64 s0, s[28:29], 0
	v_add_nc_u64_e32 v[12:13], s[34:35], v[6:7]
	s_lshl_b64 s[34:35], s[14:15], 4
	v_lshlrev_b64_e32 v[8:9], 1, v[8:9]
	s_lshl_b64 s[14:15], s[24:25], 3
	s_lshl_b64 s[20:21], s[20:21], 1
	v_lshlrev_b64_e32 v[10:11], 1, v[10:11]
	v_cndmask_b32_e64 v14, 0, 1, s0
	s_lshl_b64 s[16:17], s[16:17], 1
	s_delay_alu instid0(VALU_DEP_3) | instskip(NEXT) | instid1(VALU_DEP_2)
	v_lshl_add_u64 v[6:7], s[26:27], 1, v[8:9]
	v_cmp_ne_u32_e64 s0, 1, v14
	s_delay_alu instid0(VALU_DEP_4)
	v_lshl_add_u64 v[8:9], s[8:9], 1, v[10:11]
	v_lshlrev_b64_e32 v[10:11], 1, v[12:13]
	s_lshl_b64 s[8:9], s[22:23], 1
	s_lshl_b64 s[22:23], s[34:35], 1
	s_branch .LBB87_3
.LBB87_2:                               ;   in Loop: Header=BB87_3 Depth=1
	s_add_co_i32 s2, s2, 0x10000
	s_delay_alu instid0(SALU_CYCLE_1)
	s_cmp_lt_i32 s2, s31
	s_cbranch_scc0 .LBB87_10
.LBB87_3:                               ; =>This Loop Header: Depth=1
                                        ;     Child Loop BB87_5 Depth 2
	s_wait_xcnt 0x0
	v_dual_mov_b32 v12, s2 :: v_dual_mov_b32 v29, 0
	v_dual_mov_b32 v28, 0 :: v_dual_mov_b32 v27, 0
	;; [unrolled: 1-line block ×3, first 2 shown]
	s_clause 0x1
	global_load_b64 v[20:21], v12, s[12:13] scale_offset
	global_load_b64 v[30:31], v12, s[18:19] scale_offset
	v_dual_mov_b32 v24, 0 :: v_dual_mov_b32 v23, 0
	v_dual_mov_b32 v22, 0 :: v_dual_mov_b32 v19, 0
	;; [unrolled: 1-line block ×5, first 2 shown]
	s_wait_xcnt 0x0
	v_mov_b32_e32 v12, 0
	s_and_b32 vcc_lo, exec_lo, s0
	s_cbranch_vccnz .LBB87_6
; %bb.4:                                ;   in Loop: Header=BB87_3 Depth=1
	s_lshl_b64 s[24:25], s[2:3], 3
	v_mov_b32_e32 v12, 0
	s_add_nc_u64 s[26:27], s[10:11], s[24:25]
	s_add_nc_u64 s[24:25], s[4:5], s[24:25]
	s_clause 0x1
	global_load_b64 v[28:29], v3, s[26:27]
	global_load_b64 v[34:35], v3, s[24:25]
	s_wait_xcnt 0x0
	s_mov_b64 s[24:25], 0
	v_dual_mov_b32 v13, v12 :: v_dual_mov_b32 v14, v12
	v_dual_mov_b32 v15, v12 :: v_dual_mov_b32 v16, v12
	;; [unrolled: 1-line block ×6, first 2 shown]
	v_mov_b32_e32 v27, v12
	s_wait_loadcnt 0x1
	v_add_nc_u64_e32 v[32:33], v[28:29], v[6:7]
	s_wait_loadcnt 0x0
	v_add_nc_u64_e32 v[34:35], v[34:35], v[8:9]
	v_dual_mov_b32 v28, v12 :: v_dual_mov_b32 v29, v12
.LBB87_5:                               ;   Parent Loop BB87_3 Depth=1
                                        ; =>  This Inner Loop Header: Depth=2
	flat_load_u16 v39, v[34:35]
	flat_load_u16 v40, v[32:33]
	s_add_nc_u64 s[24:25], s[24:25], 4
	s_wait_xcnt 0x0
	v_add_nc_u64_e32 v[32:33], s[14:15], v[32:33]
	v_cmp_lt_i64_e64 s26, s[24:25], s[28:29]
	v_add_nc_u64_e32 v[34:35], s[6:7], v[34:35]
	s_and_b32 vcc_lo, exec_lo, s26
	s_wait_loadcnt_dscnt 0x101
	v_cvt_f32_f16_e32 v39, v39
	s_wait_loadcnt_dscnt 0x0
	v_cvt_f32_f16_e32 v40, v40
	ds_store_b32 v2, v39
	ds_store_b32 v36, v40
	s_wait_dscnt 0x0
	s_barrier_signal -1
	s_barrier_wait -1
	ds_load_2addr_b32 v[56:57], v37 offset1:16
	ds_load_2addr_b32 v[58:59], v37 offset0:64 offset1:80
	ds_load_2addr_b32 v[60:61], v37 offset0:128 offset1:144
	;; [unrolled: 1-line block ×6, first 2 shown]
	ds_load_b128 v[40:43], v38
	ds_load_b128 v[44:47], v38 offset:256
	ds_load_2addr_b32 v[70:71], v37 offset0:224 offset1:240
	ds_load_b128 v[48:51], v38 offset:512
	ds_load_b128 v[52:55], v38 offset:768
	s_wait_dscnt 0x0
	s_barrier_signal -1
	s_barrier_wait -1
	v_dual_mov_b32 v72, v57 :: v_dual_mov_b32 v73, v56
	v_dual_mov_b32 v56, v59 :: v_dual_mov_b32 v57, v58
	;; [unrolled: 1-line block ×6, first 2 shown]
	v_pk_fma_f32 v[28:29], v[72:73], v[40:41], v[28:29] op_sel_hi:[1,0,1]
	v_pk_fma_f32 v[24:25], v[72:73], v[44:45], v[24:25] op_sel_hi:[1,0,1]
	s_delay_alu instid0(VALU_DEP_4)
	v_pk_fma_f32 v[26:27], v[62:63], v[40:41], v[26:27] op_sel_hi:[1,0,1]
	v_pk_fma_f32 v[18:19], v[72:73], v[48:49], v[18:19] op_sel_hi:[1,0,1]
	;; [unrolled: 1-line block ×6, first 2 shown]
	v_dual_mov_b32 v66, v69 :: v_dual_mov_b32 v67, v68
	v_pk_fma_f32 v[28:29], v[56:57], v[40:41], v[28:29] op_sel:[0,1,0]
	v_pk_fma_f32 v[26:27], v[64:65], v[40:41], v[26:27] op_sel:[0,1,0]
	;; [unrolled: 1-line block ×8, first 2 shown]
	v_dual_mov_b32 v68, v43 :: v_dual_mov_b32 v74, v71
	v_dual_mov_b32 v75, v70 :: v_dual_mov_b32 v70, v47
	v_dual_mov_b32 v76, v51 :: v_dual_mov_b32 v78, v55
	v_pk_fma_f32 v[28:29], v[58:59], v[42:43], v[28:29] op_sel_hi:[1,0,1]
	v_pk_fma_f32 v[26:27], v[66:67], v[42:43], v[26:27] op_sel_hi:[1,0,1]
	;; [unrolled: 1-line block ×16, first 2 shown]
	s_cbranch_vccnz .LBB87_5
.LBB87_6:                               ;   in Loop: Header=BB87_3 Depth=1
	s_wait_loadcnt 0x0
	v_add_nc_u64_e32 v[30:31], s[8:9], v[30:31]
	s_and_not1_b32 vcc_lo, exec_lo, s1
	s_delay_alu instid0(VALU_DEP_1) | instskip(NEXT) | instid1(VALU_DEP_1)
	v_lshl_add_u64 v[30:31], v[0:1], 1, v[30:31]
	v_add_nc_u64_e32 v[32:33], v[30:31], v[10:11]
	v_add_nc_u64_e32 v[30:31], s[20:21], v[30:31]
	s_cbranch_vccnz .LBB87_8
; %bb.7:                                ;   in Loop: Header=BB87_3 Depth=1
	v_fma_mixlo_f16 v39, s30, v29, 0
	v_fma_mixlo_f16 v40, s30, v28, 0
	s_delay_alu instid0(VALU_DEP_3)
	v_add_nc_u64_e32 v[34:35], s[20:21], v[30:31]
	v_fma_mixlo_f16 v41, s30, v27, 0
	v_fma_mixlo_f16 v42, s30, v26, 0
	s_clause 0x3
	flat_store_b16 v[32:33], v39
	flat_store_b16 v[32:33], v40 offset:32
	flat_store_b16 v[32:33], v41 offset:64
	;; [unrolled: 1-line block ×3, first 2 shown]
	s_wait_xcnt 0x1
	v_add_nc_u64_e32 v[40:41], v[30:31], v[10:11]
	v_fma_mixlo_f16 v39, s30, v25, 0
	v_fma_mixlo_f16 v44, s30, v24, 0
	s_wait_xcnt 0x0
	v_add_nc_u64_e32 v[42:43], v[34:35], v[10:11]
	v_add_nc_u64_e32 v[34:35], s[20:21], v[34:35]
	v_fma_mixlo_f16 v45, s30, v23, 0
	v_fma_mixlo_f16 v46, s30, v22, 0
	s_clause 0x3
	flat_store_b16 v[40:41], v39
	flat_store_b16 v[40:41], v44 offset:32
	flat_store_b16 v[40:41], v45 offset:64
	;; [unrolled: 1-line block ×3, first 2 shown]
	s_wait_xcnt 0x3
	v_fma_mixlo_f16 v39, s30, v19, 0
	s_wait_xcnt 0x0
	v_fma_mixlo_f16 v40, s30, v18, 0
	v_fma_mixlo_f16 v41, s30, v17, 0
	;; [unrolled: 1-line block ×3, first 2 shown]
	v_add_nc_u64_e32 v[34:35], v[34:35], v[10:11]
	s_clause 0x3
	flat_store_b16 v[42:43], v39
	flat_store_b16 v[42:43], v40 offset:32
	flat_store_b16 v[42:43], v41 offset:64
	;; [unrolled: 1-line block ×3, first 2 shown]
	s_wait_xcnt 0x3
	v_fma_mixlo_f16 v39, s30, v15, 0
	s_wait_xcnt 0x2
	v_fma_mixlo_f16 v40, s30, v14, 0
	;; [unrolled: 2-line block ×4, first 2 shown]
	s_clause 0x3
	flat_store_b16 v[34:35], v39
	flat_store_b16 v[34:35], v40 offset:32
	flat_store_b16 v[34:35], v41 offset:64
	;; [unrolled: 1-line block ×3, first 2 shown]
	s_cbranch_execnz .LBB87_2
	s_branch .LBB87_9
.LBB87_8:                               ;   in Loop: Header=BB87_3 Depth=1
.LBB87_9:                               ;   in Loop: Header=BB87_3 Depth=1
	v_add_nc_u64_e32 v[20:21], s[16:17], v[20:21]
	s_delay_alu instid0(VALU_DEP_1) | instskip(SKIP_1) | instid1(VALU_DEP_1)
	v_lshl_add_u64 v[20:21], v[4:5], 1, v[20:21]
	s_wait_xcnt 0x0
	v_add_nc_u64_e32 v[34:35], v[20:21], v[10:11]
	v_add_nc_u64_e32 v[20:21], s[22:23], v[20:21]
	flat_load_u16 v39, v[34:35]
	s_wait_loadcnt_dscnt 0x0
	v_cvt_f32_f16_e32 v39, v39
	s_delay_alu instid0(VALU_DEP_1) | instskip(NEXT) | instid1(VALU_DEP_1)
	v_mul_f32_e32 v39, s33, v39
	v_fma_mixlo_f16 v29, s30, v29, v39
	flat_store_b16 v[32:33], v29
	flat_load_u16 v29, v[34:35] offset:32
	s_wait_loadcnt_dscnt 0x0
	v_cvt_f32_f16_e32 v29, v29
	s_delay_alu instid0(VALU_DEP_1) | instskip(NEXT) | instid1(VALU_DEP_1)
	v_mul_f32_e32 v29, s33, v29
	v_fma_mixlo_f16 v28, s30, v28, v29
	flat_store_b16 v[32:33], v28 offset:32
	flat_load_u16 v28, v[34:35] offset:64
	s_wait_loadcnt_dscnt 0x0
	v_cvt_f32_f16_e32 v28, v28
	s_delay_alu instid0(VALU_DEP_1) | instskip(NEXT) | instid1(VALU_DEP_1)
	v_mul_f32_e32 v28, s33, v28
	v_fma_mixlo_f16 v27, s30, v27, v28
	v_add_nc_u64_e32 v[28:29], v[20:21], v[10:11]
	v_add_nc_u64_e32 v[20:21], s[22:23], v[20:21]
	flat_store_b16 v[32:33], v27 offset:64
	flat_load_u16 v27, v[34:35] offset:96
	s_wait_loadcnt_dscnt 0x0
	v_cvt_f32_f16_e32 v27, v27
	s_delay_alu instid0(VALU_DEP_1) | instskip(NEXT) | instid1(VALU_DEP_1)
	v_mul_f32_e32 v27, s33, v27
	v_fma_mixlo_f16 v26, s30, v26, v27
	flat_store_b16 v[32:33], v26 offset:96
	flat_load_u16 v26, v[28:29]
	s_wait_loadcnt_dscnt 0x0
	v_cvt_f32_f16_e32 v26, v26
	s_delay_alu instid0(VALU_DEP_1) | instskip(SKIP_1) | instid1(VALU_DEP_2)
	v_mul_f32_e32 v32, s33, v26
	v_add_nc_u64_e32 v[26:27], v[30:31], v[10:11]
	v_fma_mixlo_f16 v25, s30, v25, v32
	flat_store_b16 v[26:27], v25
	flat_load_u16 v25, v[28:29] offset:32
	s_wait_loadcnt_dscnt 0x0
	v_cvt_f32_f16_e32 v25, v25
	s_delay_alu instid0(VALU_DEP_1) | instskip(NEXT) | instid1(VALU_DEP_1)
	v_mul_f32_e32 v25, s33, v25
	v_fma_mixlo_f16 v24, s30, v24, v25
	flat_store_b16 v[26:27], v24 offset:32
	flat_load_u16 v24, v[28:29] offset:64
	s_wait_loadcnt_dscnt 0x0
	v_cvt_f32_f16_e32 v24, v24
	s_delay_alu instid0(VALU_DEP_1) | instskip(NEXT) | instid1(VALU_DEP_1)
	v_mul_f32_e32 v24, s33, v24
	v_fma_mixlo_f16 v23, s30, v23, v24
	v_add_nc_u64_e32 v[24:25], v[20:21], v[10:11]
	flat_store_b16 v[26:27], v23 offset:64
	flat_load_u16 v23, v[28:29] offset:96
	s_wait_loadcnt_dscnt 0x0
	v_cvt_f32_f16_e32 v23, v23
	s_delay_alu instid0(VALU_DEP_1) | instskip(NEXT) | instid1(VALU_DEP_1)
	v_mul_f32_e32 v23, s33, v23
	v_fma_mixlo_f16 v22, s30, v22, v23
	flat_store_b16 v[26:27], v22 offset:96
	flat_load_u16 v22, v[24:25]
	s_wait_loadcnt_dscnt 0x0
	v_cvt_f32_f16_e32 v26, v22
	v_add_nc_u64_e32 v[22:23], s[20:21], v[30:31]
	s_delay_alu instid0(VALU_DEP_2) | instskip(NEXT) | instid1(VALU_DEP_2)
	v_mul_f32_e32 v28, s33, v26
	v_add_nc_u64_e32 v[26:27], v[22:23], v[10:11]
	s_delay_alu instid0(VALU_DEP_2) | instskip(SKIP_4) | instid1(VALU_DEP_1)
	v_fma_mixlo_f16 v19, s30, v19, v28
	flat_store_b16 v[26:27], v19
	flat_load_u16 v19, v[24:25] offset:32
	s_wait_loadcnt_dscnt 0x0
	v_cvt_f32_f16_e32 v19, v19
	v_mul_f32_e32 v19, s33, v19
	s_delay_alu instid0(VALU_DEP_1) | instskip(SKIP_4) | instid1(VALU_DEP_1)
	v_fma_mixlo_f16 v18, s30, v18, v19
	flat_store_b16 v[26:27], v18 offset:32
	flat_load_u16 v18, v[24:25] offset:64
	s_wait_loadcnt_dscnt 0x0
	v_cvt_f32_f16_e32 v18, v18
	v_mul_f32_e32 v18, s33, v18
	s_delay_alu instid0(VALU_DEP_1)
	v_fma_mixlo_f16 v17, s30, v17, v18
	v_add_nc_u64_e32 v[18:19], s[22:23], v[20:21]
	flat_store_b16 v[26:27], v17 offset:64
	flat_load_u16 v17, v[24:25] offset:96
	v_add_nc_u64_e32 v[18:19], v[18:19], v[10:11]
	s_wait_loadcnt_dscnt 0x0
	v_cvt_f32_f16_e32 v17, v17
	s_delay_alu instid0(VALU_DEP_1) | instskip(NEXT) | instid1(VALU_DEP_1)
	v_mul_f32_e32 v17, s33, v17
	v_fma_mixlo_f16 v16, s30, v16, v17
	flat_store_b16 v[26:27], v16 offset:96
	flat_load_u16 v16, v[18:19]
	s_wait_loadcnt_dscnt 0x0
	v_cvt_f32_f16_e32 v20, v16
	v_add_nc_u64_e32 v[16:17], s[20:21], v[22:23]
	s_delay_alu instid0(VALU_DEP_2) | instskip(NEXT) | instid1(VALU_DEP_2)
	v_mul_f32_e32 v20, s33, v20
	v_add_nc_u64_e32 v[16:17], v[16:17], v[10:11]
	s_delay_alu instid0(VALU_DEP_2) | instskip(SKIP_4) | instid1(VALU_DEP_1)
	v_fma_mixlo_f16 v15, s30, v15, v20
	flat_store_b16 v[16:17], v15
	flat_load_u16 v15, v[18:19] offset:32
	s_wait_loadcnt_dscnt 0x0
	v_cvt_f32_f16_e32 v15, v15
	v_mul_f32_e32 v15, s33, v15
	s_delay_alu instid0(VALU_DEP_1) | instskip(SKIP_4) | instid1(VALU_DEP_1)
	v_fma_mixlo_f16 v14, s30, v14, v15
	flat_store_b16 v[16:17], v14 offset:32
	flat_load_u16 v14, v[18:19] offset:64
	s_wait_loadcnt_dscnt 0x0
	v_cvt_f32_f16_e32 v14, v14
	v_mul_f32_e32 v14, s33, v14
	s_delay_alu instid0(VALU_DEP_1) | instskip(SKIP_4) | instid1(VALU_DEP_1)
	v_fma_mixlo_f16 v13, s30, v13, v14
	flat_store_b16 v[16:17], v13 offset:64
	flat_load_u16 v13, v[18:19] offset:96
	s_wait_loadcnt_dscnt 0x0
	v_cvt_f32_f16_e32 v13, v13
	v_mul_f32_e32 v13, s33, v13
	s_delay_alu instid0(VALU_DEP_1)
	v_fma_mixlo_f16 v12, s30, v12, v13
	flat_store_b16 v[16:17], v12 offset:96
	s_branch .LBB87_2
.LBB87_10:
	s_sendmsg sendmsg(MSG_DEALLOC_VGPRS)
	s_endpgm
	.section	.rodata,"a",@progbits
	.p2align	6, 0x0
	.amdhsa_kernel _ZN12_GLOBAL__N_127rocblas_gemm_batched_kernelIfLi16ELi16ELi64ELi64ELi4ELi64ELi4ELi4ELi64ELc78ELc84EKPKDF16_S3_KPDF16_EEvlllT_PT11_llS8_llS6_PT12_llPT13_lli
		.amdhsa_group_segment_fixed_size 2048
		.amdhsa_private_segment_fixed_size 0
		.amdhsa_kernarg_size 140
		.amdhsa_user_sgpr_count 2
		.amdhsa_user_sgpr_dispatch_ptr 0
		.amdhsa_user_sgpr_queue_ptr 0
		.amdhsa_user_sgpr_kernarg_segment_ptr 1
		.amdhsa_user_sgpr_dispatch_id 0
		.amdhsa_user_sgpr_kernarg_preload_length 0
		.amdhsa_user_sgpr_kernarg_preload_offset 0
		.amdhsa_user_sgpr_private_segment_size 0
		.amdhsa_wavefront_size32 1
		.amdhsa_uses_dynamic_stack 0
		.amdhsa_enable_private_segment 0
		.amdhsa_system_sgpr_workgroup_id_x 1
		.amdhsa_system_sgpr_workgroup_id_y 1
		.amdhsa_system_sgpr_workgroup_id_z 1
		.amdhsa_system_sgpr_workgroup_info 0
		.amdhsa_system_vgpr_workitem_id 1
		.amdhsa_next_free_vgpr 80
		.amdhsa_next_free_sgpr 38
		.amdhsa_named_barrier_count 0
		.amdhsa_reserve_vcc 1
		.amdhsa_float_round_mode_32 0
		.amdhsa_float_round_mode_16_64 0
		.amdhsa_float_denorm_mode_32 3
		.amdhsa_float_denorm_mode_16_64 3
		.amdhsa_fp16_overflow 0
		.amdhsa_memory_ordered 1
		.amdhsa_forward_progress 1
		.amdhsa_inst_pref_size 21
		.amdhsa_round_robin_scheduling 0
		.amdhsa_exception_fp_ieee_invalid_op 0
		.amdhsa_exception_fp_denorm_src 0
		.amdhsa_exception_fp_ieee_div_zero 0
		.amdhsa_exception_fp_ieee_overflow 0
		.amdhsa_exception_fp_ieee_underflow 0
		.amdhsa_exception_fp_ieee_inexact 0
		.amdhsa_exception_int_div_zero 0
	.end_amdhsa_kernel
	.section	.text._ZN12_GLOBAL__N_127rocblas_gemm_batched_kernelIfLi16ELi16ELi64ELi64ELi4ELi64ELi4ELi4ELi64ELc78ELc84EKPKDF16_S3_KPDF16_EEvlllT_PT11_llS8_llS6_PT12_llPT13_lli,"axG",@progbits,_ZN12_GLOBAL__N_127rocblas_gemm_batched_kernelIfLi16ELi16ELi64ELi64ELi4ELi64ELi4ELi4ELi64ELc78ELc84EKPKDF16_S3_KPDF16_EEvlllT_PT11_llS8_llS6_PT12_llPT13_lli,comdat
.Lfunc_end87:
	.size	_ZN12_GLOBAL__N_127rocblas_gemm_batched_kernelIfLi16ELi16ELi64ELi64ELi4ELi64ELi4ELi4ELi64ELc78ELc84EKPKDF16_S3_KPDF16_EEvlllT_PT11_llS8_llS6_PT12_llPT13_lli, .Lfunc_end87-_ZN12_GLOBAL__N_127rocblas_gemm_batched_kernelIfLi16ELi16ELi64ELi64ELi4ELi64ELi4ELi4ELi64ELc78ELc84EKPKDF16_S3_KPDF16_EEvlllT_PT11_llS8_llS6_PT12_llPT13_lli
                                        ; -- End function
	.set _ZN12_GLOBAL__N_127rocblas_gemm_batched_kernelIfLi16ELi16ELi64ELi64ELi4ELi64ELi4ELi4ELi64ELc78ELc84EKPKDF16_S3_KPDF16_EEvlllT_PT11_llS8_llS6_PT12_llPT13_lli.num_vgpr, 80
	.set _ZN12_GLOBAL__N_127rocblas_gemm_batched_kernelIfLi16ELi16ELi64ELi64ELi4ELi64ELi4ELi4ELi64ELc78ELc84EKPKDF16_S3_KPDF16_EEvlllT_PT11_llS8_llS6_PT12_llPT13_lli.num_agpr, 0
	.set _ZN12_GLOBAL__N_127rocblas_gemm_batched_kernelIfLi16ELi16ELi64ELi64ELi4ELi64ELi4ELi4ELi64ELc78ELc84EKPKDF16_S3_KPDF16_EEvlllT_PT11_llS8_llS6_PT12_llPT13_lli.numbered_sgpr, 38
	.set _ZN12_GLOBAL__N_127rocblas_gemm_batched_kernelIfLi16ELi16ELi64ELi64ELi4ELi64ELi4ELi4ELi64ELc78ELc84EKPKDF16_S3_KPDF16_EEvlllT_PT11_llS8_llS6_PT12_llPT13_lli.num_named_barrier, 0
	.set _ZN12_GLOBAL__N_127rocblas_gemm_batched_kernelIfLi16ELi16ELi64ELi64ELi4ELi64ELi4ELi4ELi64ELc78ELc84EKPKDF16_S3_KPDF16_EEvlllT_PT11_llS8_llS6_PT12_llPT13_lli.private_seg_size, 0
	.set _ZN12_GLOBAL__N_127rocblas_gemm_batched_kernelIfLi16ELi16ELi64ELi64ELi4ELi64ELi4ELi4ELi64ELc78ELc84EKPKDF16_S3_KPDF16_EEvlllT_PT11_llS8_llS6_PT12_llPT13_lli.uses_vcc, 1
	.set _ZN12_GLOBAL__N_127rocblas_gemm_batched_kernelIfLi16ELi16ELi64ELi64ELi4ELi64ELi4ELi4ELi64ELc78ELc84EKPKDF16_S3_KPDF16_EEvlllT_PT11_llS8_llS6_PT12_llPT13_lli.uses_flat_scratch, 1
	.set _ZN12_GLOBAL__N_127rocblas_gemm_batched_kernelIfLi16ELi16ELi64ELi64ELi4ELi64ELi4ELi4ELi64ELc78ELc84EKPKDF16_S3_KPDF16_EEvlllT_PT11_llS8_llS6_PT12_llPT13_lli.has_dyn_sized_stack, 0
	.set _ZN12_GLOBAL__N_127rocblas_gemm_batched_kernelIfLi16ELi16ELi64ELi64ELi4ELi64ELi4ELi4ELi64ELc78ELc84EKPKDF16_S3_KPDF16_EEvlllT_PT11_llS8_llS6_PT12_llPT13_lli.has_recursion, 0
	.set _ZN12_GLOBAL__N_127rocblas_gemm_batched_kernelIfLi16ELi16ELi64ELi64ELi4ELi64ELi4ELi4ELi64ELc78ELc84EKPKDF16_S3_KPDF16_EEvlllT_PT11_llS8_llS6_PT12_llPT13_lli.has_indirect_call, 0
	.section	.AMDGPU.csdata,"",@progbits
; Kernel info:
; codeLenInByte = 2612
; TotalNumSgprs: 40
; NumVgprs: 80
; ScratchSize: 0
; MemoryBound: 0
; FloatMode: 240
; IeeeMode: 1
; LDSByteSize: 2048 bytes/workgroup (compile time only)
; SGPRBlocks: 0
; VGPRBlocks: 4
; NumSGPRsForWavesPerEU: 40
; NumVGPRsForWavesPerEU: 80
; NamedBarCnt: 0
; Occupancy: 12
; WaveLimiterHint : 1
; COMPUTE_PGM_RSRC2:SCRATCH_EN: 0
; COMPUTE_PGM_RSRC2:USER_SGPR: 2
; COMPUTE_PGM_RSRC2:TRAP_HANDLER: 0
; COMPUTE_PGM_RSRC2:TGID_X_EN: 1
; COMPUTE_PGM_RSRC2:TGID_Y_EN: 1
; COMPUTE_PGM_RSRC2:TGID_Z_EN: 1
; COMPUTE_PGM_RSRC2:TIDIG_COMP_CNT: 1
	.section	.text._ZN12_GLOBAL__N_127rocblas_gemm_batched_kernelIfLi16ELi16ELi64ELi64ELi4ELi64ELi4ELi4ELi64ELc84ELc84EKPKDF16_S3_KPDF16_EEvlllT_PT11_llS8_llS6_PT12_llPT13_lli,"axG",@progbits,_ZN12_GLOBAL__N_127rocblas_gemm_batched_kernelIfLi16ELi16ELi64ELi64ELi4ELi64ELi4ELi4ELi64ELc84ELc84EKPKDF16_S3_KPDF16_EEvlllT_PT11_llS8_llS6_PT12_llPT13_lli,comdat
	.globl	_ZN12_GLOBAL__N_127rocblas_gemm_batched_kernelIfLi16ELi16ELi64ELi64ELi4ELi64ELi4ELi4ELi64ELc84ELc84EKPKDF16_S3_KPDF16_EEvlllT_PT11_llS8_llS6_PT12_llPT13_lli ; -- Begin function _ZN12_GLOBAL__N_127rocblas_gemm_batched_kernelIfLi16ELi16ELi64ELi64ELi4ELi64ELi4ELi4ELi64ELc84ELc84EKPKDF16_S3_KPDF16_EEvlllT_PT11_llS8_llS6_PT12_llPT13_lli
	.p2align	8
	.type	_ZN12_GLOBAL__N_127rocblas_gemm_batched_kernelIfLi16ELi16ELi64ELi64ELi4ELi64ELi4ELi4ELi64ELc84ELc84EKPKDF16_S3_KPDF16_EEvlllT_PT11_llS8_llS6_PT12_llPT13_lli,@function
_ZN12_GLOBAL__N_127rocblas_gemm_batched_kernelIfLi16ELi16ELi64ELi64ELi4ELi64ELi4ELi4ELi64ELc84ELc84EKPKDF16_S3_KPDF16_EEvlllT_PT11_llS8_llS6_PT12_llPT13_lli: ; @_ZN12_GLOBAL__N_127rocblas_gemm_batched_kernelIfLi16ELi16ELi64ELi64ELi4ELi64ELi4ELi4ELi64ELc84ELc84EKPKDF16_S3_KPDF16_EEvlllT_PT11_llS8_llS6_PT12_llPT13_lli
; %bb.0:
	s_load_b32 s31, s[0:1], 0x88
	s_bfe_u32 s2, ttmp6, 0x40014
	s_lshr_b32 s3, ttmp7, 16
	s_add_co_i32 s2, s2, 1
	s_bfe_u32 s4, ttmp6, 0x40008
	s_mul_i32 s2, s3, s2
	s_getreg_b32 s28, hwreg(HW_REG_IB_STS2, 6, 4)
	s_add_co_i32 s4, s4, s2
	s_cmp_eq_u32 s28, 0
	s_cselect_b32 s2, s3, s4
	s_mov_b32 s3, 0
	s_wait_kmcnt 0x0
	s_cmp_ge_i32 s2, s31
	s_cbranch_scc1 .LBB88_10
; %bb.1:
	v_bfe_u32 v2, v0, 10, 10
	v_and_b32_e32 v6, 0x3ff, v0
	s_bfe_u32 s30, ttmp6, 0x4000c
	s_bfe_u32 s34, ttmp6, 0x40010
	s_clause 0x2
	s_load_b256 s[4:11], s[0:1], 0x20
	s_load_b128 s[24:27], s[0:1], 0x40
	s_load_b128 s[20:23], s[0:1], 0x78
	v_dual_mov_b32 v3, 0 :: v_dual_lshlrev_b32 v14, 4, v2
	s_and_b32 s33, ttmp7, 0xffff
	s_add_co_i32 s30, s30, 1
	s_add_co_i32 s34, s34, 1
	s_and_b32 s29, ttmp6, 15
	s_mul_i32 s30, ttmp9, s30
	s_mul_i32 s34, s33, s34
	s_bfe_u32 s35, ttmp6, 0x40004
	v_dual_add_nc_u32 v7, v14, v6 :: v_dual_bitop2_b32 v16, 3, v0 bitop3:0x40
	s_add_co_i32 s29, s29, s30
	s_add_co_i32 s35, s35, s34
	s_cmp_eq_u32 s28, 0
	s_delay_alu instid0(VALU_DEP_1)
	v_dual_lshrrev_b32 v8, 2, v7 :: v_dual_bitop2_b32 v15, 63, v7 bitop3:0x40
	s_cselect_b32 s28, ttmp9, s29
	s_cselect_b32 s30, s33, s35
	s_ashr_i32 s29, s28, 31
	s_load_b256 s[12:19], s[0:1], 0x58
	s_lshl_b64 s[34:35], s[28:29], 6
	s_delay_alu instid0(SALU_CYCLE_1)
	v_dual_mov_b32 v9, v3 :: v_dual_bitop2_b32 v0, s34, v15 bitop3:0x54
	v_mov_b32_e32 v1, s35
	s_load_b32 s33, s[0:1], 0x50
	v_add_nc_u32_e32 v39, 0x400, v14
	s_wait_kmcnt 0x0
	v_mad_nc_u64_u32 v[10:11], s24, v16, v[8:9]
	v_lshlrev_b32_e32 v9, 2, v15
	v_mul_u64_e32 v[12:13], s[6:7], v[0:1]
	s_lshl_b32 s6, s30, 6
	s_mov_b32 s7, s3
	s_load_b96 s[28:30], s[0:1], 0x10
	v_add_nc_u64_e32 v[4:5], s[6:7], v[2:3]
	v_dual_lshrrev_b32 v2, 6, v7 :: v_dual_lshlrev_b32 v7, 2, v16
	v_lshlrev_b32_e32 v38, 2, v6
	v_mad_u32 v11, s25, v16, v11
	s_delay_alu instid0(VALU_DEP_3)
	v_lshl_or_b32 v36, v2, 8, v9
	v_mul_u64_e32 v[0:1], s[20:21], v[4:5]
	v_mul_u64_e32 v[4:5], s[14:15], v[4:5]
	v_lshl_or_b32 v15, v8, 4, v7
	v_dual_mov_b32 v7, v3 :: v_dual_lshlrev_b32 v2, 1, v2
	s_cmp_eq_f32 s33, 0
	s_delay_alu instid0(VALU_DEP_2)
	v_add_nc_u32_e32 v37, 0x400, v15
	v_add_nc_u64_e32 v[8:9], s[6:7], v[10:11]
	s_wait_xcnt 0x0
	s_cselect_b32 s1, -1, 0
	v_add_nc_u64_e32 v[10:11], s[34:35], v[6:7]
	s_wait_kmcnt 0x0
	v_cmp_gt_i64_e64 s0, s[28:29], 0
	s_lshl_b64 s[6:7], s[8:9], 1
	s_lshl_b64 s[20:21], s[20:21], 4
	;; [unrolled: 1-line block ×3, first 2 shown]
	v_lshlrev_b64_e32 v[6:7], 1, v[8:9]
	s_lshl_b64 s[8:9], s[22:23], 1
	v_lshlrev_b64_e32 v[10:11], 1, v[10:11]
	s_lshl_b64 s[14:15], s[20:21], 1
	s_lshl_b64 s[16:17], s[16:17], 1
	v_lshl_add_u64 v[8:9], v[12:13], 1, s[6:7]
	v_cndmask_b32_e64 v12, 0, 1, s0
	v_lshl_add_u64 v[6:7], s[26:27], 1, v[6:7]
	s_lshl_b64 s[6:7], s[24:25], 3
	s_lshl_b64 s[20:21], s[34:35], 1
	v_add_nc_u64_e32 v[8:9], v[8:9], v[2:3]
	v_cmp_ne_u32_e64 s0, 1, v12
	s_branch .LBB88_3
.LBB88_2:                               ;   in Loop: Header=BB88_3 Depth=1
	s_add_co_i32 s2, s2, 0x10000
	s_delay_alu instid0(SALU_CYCLE_1)
	s_cmp_lt_i32 s2, s31
	s_cbranch_scc0 .LBB88_10
.LBB88_3:                               ; =>This Loop Header: Depth=1
                                        ;     Child Loop BB88_5 Depth 2
	s_wait_xcnt 0x0
	v_dual_mov_b32 v2, s2 :: v_dual_mov_b32 v29, 0
	v_dual_mov_b32 v28, 0 :: v_dual_mov_b32 v27, 0
	;; [unrolled: 1-line block ×3, first 2 shown]
	s_clause 0x1
	global_load_b64 v[20:21], v2, s[12:13] scale_offset
	global_load_b64 v[30:31], v2, s[18:19] scale_offset
	v_dual_mov_b32 v24, 0 :: v_dual_mov_b32 v23, 0
	v_dual_mov_b32 v22, 0 :: v_dual_mov_b32 v19, 0
	;; [unrolled: 1-line block ×5, first 2 shown]
	v_mov_b32_e32 v12, 0
	s_and_b32 vcc_lo, exec_lo, s0
	s_cbranch_vccnz .LBB88_6
; %bb.4:                                ;   in Loop: Header=BB88_3 Depth=1
	s_lshl_b64 s[22:23], s[2:3], 3
	v_mov_b32_e32 v12, 0
	s_add_nc_u64 s[24:25], s[10:11], s[22:23]
	s_add_nc_u64 s[22:23], s[4:5], s[22:23]
	s_clause 0x1
	global_load_b64 v[28:29], v3, s[24:25]
	global_load_b64 v[34:35], v3, s[22:23]
	s_wait_xcnt 0x0
	s_mov_b64 s[22:23], 0
	v_dual_mov_b32 v13, v12 :: v_dual_mov_b32 v14, v12
	v_dual_mov_b32 v15, v12 :: v_dual_mov_b32 v16, v12
	;; [unrolled: 1-line block ×6, first 2 shown]
	v_mov_b32_e32 v27, v12
	s_wait_loadcnt 0x1
	v_add_nc_u64_e32 v[32:33], v[28:29], v[6:7]
	s_wait_loadcnt 0x0
	v_add_nc_u64_e32 v[34:35], v[34:35], v[8:9]
	v_dual_mov_b32 v28, v12 :: v_dual_mov_b32 v29, v12
.LBB88_5:                               ;   Parent Loop BB88_3 Depth=1
                                        ; =>  This Inner Loop Header: Depth=2
	flat_load_u16 v2, v[34:35]
	flat_load_u16 v40, v[32:33]
	s_add_nc_u64 s[22:23], s[22:23], 4
	s_wait_xcnt 0x0
	v_add_nc_u64_e32 v[32:33], s[6:7], v[32:33]
	v_cmp_lt_i64_e64 s24, s[22:23], s[28:29]
	v_add_nc_u64_e32 v[34:35], 8, v[34:35]
	s_and_b32 vcc_lo, exec_lo, s24
	s_wait_loadcnt_dscnt 0x101
	v_cvt_f32_f16_e32 v2, v2
	s_wait_loadcnt_dscnt 0x0
	v_cvt_f32_f16_e32 v40, v40
	ds_store_b32 v36, v2
	ds_store_b32 v37, v40
	s_wait_dscnt 0x0
	s_barrier_signal -1
	s_barrier_wait -1
	ds_load_2addr_b32 v[56:57], v38 offset1:16
	ds_load_2addr_b32 v[58:59], v38 offset0:64 offset1:80
	ds_load_2addr_b32 v[60:61], v38 offset0:128 offset1:144
	;; [unrolled: 1-line block ×6, first 2 shown]
	ds_load_b128 v[40:43], v39
	ds_load_b128 v[44:47], v39 offset:256
	ds_load_2addr_b32 v[70:71], v38 offset0:224 offset1:240
	ds_load_b128 v[48:51], v39 offset:512
	ds_load_b128 v[52:55], v39 offset:768
	s_wait_dscnt 0x0
	s_barrier_signal -1
	s_barrier_wait -1
	v_dual_mov_b32 v72, v57 :: v_dual_mov_b32 v73, v56
	v_dual_mov_b32 v56, v59 :: v_dual_mov_b32 v57, v58
	;; [unrolled: 1-line block ×6, first 2 shown]
	v_pk_fma_f32 v[28:29], v[72:73], v[40:41], v[28:29] op_sel_hi:[1,0,1]
	v_pk_fma_f32 v[24:25], v[72:73], v[44:45], v[24:25] op_sel_hi:[1,0,1]
	s_delay_alu instid0(VALU_DEP_4)
	v_pk_fma_f32 v[26:27], v[62:63], v[40:41], v[26:27] op_sel_hi:[1,0,1]
	v_pk_fma_f32 v[18:19], v[72:73], v[48:49], v[18:19] op_sel_hi:[1,0,1]
	;; [unrolled: 1-line block ×6, first 2 shown]
	v_dual_mov_b32 v66, v69 :: v_dual_mov_b32 v67, v68
	v_pk_fma_f32 v[28:29], v[56:57], v[40:41], v[28:29] op_sel:[0,1,0]
	v_pk_fma_f32 v[26:27], v[64:65], v[40:41], v[26:27] op_sel:[0,1,0]
	;; [unrolled: 1-line block ×8, first 2 shown]
	v_dual_mov_b32 v2, v43 :: v_dual_mov_b32 v68, v71
	v_dual_mov_b32 v69, v70 :: v_dual_mov_b32 v70, v47
	;; [unrolled: 1-line block ×3, first 2 shown]
	v_pk_fma_f32 v[28:29], v[58:59], v[42:43], v[28:29] op_sel_hi:[1,0,1]
	v_pk_fma_f32 v[26:27], v[66:67], v[42:43], v[26:27] op_sel_hi:[1,0,1]
	;; [unrolled: 1-line block ×16, first 2 shown]
	s_cbranch_vccnz .LBB88_5
.LBB88_6:                               ;   in Loop: Header=BB88_3 Depth=1
	s_wait_loadcnt 0x0
	v_add_nc_u64_e32 v[30:31], s[8:9], v[30:31]
	s_and_not1_b32 vcc_lo, exec_lo, s1
	s_delay_alu instid0(VALU_DEP_1) | instskip(NEXT) | instid1(VALU_DEP_1)
	v_lshl_add_u64 v[30:31], v[0:1], 1, v[30:31]
	v_add_nc_u64_e32 v[32:33], v[30:31], v[10:11]
	v_add_nc_u64_e32 v[30:31], s[14:15], v[30:31]
	s_cbranch_vccnz .LBB88_8
; %bb.7:                                ;   in Loop: Header=BB88_3 Depth=1
	s_wait_xcnt 0x0
	v_fma_mixlo_f16 v2, s30, v29, 0
	v_fma_mixlo_f16 v40, s30, v28, 0
	s_delay_alu instid0(VALU_DEP_3)
	v_add_nc_u64_e32 v[34:35], s[14:15], v[30:31]
	v_fma_mixlo_f16 v41, s30, v27, 0
	v_fma_mixlo_f16 v42, s30, v26, 0
	s_clause 0x3
	flat_store_b16 v[32:33], v2
	flat_store_b16 v[32:33], v40 offset:32
	flat_store_b16 v[32:33], v41 offset:64
	;; [unrolled: 1-line block ×3, first 2 shown]
	s_wait_xcnt 0x1
	v_add_nc_u64_e32 v[40:41], v[30:31], v[10:11]
	v_fma_mixlo_f16 v2, s30, v25, 0
	v_fma_mixlo_f16 v44, s30, v24, 0
	s_wait_xcnt 0x0
	v_add_nc_u64_e32 v[42:43], v[34:35], v[10:11]
	v_add_nc_u64_e32 v[34:35], s[14:15], v[34:35]
	v_fma_mixlo_f16 v45, s30, v23, 0
	v_fma_mixlo_f16 v46, s30, v22, 0
	s_clause 0x3
	flat_store_b16 v[40:41], v2
	flat_store_b16 v[40:41], v44 offset:32
	flat_store_b16 v[40:41], v45 offset:64
	;; [unrolled: 1-line block ×3, first 2 shown]
	s_wait_xcnt 0x3
	v_fma_mixlo_f16 v2, s30, v19, 0
	s_wait_xcnt 0x0
	v_fma_mixlo_f16 v40, s30, v18, 0
	v_fma_mixlo_f16 v41, s30, v17, 0
	;; [unrolled: 1-line block ×3, first 2 shown]
	v_add_nc_u64_e32 v[34:35], v[34:35], v[10:11]
	s_clause 0x3
	flat_store_b16 v[42:43], v2
	flat_store_b16 v[42:43], v40 offset:32
	flat_store_b16 v[42:43], v41 offset:64
	;; [unrolled: 1-line block ×3, first 2 shown]
	s_wait_xcnt 0x3
	v_fma_mixlo_f16 v2, s30, v15, 0
	s_wait_xcnt 0x2
	v_fma_mixlo_f16 v40, s30, v14, 0
	;; [unrolled: 2-line block ×4, first 2 shown]
	s_clause 0x3
	flat_store_b16 v[34:35], v2
	flat_store_b16 v[34:35], v40 offset:32
	flat_store_b16 v[34:35], v41 offset:64
	flat_store_b16 v[34:35], v42 offset:96
	s_cbranch_execnz .LBB88_2
	s_branch .LBB88_9
.LBB88_8:                               ;   in Loop: Header=BB88_3 Depth=1
.LBB88_9:                               ;   in Loop: Header=BB88_3 Depth=1
	v_add_nc_u64_e32 v[20:21], s[16:17], v[20:21]
	s_delay_alu instid0(VALU_DEP_1) | instskip(SKIP_1) | instid1(VALU_DEP_1)
	v_lshl_add_u64 v[20:21], v[4:5], 1, v[20:21]
	s_wait_xcnt 0x0
	v_add_nc_u64_e32 v[34:35], v[20:21], v[10:11]
	v_add_nc_u64_e32 v[20:21], s[20:21], v[20:21]
	flat_load_u16 v2, v[34:35]
	s_wait_loadcnt_dscnt 0x0
	v_cvt_f32_f16_e32 v2, v2
	s_delay_alu instid0(VALU_DEP_1) | instskip(NEXT) | instid1(VALU_DEP_1)
	v_mul_f32_e32 v2, s33, v2
	v_fma_mixlo_f16 v2, s30, v29, v2
	flat_store_b16 v[32:33], v2
	flat_load_u16 v2, v[34:35] offset:32
	s_wait_loadcnt_dscnt 0x0
	v_cvt_f32_f16_e32 v2, v2
	s_delay_alu instid0(VALU_DEP_1) | instskip(NEXT) | instid1(VALU_DEP_1)
	v_mul_f32_e32 v2, s33, v2
	v_fma_mixlo_f16 v2, s30, v28, v2
	v_add_nc_u64_e32 v[28:29], v[20:21], v[10:11]
	v_add_nc_u64_e32 v[20:21], s[20:21], v[20:21]
	flat_store_b16 v[32:33], v2 offset:32
	flat_load_u16 v2, v[34:35] offset:64
	s_wait_loadcnt_dscnt 0x0
	v_cvt_f32_f16_e32 v2, v2
	s_delay_alu instid0(VALU_DEP_1) | instskip(NEXT) | instid1(VALU_DEP_1)
	v_mul_f32_e32 v2, s33, v2
	v_fma_mixlo_f16 v2, s30, v27, v2
	flat_store_b16 v[32:33], v2 offset:64
	flat_load_u16 v2, v[34:35] offset:96
	s_wait_loadcnt_dscnt 0x0
	v_cvt_f32_f16_e32 v2, v2
	s_delay_alu instid0(VALU_DEP_1) | instskip(NEXT) | instid1(VALU_DEP_1)
	v_mul_f32_e32 v2, s33, v2
	v_fma_mixlo_f16 v2, s30, v26, v2
	v_add_nc_u64_e32 v[26:27], v[30:31], v[10:11]
	flat_store_b16 v[32:33], v2 offset:96
	flat_load_u16 v2, v[28:29]
	s_wait_loadcnt_dscnt 0x0
	v_cvt_f32_f16_e32 v2, v2
	s_delay_alu instid0(VALU_DEP_1) | instskip(NEXT) | instid1(VALU_DEP_1)
	v_mul_f32_e32 v2, s33, v2
	v_fma_mixlo_f16 v2, s30, v25, v2
	flat_store_b16 v[26:27], v2
	flat_load_u16 v2, v[28:29] offset:32
	s_wait_loadcnt_dscnt 0x0
	v_cvt_f32_f16_e32 v2, v2
	s_delay_alu instid0(VALU_DEP_1) | instskip(NEXT) | instid1(VALU_DEP_1)
	v_mul_f32_e32 v2, s33, v2
	v_fma_mixlo_f16 v2, s30, v24, v2
	v_add_nc_u64_e32 v[24:25], v[20:21], v[10:11]
	flat_store_b16 v[26:27], v2 offset:32
	flat_load_u16 v2, v[28:29] offset:64
	s_wait_loadcnt_dscnt 0x0
	v_cvt_f32_f16_e32 v2, v2
	s_delay_alu instid0(VALU_DEP_1) | instskip(NEXT) | instid1(VALU_DEP_1)
	v_mul_f32_e32 v2, s33, v2
	v_fma_mixlo_f16 v2, s30, v23, v2
	flat_store_b16 v[26:27], v2 offset:64
	flat_load_u16 v2, v[28:29] offset:96
	s_wait_loadcnt_dscnt 0x0
	v_cvt_f32_f16_e32 v2, v2
	s_delay_alu instid0(VALU_DEP_1) | instskip(NEXT) | instid1(VALU_DEP_1)
	v_mul_f32_e32 v2, s33, v2
	v_fma_mixlo_f16 v2, s30, v22, v2
	v_add_nc_u64_e32 v[22:23], s[14:15], v[30:31]
	flat_store_b16 v[26:27], v2 offset:96
	flat_load_u16 v2, v[24:25]
	v_add_nc_u64_e32 v[26:27], v[22:23], v[10:11]
	s_wait_loadcnt_dscnt 0x0
	v_cvt_f32_f16_e32 v2, v2
	s_delay_alu instid0(VALU_DEP_1) | instskip(NEXT) | instid1(VALU_DEP_1)
	v_mul_f32_e32 v2, s33, v2
	v_fma_mixlo_f16 v2, s30, v19, v2
	flat_store_b16 v[26:27], v2
	flat_load_u16 v2, v[24:25] offset:32
	s_wait_loadcnt_dscnt 0x0
	v_cvt_f32_f16_e32 v2, v2
	s_delay_alu instid0(VALU_DEP_1) | instskip(NEXT) | instid1(VALU_DEP_1)
	v_mul_f32_e32 v2, s33, v2
	v_fma_mixlo_f16 v2, s30, v18, v2
	v_add_nc_u64_e32 v[18:19], s[20:21], v[20:21]
	flat_store_b16 v[26:27], v2 offset:32
	flat_load_u16 v2, v[24:25] offset:64
	v_add_nc_u64_e32 v[18:19], v[18:19], v[10:11]
	s_wait_loadcnt_dscnt 0x0
	v_cvt_f32_f16_e32 v2, v2
	s_delay_alu instid0(VALU_DEP_1) | instskip(NEXT) | instid1(VALU_DEP_1)
	v_mul_f32_e32 v2, s33, v2
	v_fma_mixlo_f16 v2, s30, v17, v2
	flat_store_b16 v[26:27], v2 offset:64
	flat_load_u16 v2, v[24:25] offset:96
	s_wait_loadcnt_dscnt 0x0
	v_cvt_f32_f16_e32 v2, v2
	s_delay_alu instid0(VALU_DEP_1) | instskip(NEXT) | instid1(VALU_DEP_1)
	v_mul_f32_e32 v2, s33, v2
	v_fma_mixlo_f16 v2, s30, v16, v2
	v_add_nc_u64_e32 v[16:17], s[14:15], v[22:23]
	flat_store_b16 v[26:27], v2 offset:96
	flat_load_u16 v2, v[18:19]
	v_add_nc_u64_e32 v[16:17], v[16:17], v[10:11]
	s_wait_loadcnt_dscnt 0x0
	v_cvt_f32_f16_e32 v2, v2
	s_delay_alu instid0(VALU_DEP_1) | instskip(NEXT) | instid1(VALU_DEP_1)
	v_mul_f32_e32 v2, s33, v2
	v_fma_mixlo_f16 v2, s30, v15, v2
	flat_store_b16 v[16:17], v2
	flat_load_u16 v2, v[18:19] offset:32
	s_wait_loadcnt_dscnt 0x0
	v_cvt_f32_f16_e32 v2, v2
	s_delay_alu instid0(VALU_DEP_1) | instskip(NEXT) | instid1(VALU_DEP_1)
	v_mul_f32_e32 v2, s33, v2
	v_fma_mixlo_f16 v2, s30, v14, v2
	flat_store_b16 v[16:17], v2 offset:32
	flat_load_u16 v2, v[18:19] offset:64
	s_wait_loadcnt_dscnt 0x0
	v_cvt_f32_f16_e32 v2, v2
	s_delay_alu instid0(VALU_DEP_1) | instskip(NEXT) | instid1(VALU_DEP_1)
	v_mul_f32_e32 v2, s33, v2
	v_fma_mixlo_f16 v2, s30, v13, v2
	flat_store_b16 v[16:17], v2 offset:64
	;; [unrolled: 7-line block ×3, first 2 shown]
	s_branch .LBB88_2
.LBB88_10:
	s_sendmsg sendmsg(MSG_DEALLOC_VGPRS)
	s_endpgm
	.section	.rodata,"a",@progbits
	.p2align	6, 0x0
	.amdhsa_kernel _ZN12_GLOBAL__N_127rocblas_gemm_batched_kernelIfLi16ELi16ELi64ELi64ELi4ELi64ELi4ELi4ELi64ELc84ELc84EKPKDF16_S3_KPDF16_EEvlllT_PT11_llS8_llS6_PT12_llPT13_lli
		.amdhsa_group_segment_fixed_size 2048
		.amdhsa_private_segment_fixed_size 0
		.amdhsa_kernarg_size 140
		.amdhsa_user_sgpr_count 2
		.amdhsa_user_sgpr_dispatch_ptr 0
		.amdhsa_user_sgpr_queue_ptr 0
		.amdhsa_user_sgpr_kernarg_segment_ptr 1
		.amdhsa_user_sgpr_dispatch_id 0
		.amdhsa_user_sgpr_kernarg_preload_length 0
		.amdhsa_user_sgpr_kernarg_preload_offset 0
		.amdhsa_user_sgpr_private_segment_size 0
		.amdhsa_wavefront_size32 1
		.amdhsa_uses_dynamic_stack 0
		.amdhsa_enable_private_segment 0
		.amdhsa_system_sgpr_workgroup_id_x 1
		.amdhsa_system_sgpr_workgroup_id_y 1
		.amdhsa_system_sgpr_workgroup_id_z 1
		.amdhsa_system_sgpr_workgroup_info 0
		.amdhsa_system_vgpr_workitem_id 1
		.amdhsa_next_free_vgpr 78
		.amdhsa_next_free_sgpr 36
		.amdhsa_named_barrier_count 0
		.amdhsa_reserve_vcc 1
		.amdhsa_float_round_mode_32 0
		.amdhsa_float_round_mode_16_64 0
		.amdhsa_float_denorm_mode_32 3
		.amdhsa_float_denorm_mode_16_64 3
		.amdhsa_fp16_overflow 0
		.amdhsa_memory_ordered 1
		.amdhsa_forward_progress 1
		.amdhsa_inst_pref_size 21
		.amdhsa_round_robin_scheduling 0
		.amdhsa_exception_fp_ieee_invalid_op 0
		.amdhsa_exception_fp_denorm_src 0
		.amdhsa_exception_fp_ieee_div_zero 0
		.amdhsa_exception_fp_ieee_overflow 0
		.amdhsa_exception_fp_ieee_underflow 0
		.amdhsa_exception_fp_ieee_inexact 0
		.amdhsa_exception_int_div_zero 0
	.end_amdhsa_kernel
	.section	.text._ZN12_GLOBAL__N_127rocblas_gemm_batched_kernelIfLi16ELi16ELi64ELi64ELi4ELi64ELi4ELi4ELi64ELc84ELc84EKPKDF16_S3_KPDF16_EEvlllT_PT11_llS8_llS6_PT12_llPT13_lli,"axG",@progbits,_ZN12_GLOBAL__N_127rocblas_gemm_batched_kernelIfLi16ELi16ELi64ELi64ELi4ELi64ELi4ELi4ELi64ELc84ELc84EKPKDF16_S3_KPDF16_EEvlllT_PT11_llS8_llS6_PT12_llPT13_lli,comdat
.Lfunc_end88:
	.size	_ZN12_GLOBAL__N_127rocblas_gemm_batched_kernelIfLi16ELi16ELi64ELi64ELi4ELi64ELi4ELi4ELi64ELc84ELc84EKPKDF16_S3_KPDF16_EEvlllT_PT11_llS8_llS6_PT12_llPT13_lli, .Lfunc_end88-_ZN12_GLOBAL__N_127rocblas_gemm_batched_kernelIfLi16ELi16ELi64ELi64ELi4ELi64ELi4ELi4ELi64ELc84ELc84EKPKDF16_S3_KPDF16_EEvlllT_PT11_llS8_llS6_PT12_llPT13_lli
                                        ; -- End function
	.set _ZN12_GLOBAL__N_127rocblas_gemm_batched_kernelIfLi16ELi16ELi64ELi64ELi4ELi64ELi4ELi4ELi64ELc84ELc84EKPKDF16_S3_KPDF16_EEvlllT_PT11_llS8_llS6_PT12_llPT13_lli.num_vgpr, 78
	.set _ZN12_GLOBAL__N_127rocblas_gemm_batched_kernelIfLi16ELi16ELi64ELi64ELi4ELi64ELi4ELi4ELi64ELc84ELc84EKPKDF16_S3_KPDF16_EEvlllT_PT11_llS8_llS6_PT12_llPT13_lli.num_agpr, 0
	.set _ZN12_GLOBAL__N_127rocblas_gemm_batched_kernelIfLi16ELi16ELi64ELi64ELi4ELi64ELi4ELi4ELi64ELc84ELc84EKPKDF16_S3_KPDF16_EEvlllT_PT11_llS8_llS6_PT12_llPT13_lli.numbered_sgpr, 36
	.set _ZN12_GLOBAL__N_127rocblas_gemm_batched_kernelIfLi16ELi16ELi64ELi64ELi4ELi64ELi4ELi4ELi64ELc84ELc84EKPKDF16_S3_KPDF16_EEvlllT_PT11_llS8_llS6_PT12_llPT13_lli.num_named_barrier, 0
	.set _ZN12_GLOBAL__N_127rocblas_gemm_batched_kernelIfLi16ELi16ELi64ELi64ELi4ELi64ELi4ELi4ELi64ELc84ELc84EKPKDF16_S3_KPDF16_EEvlllT_PT11_llS8_llS6_PT12_llPT13_lli.private_seg_size, 0
	.set _ZN12_GLOBAL__N_127rocblas_gemm_batched_kernelIfLi16ELi16ELi64ELi64ELi4ELi64ELi4ELi4ELi64ELc84ELc84EKPKDF16_S3_KPDF16_EEvlllT_PT11_llS8_llS6_PT12_llPT13_lli.uses_vcc, 1
	.set _ZN12_GLOBAL__N_127rocblas_gemm_batched_kernelIfLi16ELi16ELi64ELi64ELi4ELi64ELi4ELi4ELi64ELc84ELc84EKPKDF16_S3_KPDF16_EEvlllT_PT11_llS8_llS6_PT12_llPT13_lli.uses_flat_scratch, 1
	.set _ZN12_GLOBAL__N_127rocblas_gemm_batched_kernelIfLi16ELi16ELi64ELi64ELi4ELi64ELi4ELi4ELi64ELc84ELc84EKPKDF16_S3_KPDF16_EEvlllT_PT11_llS8_llS6_PT12_llPT13_lli.has_dyn_sized_stack, 0
	.set _ZN12_GLOBAL__N_127rocblas_gemm_batched_kernelIfLi16ELi16ELi64ELi64ELi4ELi64ELi4ELi4ELi64ELc84ELc84EKPKDF16_S3_KPDF16_EEvlllT_PT11_llS8_llS6_PT12_llPT13_lli.has_recursion, 0
	.set _ZN12_GLOBAL__N_127rocblas_gemm_batched_kernelIfLi16ELi16ELi64ELi64ELi4ELi64ELi4ELi4ELi64ELc84ELc84EKPKDF16_S3_KPDF16_EEvlllT_PT11_llS8_llS6_PT12_llPT13_lli.has_indirect_call, 0
	.section	.AMDGPU.csdata,"",@progbits
; Kernel info:
; codeLenInByte = 2596
; TotalNumSgprs: 38
; NumVgprs: 78
; ScratchSize: 0
; MemoryBound: 0
; FloatMode: 240
; IeeeMode: 1
; LDSByteSize: 2048 bytes/workgroup (compile time only)
; SGPRBlocks: 0
; VGPRBlocks: 4
; NumSGPRsForWavesPerEU: 38
; NumVGPRsForWavesPerEU: 78
; NamedBarCnt: 0
; Occupancy: 12
; WaveLimiterHint : 1
; COMPUTE_PGM_RSRC2:SCRATCH_EN: 0
; COMPUTE_PGM_RSRC2:USER_SGPR: 2
; COMPUTE_PGM_RSRC2:TRAP_HANDLER: 0
; COMPUTE_PGM_RSRC2:TGID_X_EN: 1
; COMPUTE_PGM_RSRC2:TGID_Y_EN: 1
; COMPUTE_PGM_RSRC2:TGID_Z_EN: 1
; COMPUTE_PGM_RSRC2:TIDIG_COMP_CNT: 1
	.section	.text._ZN12_GLOBAL__N_127rocblas_gemm_batched_kernelIfLi16ELi16ELi64ELi64ELi4ELi64ELi4ELi4ELi64ELc67ELc67EKPKDF16_S3_KPDF16_EEvlllT_PT11_llS8_llS6_PT12_llPT13_lli,"axG",@progbits,_ZN12_GLOBAL__N_127rocblas_gemm_batched_kernelIfLi16ELi16ELi64ELi64ELi4ELi64ELi4ELi4ELi64ELc67ELc67EKPKDF16_S3_KPDF16_EEvlllT_PT11_llS8_llS6_PT12_llPT13_lli,comdat
	.globl	_ZN12_GLOBAL__N_127rocblas_gemm_batched_kernelIfLi16ELi16ELi64ELi64ELi4ELi64ELi4ELi4ELi64ELc67ELc67EKPKDF16_S3_KPDF16_EEvlllT_PT11_llS8_llS6_PT12_llPT13_lli ; -- Begin function _ZN12_GLOBAL__N_127rocblas_gemm_batched_kernelIfLi16ELi16ELi64ELi64ELi4ELi64ELi4ELi4ELi64ELc67ELc67EKPKDF16_S3_KPDF16_EEvlllT_PT11_llS8_llS6_PT12_llPT13_lli
	.p2align	8
	.type	_ZN12_GLOBAL__N_127rocblas_gemm_batched_kernelIfLi16ELi16ELi64ELi64ELi4ELi64ELi4ELi4ELi64ELc67ELc67EKPKDF16_S3_KPDF16_EEvlllT_PT11_llS8_llS6_PT12_llPT13_lli,@function
_ZN12_GLOBAL__N_127rocblas_gemm_batched_kernelIfLi16ELi16ELi64ELi64ELi4ELi64ELi4ELi4ELi64ELc67ELc67EKPKDF16_S3_KPDF16_EEvlllT_PT11_llS8_llS6_PT12_llPT13_lli: ; @_ZN12_GLOBAL__N_127rocblas_gemm_batched_kernelIfLi16ELi16ELi64ELi64ELi4ELi64ELi4ELi4ELi64ELc67ELc67EKPKDF16_S3_KPDF16_EEvlllT_PT11_llS8_llS6_PT12_llPT13_lli
; %bb.0:
	s_load_b32 s31, s[0:1], 0x88
	s_bfe_u32 s2, ttmp6, 0x40014
	s_lshr_b32 s3, ttmp7, 16
	s_add_co_i32 s2, s2, 1
	s_bfe_u32 s4, ttmp6, 0x40008
	s_mul_i32 s2, s3, s2
	s_getreg_b32 s28, hwreg(HW_REG_IB_STS2, 6, 4)
	s_add_co_i32 s4, s4, s2
	s_cmp_eq_u32 s28, 0
	s_cselect_b32 s2, s3, s4
	s_mov_b32 s3, 0
	s_wait_kmcnt 0x0
	s_cmp_ge_i32 s2, s31
	s_cbranch_scc1 .LBB89_10
; %bb.1:
	v_bfe_u32 v2, v0, 10, 10
	v_and_b32_e32 v6, 0x3ff, v0
	s_bfe_u32 s30, ttmp6, 0x4000c
	s_bfe_u32 s34, ttmp6, 0x40010
	s_clause 0x2
	s_load_b256 s[4:11], s[0:1], 0x20
	s_load_b128 s[24:27], s[0:1], 0x40
	s_load_b128 s[20:23], s[0:1], 0x78
	v_dual_mov_b32 v3, 0 :: v_dual_lshlrev_b32 v14, 4, v2
	s_and_b32 s33, ttmp7, 0xffff
	s_add_co_i32 s30, s30, 1
	s_add_co_i32 s34, s34, 1
	s_and_b32 s29, ttmp6, 15
	s_mul_i32 s30, ttmp9, s30
	s_mul_i32 s34, s33, s34
	s_bfe_u32 s35, ttmp6, 0x40004
	v_dual_add_nc_u32 v7, v14, v6 :: v_dual_bitop2_b32 v16, 3, v0 bitop3:0x40
	s_add_co_i32 s29, s29, s30
	s_add_co_i32 s35, s35, s34
	s_cmp_eq_u32 s28, 0
	s_delay_alu instid0(VALU_DEP_1)
	v_dual_lshrrev_b32 v8, 2, v7 :: v_dual_bitop2_b32 v15, 63, v7 bitop3:0x40
	s_cselect_b32 s28, ttmp9, s29
	s_cselect_b32 s30, s33, s35
	s_ashr_i32 s29, s28, 31
	s_load_b256 s[12:19], s[0:1], 0x58
	s_lshl_b64 s[34:35], s[28:29], 6
	s_delay_alu instid0(SALU_CYCLE_1)
	v_dual_mov_b32 v9, v3 :: v_dual_bitop2_b32 v0, s34, v15 bitop3:0x54
	v_mov_b32_e32 v1, s35
	s_load_b32 s33, s[0:1], 0x50
	v_add_nc_u32_e32 v39, 0x400, v14
	s_wait_kmcnt 0x0
	v_mad_nc_u64_u32 v[10:11], s24, v16, v[8:9]
	v_lshlrev_b32_e32 v9, 2, v15
	v_mul_u64_e32 v[12:13], s[6:7], v[0:1]
	s_lshl_b32 s6, s30, 6
	s_mov_b32 s7, s3
	s_load_b96 s[28:30], s[0:1], 0x10
	v_add_nc_u64_e32 v[4:5], s[6:7], v[2:3]
	v_dual_lshrrev_b32 v2, 6, v7 :: v_dual_lshlrev_b32 v7, 2, v16
	v_lshlrev_b32_e32 v38, 2, v6
	v_mad_u32 v11, s25, v16, v11
	s_delay_alu instid0(VALU_DEP_3)
	v_lshl_or_b32 v36, v2, 8, v9
	v_mul_u64_e32 v[0:1], s[20:21], v[4:5]
	v_mul_u64_e32 v[4:5], s[14:15], v[4:5]
	v_lshl_or_b32 v15, v8, 4, v7
	v_dual_mov_b32 v7, v3 :: v_dual_lshlrev_b32 v2, 1, v2
	s_cmp_eq_f32 s33, 0
	s_delay_alu instid0(VALU_DEP_2)
	v_add_nc_u32_e32 v37, 0x400, v15
	v_add_nc_u64_e32 v[8:9], s[6:7], v[10:11]
	s_wait_xcnt 0x0
	s_cselect_b32 s1, -1, 0
	v_add_nc_u64_e32 v[10:11], s[34:35], v[6:7]
	s_wait_kmcnt 0x0
	v_cmp_gt_i64_e64 s0, s[28:29], 0
	s_lshl_b64 s[6:7], s[8:9], 1
	s_lshl_b64 s[20:21], s[20:21], 4
	;; [unrolled: 1-line block ×3, first 2 shown]
	v_lshlrev_b64_e32 v[6:7], 1, v[8:9]
	s_lshl_b64 s[8:9], s[22:23], 1
	v_lshlrev_b64_e32 v[10:11], 1, v[10:11]
	s_lshl_b64 s[14:15], s[20:21], 1
	s_lshl_b64 s[16:17], s[16:17], 1
	v_lshl_add_u64 v[8:9], v[12:13], 1, s[6:7]
	v_cndmask_b32_e64 v12, 0, 1, s0
	v_lshl_add_u64 v[6:7], s[26:27], 1, v[6:7]
	s_lshl_b64 s[6:7], s[24:25], 3
	s_lshl_b64 s[20:21], s[34:35], 1
	v_add_nc_u64_e32 v[8:9], v[8:9], v[2:3]
	v_cmp_ne_u32_e64 s0, 1, v12
	s_branch .LBB89_3
.LBB89_2:                               ;   in Loop: Header=BB89_3 Depth=1
	s_add_co_i32 s2, s2, 0x10000
	s_delay_alu instid0(SALU_CYCLE_1)
	s_cmp_lt_i32 s2, s31
	s_cbranch_scc0 .LBB89_10
.LBB89_3:                               ; =>This Loop Header: Depth=1
                                        ;     Child Loop BB89_5 Depth 2
	s_wait_xcnt 0x0
	v_dual_mov_b32 v2, s2 :: v_dual_mov_b32 v29, 0
	v_dual_mov_b32 v28, 0 :: v_dual_mov_b32 v27, 0
	;; [unrolled: 1-line block ×3, first 2 shown]
	s_clause 0x1
	global_load_b64 v[20:21], v2, s[12:13] scale_offset
	global_load_b64 v[30:31], v2, s[18:19] scale_offset
	v_dual_mov_b32 v24, 0 :: v_dual_mov_b32 v23, 0
	v_dual_mov_b32 v22, 0 :: v_dual_mov_b32 v19, 0
	;; [unrolled: 1-line block ×5, first 2 shown]
	v_mov_b32_e32 v12, 0
	s_and_b32 vcc_lo, exec_lo, s0
	s_cbranch_vccnz .LBB89_6
; %bb.4:                                ;   in Loop: Header=BB89_3 Depth=1
	s_lshl_b64 s[22:23], s[2:3], 3
	v_mov_b32_e32 v12, 0
	s_add_nc_u64 s[24:25], s[10:11], s[22:23]
	s_add_nc_u64 s[22:23], s[4:5], s[22:23]
	s_clause 0x1
	global_load_b64 v[28:29], v3, s[24:25]
	global_load_b64 v[34:35], v3, s[22:23]
	s_wait_xcnt 0x0
	s_mov_b64 s[22:23], 0
	v_dual_mov_b32 v13, v12 :: v_dual_mov_b32 v14, v12
	v_dual_mov_b32 v15, v12 :: v_dual_mov_b32 v16, v12
	;; [unrolled: 1-line block ×6, first 2 shown]
	v_mov_b32_e32 v27, v12
	s_wait_loadcnt 0x1
	v_add_nc_u64_e32 v[32:33], v[28:29], v[6:7]
	s_wait_loadcnt 0x0
	v_add_nc_u64_e32 v[34:35], v[34:35], v[8:9]
	v_dual_mov_b32 v28, v12 :: v_dual_mov_b32 v29, v12
.LBB89_5:                               ;   Parent Loop BB89_3 Depth=1
                                        ; =>  This Inner Loop Header: Depth=2
	flat_load_u16 v2, v[34:35]
	flat_load_u16 v40, v[32:33]
	s_add_nc_u64 s[22:23], s[22:23], 4
	s_wait_xcnt 0x0
	v_add_nc_u64_e32 v[32:33], s[6:7], v[32:33]
	v_cmp_lt_i64_e64 s24, s[22:23], s[28:29]
	v_add_nc_u64_e32 v[34:35], 8, v[34:35]
	s_and_b32 vcc_lo, exec_lo, s24
	s_wait_loadcnt_dscnt 0x101
	v_cvt_f32_f16_e32 v2, v2
	s_wait_loadcnt_dscnt 0x0
	v_cvt_f32_f16_e32 v40, v40
	ds_store_b32 v36, v2
	ds_store_b32 v37, v40
	s_wait_dscnt 0x0
	s_barrier_signal -1
	s_barrier_wait -1
	ds_load_2addr_b32 v[56:57], v38 offset1:16
	ds_load_2addr_b32 v[58:59], v38 offset0:64 offset1:80
	ds_load_2addr_b32 v[60:61], v38 offset0:128 offset1:144
	;; [unrolled: 1-line block ×6, first 2 shown]
	ds_load_b128 v[40:43], v39
	ds_load_b128 v[44:47], v39 offset:256
	ds_load_2addr_b32 v[70:71], v38 offset0:224 offset1:240
	ds_load_b128 v[48:51], v39 offset:512
	ds_load_b128 v[52:55], v39 offset:768
	s_wait_dscnt 0x0
	s_barrier_signal -1
	s_barrier_wait -1
	v_dual_mov_b32 v72, v57 :: v_dual_mov_b32 v73, v56
	v_dual_mov_b32 v56, v59 :: v_dual_mov_b32 v57, v58
	;; [unrolled: 1-line block ×6, first 2 shown]
	v_pk_fma_f32 v[28:29], v[72:73], v[40:41], v[28:29] op_sel_hi:[1,0,1]
	v_pk_fma_f32 v[24:25], v[72:73], v[44:45], v[24:25] op_sel_hi:[1,0,1]
	s_delay_alu instid0(VALU_DEP_4)
	v_pk_fma_f32 v[26:27], v[62:63], v[40:41], v[26:27] op_sel_hi:[1,0,1]
	v_pk_fma_f32 v[18:19], v[72:73], v[48:49], v[18:19] op_sel_hi:[1,0,1]
	;; [unrolled: 1-line block ×6, first 2 shown]
	v_dual_mov_b32 v66, v69 :: v_dual_mov_b32 v67, v68
	v_pk_fma_f32 v[28:29], v[56:57], v[40:41], v[28:29] op_sel:[0,1,0]
	v_pk_fma_f32 v[26:27], v[64:65], v[40:41], v[26:27] op_sel:[0,1,0]
	;; [unrolled: 1-line block ×8, first 2 shown]
	v_dual_mov_b32 v2, v43 :: v_dual_mov_b32 v68, v71
	v_dual_mov_b32 v69, v70 :: v_dual_mov_b32 v70, v47
	;; [unrolled: 1-line block ×3, first 2 shown]
	v_pk_fma_f32 v[28:29], v[58:59], v[42:43], v[28:29] op_sel_hi:[1,0,1]
	v_pk_fma_f32 v[26:27], v[66:67], v[42:43], v[26:27] op_sel_hi:[1,0,1]
	;; [unrolled: 1-line block ×16, first 2 shown]
	s_cbranch_vccnz .LBB89_5
.LBB89_6:                               ;   in Loop: Header=BB89_3 Depth=1
	s_wait_loadcnt 0x0
	v_add_nc_u64_e32 v[30:31], s[8:9], v[30:31]
	s_and_not1_b32 vcc_lo, exec_lo, s1
	s_delay_alu instid0(VALU_DEP_1) | instskip(NEXT) | instid1(VALU_DEP_1)
	v_lshl_add_u64 v[30:31], v[0:1], 1, v[30:31]
	v_add_nc_u64_e32 v[32:33], v[30:31], v[10:11]
	v_add_nc_u64_e32 v[30:31], s[14:15], v[30:31]
	s_cbranch_vccnz .LBB89_8
; %bb.7:                                ;   in Loop: Header=BB89_3 Depth=1
	s_wait_xcnt 0x0
	v_fma_mixlo_f16 v2, s30, v29, 0
	v_fma_mixlo_f16 v40, s30, v28, 0
	s_delay_alu instid0(VALU_DEP_3)
	v_add_nc_u64_e32 v[34:35], s[14:15], v[30:31]
	v_fma_mixlo_f16 v41, s30, v27, 0
	v_fma_mixlo_f16 v42, s30, v26, 0
	s_clause 0x3
	flat_store_b16 v[32:33], v2
	flat_store_b16 v[32:33], v40 offset:32
	flat_store_b16 v[32:33], v41 offset:64
	;; [unrolled: 1-line block ×3, first 2 shown]
	s_wait_xcnt 0x1
	v_add_nc_u64_e32 v[40:41], v[30:31], v[10:11]
	v_fma_mixlo_f16 v2, s30, v25, 0
	v_fma_mixlo_f16 v44, s30, v24, 0
	s_wait_xcnt 0x0
	v_add_nc_u64_e32 v[42:43], v[34:35], v[10:11]
	v_add_nc_u64_e32 v[34:35], s[14:15], v[34:35]
	v_fma_mixlo_f16 v45, s30, v23, 0
	v_fma_mixlo_f16 v46, s30, v22, 0
	s_clause 0x3
	flat_store_b16 v[40:41], v2
	flat_store_b16 v[40:41], v44 offset:32
	flat_store_b16 v[40:41], v45 offset:64
	;; [unrolled: 1-line block ×3, first 2 shown]
	s_wait_xcnt 0x3
	v_fma_mixlo_f16 v2, s30, v19, 0
	s_wait_xcnt 0x0
	v_fma_mixlo_f16 v40, s30, v18, 0
	v_fma_mixlo_f16 v41, s30, v17, 0
	;; [unrolled: 1-line block ×3, first 2 shown]
	v_add_nc_u64_e32 v[34:35], v[34:35], v[10:11]
	s_clause 0x3
	flat_store_b16 v[42:43], v2
	flat_store_b16 v[42:43], v40 offset:32
	flat_store_b16 v[42:43], v41 offset:64
	;; [unrolled: 1-line block ×3, first 2 shown]
	s_wait_xcnt 0x3
	v_fma_mixlo_f16 v2, s30, v15, 0
	s_wait_xcnt 0x2
	v_fma_mixlo_f16 v40, s30, v14, 0
	;; [unrolled: 2-line block ×4, first 2 shown]
	s_clause 0x3
	flat_store_b16 v[34:35], v2
	flat_store_b16 v[34:35], v40 offset:32
	flat_store_b16 v[34:35], v41 offset:64
	;; [unrolled: 1-line block ×3, first 2 shown]
	s_cbranch_execnz .LBB89_2
	s_branch .LBB89_9
.LBB89_8:                               ;   in Loop: Header=BB89_3 Depth=1
.LBB89_9:                               ;   in Loop: Header=BB89_3 Depth=1
	v_add_nc_u64_e32 v[20:21], s[16:17], v[20:21]
	s_delay_alu instid0(VALU_DEP_1) | instskip(SKIP_1) | instid1(VALU_DEP_1)
	v_lshl_add_u64 v[20:21], v[4:5], 1, v[20:21]
	s_wait_xcnt 0x0
	v_add_nc_u64_e32 v[34:35], v[20:21], v[10:11]
	v_add_nc_u64_e32 v[20:21], s[20:21], v[20:21]
	flat_load_u16 v2, v[34:35]
	s_wait_loadcnt_dscnt 0x0
	v_cvt_f32_f16_e32 v2, v2
	s_delay_alu instid0(VALU_DEP_1) | instskip(NEXT) | instid1(VALU_DEP_1)
	v_mul_f32_e32 v2, s33, v2
	v_fma_mixlo_f16 v2, s30, v29, v2
	flat_store_b16 v[32:33], v2
	flat_load_u16 v2, v[34:35] offset:32
	s_wait_loadcnt_dscnt 0x0
	v_cvt_f32_f16_e32 v2, v2
	s_delay_alu instid0(VALU_DEP_1) | instskip(NEXT) | instid1(VALU_DEP_1)
	v_mul_f32_e32 v2, s33, v2
	v_fma_mixlo_f16 v2, s30, v28, v2
	v_add_nc_u64_e32 v[28:29], v[20:21], v[10:11]
	v_add_nc_u64_e32 v[20:21], s[20:21], v[20:21]
	flat_store_b16 v[32:33], v2 offset:32
	flat_load_u16 v2, v[34:35] offset:64
	s_wait_loadcnt_dscnt 0x0
	v_cvt_f32_f16_e32 v2, v2
	s_delay_alu instid0(VALU_DEP_1) | instskip(NEXT) | instid1(VALU_DEP_1)
	v_mul_f32_e32 v2, s33, v2
	v_fma_mixlo_f16 v2, s30, v27, v2
	flat_store_b16 v[32:33], v2 offset:64
	flat_load_u16 v2, v[34:35] offset:96
	s_wait_loadcnt_dscnt 0x0
	v_cvt_f32_f16_e32 v2, v2
	s_delay_alu instid0(VALU_DEP_1) | instskip(NEXT) | instid1(VALU_DEP_1)
	v_mul_f32_e32 v2, s33, v2
	v_fma_mixlo_f16 v2, s30, v26, v2
	v_add_nc_u64_e32 v[26:27], v[30:31], v[10:11]
	flat_store_b16 v[32:33], v2 offset:96
	flat_load_u16 v2, v[28:29]
	s_wait_loadcnt_dscnt 0x0
	v_cvt_f32_f16_e32 v2, v2
	s_delay_alu instid0(VALU_DEP_1) | instskip(NEXT) | instid1(VALU_DEP_1)
	v_mul_f32_e32 v2, s33, v2
	v_fma_mixlo_f16 v2, s30, v25, v2
	flat_store_b16 v[26:27], v2
	flat_load_u16 v2, v[28:29] offset:32
	s_wait_loadcnt_dscnt 0x0
	v_cvt_f32_f16_e32 v2, v2
	s_delay_alu instid0(VALU_DEP_1) | instskip(NEXT) | instid1(VALU_DEP_1)
	v_mul_f32_e32 v2, s33, v2
	v_fma_mixlo_f16 v2, s30, v24, v2
	v_add_nc_u64_e32 v[24:25], v[20:21], v[10:11]
	flat_store_b16 v[26:27], v2 offset:32
	flat_load_u16 v2, v[28:29] offset:64
	s_wait_loadcnt_dscnt 0x0
	v_cvt_f32_f16_e32 v2, v2
	s_delay_alu instid0(VALU_DEP_1) | instskip(NEXT) | instid1(VALU_DEP_1)
	v_mul_f32_e32 v2, s33, v2
	v_fma_mixlo_f16 v2, s30, v23, v2
	flat_store_b16 v[26:27], v2 offset:64
	flat_load_u16 v2, v[28:29] offset:96
	s_wait_loadcnt_dscnt 0x0
	v_cvt_f32_f16_e32 v2, v2
	s_delay_alu instid0(VALU_DEP_1) | instskip(NEXT) | instid1(VALU_DEP_1)
	v_mul_f32_e32 v2, s33, v2
	v_fma_mixlo_f16 v2, s30, v22, v2
	v_add_nc_u64_e32 v[22:23], s[14:15], v[30:31]
	flat_store_b16 v[26:27], v2 offset:96
	flat_load_u16 v2, v[24:25]
	v_add_nc_u64_e32 v[26:27], v[22:23], v[10:11]
	s_wait_loadcnt_dscnt 0x0
	v_cvt_f32_f16_e32 v2, v2
	s_delay_alu instid0(VALU_DEP_1) | instskip(NEXT) | instid1(VALU_DEP_1)
	v_mul_f32_e32 v2, s33, v2
	v_fma_mixlo_f16 v2, s30, v19, v2
	flat_store_b16 v[26:27], v2
	flat_load_u16 v2, v[24:25] offset:32
	s_wait_loadcnt_dscnt 0x0
	v_cvt_f32_f16_e32 v2, v2
	s_delay_alu instid0(VALU_DEP_1) | instskip(NEXT) | instid1(VALU_DEP_1)
	v_mul_f32_e32 v2, s33, v2
	v_fma_mixlo_f16 v2, s30, v18, v2
	v_add_nc_u64_e32 v[18:19], s[20:21], v[20:21]
	flat_store_b16 v[26:27], v2 offset:32
	flat_load_u16 v2, v[24:25] offset:64
	v_add_nc_u64_e32 v[18:19], v[18:19], v[10:11]
	s_wait_loadcnt_dscnt 0x0
	v_cvt_f32_f16_e32 v2, v2
	s_delay_alu instid0(VALU_DEP_1) | instskip(NEXT) | instid1(VALU_DEP_1)
	v_mul_f32_e32 v2, s33, v2
	v_fma_mixlo_f16 v2, s30, v17, v2
	flat_store_b16 v[26:27], v2 offset:64
	flat_load_u16 v2, v[24:25] offset:96
	s_wait_loadcnt_dscnt 0x0
	v_cvt_f32_f16_e32 v2, v2
	s_delay_alu instid0(VALU_DEP_1) | instskip(NEXT) | instid1(VALU_DEP_1)
	v_mul_f32_e32 v2, s33, v2
	v_fma_mixlo_f16 v2, s30, v16, v2
	v_add_nc_u64_e32 v[16:17], s[14:15], v[22:23]
	flat_store_b16 v[26:27], v2 offset:96
	flat_load_u16 v2, v[18:19]
	v_add_nc_u64_e32 v[16:17], v[16:17], v[10:11]
	s_wait_loadcnt_dscnt 0x0
	v_cvt_f32_f16_e32 v2, v2
	s_delay_alu instid0(VALU_DEP_1) | instskip(NEXT) | instid1(VALU_DEP_1)
	v_mul_f32_e32 v2, s33, v2
	v_fma_mixlo_f16 v2, s30, v15, v2
	flat_store_b16 v[16:17], v2
	flat_load_u16 v2, v[18:19] offset:32
	s_wait_loadcnt_dscnt 0x0
	v_cvt_f32_f16_e32 v2, v2
	s_delay_alu instid0(VALU_DEP_1) | instskip(NEXT) | instid1(VALU_DEP_1)
	v_mul_f32_e32 v2, s33, v2
	v_fma_mixlo_f16 v2, s30, v14, v2
	flat_store_b16 v[16:17], v2 offset:32
	flat_load_u16 v2, v[18:19] offset:64
	s_wait_loadcnt_dscnt 0x0
	v_cvt_f32_f16_e32 v2, v2
	s_delay_alu instid0(VALU_DEP_1) | instskip(NEXT) | instid1(VALU_DEP_1)
	v_mul_f32_e32 v2, s33, v2
	v_fma_mixlo_f16 v2, s30, v13, v2
	flat_store_b16 v[16:17], v2 offset:64
	;; [unrolled: 7-line block ×3, first 2 shown]
	s_branch .LBB89_2
.LBB89_10:
	s_sendmsg sendmsg(MSG_DEALLOC_VGPRS)
	s_endpgm
	.section	.rodata,"a",@progbits
	.p2align	6, 0x0
	.amdhsa_kernel _ZN12_GLOBAL__N_127rocblas_gemm_batched_kernelIfLi16ELi16ELi64ELi64ELi4ELi64ELi4ELi4ELi64ELc67ELc67EKPKDF16_S3_KPDF16_EEvlllT_PT11_llS8_llS6_PT12_llPT13_lli
		.amdhsa_group_segment_fixed_size 2048
		.amdhsa_private_segment_fixed_size 0
		.amdhsa_kernarg_size 140
		.amdhsa_user_sgpr_count 2
		.amdhsa_user_sgpr_dispatch_ptr 0
		.amdhsa_user_sgpr_queue_ptr 0
		.amdhsa_user_sgpr_kernarg_segment_ptr 1
		.amdhsa_user_sgpr_dispatch_id 0
		.amdhsa_user_sgpr_kernarg_preload_length 0
		.amdhsa_user_sgpr_kernarg_preload_offset 0
		.amdhsa_user_sgpr_private_segment_size 0
		.amdhsa_wavefront_size32 1
		.amdhsa_uses_dynamic_stack 0
		.amdhsa_enable_private_segment 0
		.amdhsa_system_sgpr_workgroup_id_x 1
		.amdhsa_system_sgpr_workgroup_id_y 1
		.amdhsa_system_sgpr_workgroup_id_z 1
		.amdhsa_system_sgpr_workgroup_info 0
		.amdhsa_system_vgpr_workitem_id 1
		.amdhsa_next_free_vgpr 78
		.amdhsa_next_free_sgpr 36
		.amdhsa_named_barrier_count 0
		.amdhsa_reserve_vcc 1
		.amdhsa_float_round_mode_32 0
		.amdhsa_float_round_mode_16_64 0
		.amdhsa_float_denorm_mode_32 3
		.amdhsa_float_denorm_mode_16_64 3
		.amdhsa_fp16_overflow 0
		.amdhsa_memory_ordered 1
		.amdhsa_forward_progress 1
		.amdhsa_inst_pref_size 21
		.amdhsa_round_robin_scheduling 0
		.amdhsa_exception_fp_ieee_invalid_op 0
		.amdhsa_exception_fp_denorm_src 0
		.amdhsa_exception_fp_ieee_div_zero 0
		.amdhsa_exception_fp_ieee_overflow 0
		.amdhsa_exception_fp_ieee_underflow 0
		.amdhsa_exception_fp_ieee_inexact 0
		.amdhsa_exception_int_div_zero 0
	.end_amdhsa_kernel
	.section	.text._ZN12_GLOBAL__N_127rocblas_gemm_batched_kernelIfLi16ELi16ELi64ELi64ELi4ELi64ELi4ELi4ELi64ELc67ELc67EKPKDF16_S3_KPDF16_EEvlllT_PT11_llS8_llS6_PT12_llPT13_lli,"axG",@progbits,_ZN12_GLOBAL__N_127rocblas_gemm_batched_kernelIfLi16ELi16ELi64ELi64ELi4ELi64ELi4ELi4ELi64ELc67ELc67EKPKDF16_S3_KPDF16_EEvlllT_PT11_llS8_llS6_PT12_llPT13_lli,comdat
.Lfunc_end89:
	.size	_ZN12_GLOBAL__N_127rocblas_gemm_batched_kernelIfLi16ELi16ELi64ELi64ELi4ELi64ELi4ELi4ELi64ELc67ELc67EKPKDF16_S3_KPDF16_EEvlllT_PT11_llS8_llS6_PT12_llPT13_lli, .Lfunc_end89-_ZN12_GLOBAL__N_127rocblas_gemm_batched_kernelIfLi16ELi16ELi64ELi64ELi4ELi64ELi4ELi4ELi64ELc67ELc67EKPKDF16_S3_KPDF16_EEvlllT_PT11_llS8_llS6_PT12_llPT13_lli
                                        ; -- End function
	.set _ZN12_GLOBAL__N_127rocblas_gemm_batched_kernelIfLi16ELi16ELi64ELi64ELi4ELi64ELi4ELi4ELi64ELc67ELc67EKPKDF16_S3_KPDF16_EEvlllT_PT11_llS8_llS6_PT12_llPT13_lli.num_vgpr, 78
	.set _ZN12_GLOBAL__N_127rocblas_gemm_batched_kernelIfLi16ELi16ELi64ELi64ELi4ELi64ELi4ELi4ELi64ELc67ELc67EKPKDF16_S3_KPDF16_EEvlllT_PT11_llS8_llS6_PT12_llPT13_lli.num_agpr, 0
	.set _ZN12_GLOBAL__N_127rocblas_gemm_batched_kernelIfLi16ELi16ELi64ELi64ELi4ELi64ELi4ELi4ELi64ELc67ELc67EKPKDF16_S3_KPDF16_EEvlllT_PT11_llS8_llS6_PT12_llPT13_lli.numbered_sgpr, 36
	.set _ZN12_GLOBAL__N_127rocblas_gemm_batched_kernelIfLi16ELi16ELi64ELi64ELi4ELi64ELi4ELi4ELi64ELc67ELc67EKPKDF16_S3_KPDF16_EEvlllT_PT11_llS8_llS6_PT12_llPT13_lli.num_named_barrier, 0
	.set _ZN12_GLOBAL__N_127rocblas_gemm_batched_kernelIfLi16ELi16ELi64ELi64ELi4ELi64ELi4ELi4ELi64ELc67ELc67EKPKDF16_S3_KPDF16_EEvlllT_PT11_llS8_llS6_PT12_llPT13_lli.private_seg_size, 0
	.set _ZN12_GLOBAL__N_127rocblas_gemm_batched_kernelIfLi16ELi16ELi64ELi64ELi4ELi64ELi4ELi4ELi64ELc67ELc67EKPKDF16_S3_KPDF16_EEvlllT_PT11_llS8_llS6_PT12_llPT13_lli.uses_vcc, 1
	.set _ZN12_GLOBAL__N_127rocblas_gemm_batched_kernelIfLi16ELi16ELi64ELi64ELi4ELi64ELi4ELi4ELi64ELc67ELc67EKPKDF16_S3_KPDF16_EEvlllT_PT11_llS8_llS6_PT12_llPT13_lli.uses_flat_scratch, 1
	.set _ZN12_GLOBAL__N_127rocblas_gemm_batched_kernelIfLi16ELi16ELi64ELi64ELi4ELi64ELi4ELi4ELi64ELc67ELc67EKPKDF16_S3_KPDF16_EEvlllT_PT11_llS8_llS6_PT12_llPT13_lli.has_dyn_sized_stack, 0
	.set _ZN12_GLOBAL__N_127rocblas_gemm_batched_kernelIfLi16ELi16ELi64ELi64ELi4ELi64ELi4ELi4ELi64ELc67ELc67EKPKDF16_S3_KPDF16_EEvlllT_PT11_llS8_llS6_PT12_llPT13_lli.has_recursion, 0
	.set _ZN12_GLOBAL__N_127rocblas_gemm_batched_kernelIfLi16ELi16ELi64ELi64ELi4ELi64ELi4ELi4ELi64ELc67ELc67EKPKDF16_S3_KPDF16_EEvlllT_PT11_llS8_llS6_PT12_llPT13_lli.has_indirect_call, 0
	.section	.AMDGPU.csdata,"",@progbits
; Kernel info:
; codeLenInByte = 2596
; TotalNumSgprs: 38
; NumVgprs: 78
; ScratchSize: 0
; MemoryBound: 0
; FloatMode: 240
; IeeeMode: 1
; LDSByteSize: 2048 bytes/workgroup (compile time only)
; SGPRBlocks: 0
; VGPRBlocks: 4
; NumSGPRsForWavesPerEU: 38
; NumVGPRsForWavesPerEU: 78
; NamedBarCnt: 0
; Occupancy: 12
; WaveLimiterHint : 1
; COMPUTE_PGM_RSRC2:SCRATCH_EN: 0
; COMPUTE_PGM_RSRC2:USER_SGPR: 2
; COMPUTE_PGM_RSRC2:TRAP_HANDLER: 0
; COMPUTE_PGM_RSRC2:TGID_X_EN: 1
; COMPUTE_PGM_RSRC2:TGID_Y_EN: 1
; COMPUTE_PGM_RSRC2:TGID_Z_EN: 1
; COMPUTE_PGM_RSRC2:TIDIG_COMP_CNT: 1
	.section	.text._ZN12_GLOBAL__N_127rocblas_gemm_batched_kernelIfLi16ELi16ELi64ELi64ELi4ELi64ELi4ELi4ELi64ELc67ELc78EKPKDF16_S3_KPDF16_EEvlllT_PT11_llS8_llS6_PT12_llPT13_lli,"axG",@progbits,_ZN12_GLOBAL__N_127rocblas_gemm_batched_kernelIfLi16ELi16ELi64ELi64ELi4ELi64ELi4ELi4ELi64ELc67ELc78EKPKDF16_S3_KPDF16_EEvlllT_PT11_llS8_llS6_PT12_llPT13_lli,comdat
	.globl	_ZN12_GLOBAL__N_127rocblas_gemm_batched_kernelIfLi16ELi16ELi64ELi64ELi4ELi64ELi4ELi4ELi64ELc67ELc78EKPKDF16_S3_KPDF16_EEvlllT_PT11_llS8_llS6_PT12_llPT13_lli ; -- Begin function _ZN12_GLOBAL__N_127rocblas_gemm_batched_kernelIfLi16ELi16ELi64ELi64ELi4ELi64ELi4ELi4ELi64ELc67ELc78EKPKDF16_S3_KPDF16_EEvlllT_PT11_llS8_llS6_PT12_llPT13_lli
	.p2align	8
	.type	_ZN12_GLOBAL__N_127rocblas_gemm_batched_kernelIfLi16ELi16ELi64ELi64ELi4ELi64ELi4ELi4ELi64ELc67ELc78EKPKDF16_S3_KPDF16_EEvlllT_PT11_llS8_llS6_PT12_llPT13_lli,@function
_ZN12_GLOBAL__N_127rocblas_gemm_batched_kernelIfLi16ELi16ELi64ELi64ELi4ELi64ELi4ELi4ELi64ELc67ELc78EKPKDF16_S3_KPDF16_EEvlllT_PT11_llS8_llS6_PT12_llPT13_lli: ; @_ZN12_GLOBAL__N_127rocblas_gemm_batched_kernelIfLi16ELi16ELi64ELi64ELi4ELi64ELi4ELi4ELi64ELc67ELc78EKPKDF16_S3_KPDF16_EEvlllT_PT11_llS8_llS6_PT12_llPT13_lli
; %bb.0:
	s_load_b32 s31, s[0:1], 0x88
	s_bfe_u32 s2, ttmp6, 0x40014
	s_lshr_b32 s3, ttmp7, 16
	s_add_co_i32 s2, s2, 1
	s_bfe_u32 s4, ttmp6, 0x40008
	s_mul_i32 s2, s3, s2
	s_getreg_b32 s12, hwreg(HW_REG_IB_STS2, 6, 4)
	s_add_co_i32 s4, s4, s2
	s_cmp_eq_u32 s12, 0
	s_cselect_b32 s2, s3, s4
	s_mov_b32 s3, 0
	s_wait_kmcnt 0x0
	s_cmp_ge_i32 s2, s31
	s_cbranch_scc1 .LBB90_10
; %bb.1:
	v_bfe_u32 v2, v0, 10, 10
	v_and_b32_e32 v6, 0x3ff, v0
	s_bfe_u32 s14, ttmp6, 0x4000c
	s_bfe_u32 s16, ttmp6, 0x40010
	s_clause 0x2
	s_load_b256 s[4:11], s[0:1], 0x20
	s_load_b128 s[20:23], s[0:1], 0x40
	s_load_b32 s33, s[0:1], 0x50
	v_dual_mov_b32 v3, 0 :: v_dual_lshlrev_b32 v14, 4, v2
	s_and_b32 s15, ttmp7, 0xffff
	s_add_co_i32 s14, s14, 1
	s_add_co_i32 s16, s16, 1
	s_delay_alu instid0(VALU_DEP_1)
	v_dual_add_nc_u32 v15, v14, v6 :: v_dual_mov_b32 v9, v3
	s_and_b32 s13, ttmp6, 15
	s_mul_i32 s14, ttmp9, s14
	s_mul_i32 s16, s15, s16
	s_bfe_u32 s17, ttmp6, 0x40004
	s_add_co_i32 s13, s13, s14
	s_add_co_i32 s17, s17, s16
	s_cmp_eq_u32 s12, 0
	v_dual_lshrrev_b32 v8, 2, v15 :: v_dual_bitop2_b32 v16, 63, v15 bitop3:0x40
	s_cselect_b32 s14, s15, s17
	s_cselect_b32 s12, ttmp9, s13
	s_lshl_b32 s28, s14, 6
	s_mov_b32 s29, s3
	s_ashr_i32 s13, s12, 31
	v_add_nc_u64_e32 v[4:5], s[28:29], v[8:9]
	s_load_b128 s[24:27], s[0:1], 0x78
	s_lshl_b64 s[34:35], s[12:13], 6
	s_load_b256 s[12:19], s[0:1], 0x58
	v_dual_mov_b32 v11, s35 :: v_dual_bitop2_b32 v10, s34, v16 bitop3:0x54
	s_wait_kmcnt 0x0
	s_cmp_eq_f32 s33, 0
	v_mul_u64_e32 v[12:13], s[20:21], v[4:5]
	v_add_nc_u64_e32 v[4:5], s[28:29], v[2:3]
	s_load_b96 s[28:30], s[0:1], 0x10
	v_mul_u64_e32 v[10:11], s[6:7], v[10:11]
	v_dual_mov_b32 v7, v3 :: v_dual_bitop2_b32 v2, 3, v0 bitop3:0x40
	s_wait_xcnt 0x0
	s_cselect_b32 s1, -1, 0
	s_lshl_b64 s[6:7], s[22:23], 1
	v_dual_lshlrev_b32 v36, 2, v6 :: v_dual_lshrrev_b32 v17, 6, v15
	v_dual_lshlrev_b32 v9, 2, v2 :: v_dual_lshlrev_b32 v2, 1, v2
	v_add_nc_u32_e32 v37, 0x400, v14
	v_add_nc_u64_e32 v[14:15], s[34:35], v[6:7]
	v_mul_u64_e32 v[0:1], s[24:25], v[4:5]
	v_lshlrev_b32_e32 v16, 2, v16
	v_mul_u64_e32 v[4:5], s[14:15], v[4:5]
	v_lshl_or_b32 v18, v8, 4, v9
	s_lshl_b64 s[20:21], s[14:15], 4
	s_lshl_b64 s[14:15], s[16:17], 1
	;; [unrolled: 1-line block ×3, first 2 shown]
	s_wait_kmcnt 0x0
	v_cmp_gt_i64_e64 s0, s[28:29], 0
	v_add_nc_u32_e32 v39, 0x400, v18
	v_lshl_add_u64 v[6:7], v[12:13], 1, s[6:7]
	s_lshl_b64 s[6:7], s[8:9], 1
	v_cndmask_b32_e64 v12, 0, 1, s0
	v_lshl_add_u64 v[8:9], v[10:11], 1, s[6:7]
	v_lshlrev_b64_e32 v[10:11], 1, v[14:15]
	v_add_nc_u64_e32 v[6:7], v[6:7], v[2:3]
	v_lshlrev_b32_e32 v2, 1, v17
	v_lshl_or_b32 v38, v17, 8, v16
	v_cmp_ne_u32_e64 s0, 1, v12
	s_lshl_b64 s[8:9], s[24:25], 4
	s_lshl_b64 s[6:7], s[26:27], 1
	v_add_nc_u64_e32 v[8:9], v[8:9], v[2:3]
	s_lshl_b64 s[8:9], s[8:9], 1
	s_branch .LBB90_3
.LBB90_2:                               ;   in Loop: Header=BB90_3 Depth=1
	s_add_co_i32 s2, s2, 0x10000
	s_delay_alu instid0(SALU_CYCLE_1)
	s_cmp_lt_i32 s2, s31
	s_cbranch_scc0 .LBB90_10
.LBB90_3:                               ; =>This Loop Header: Depth=1
                                        ;     Child Loop BB90_5 Depth 2
	s_wait_xcnt 0x0
	v_dual_mov_b32 v2, s2 :: v_dual_mov_b32 v29, 0
	v_dual_mov_b32 v28, 0 :: v_dual_mov_b32 v27, 0
	;; [unrolled: 1-line block ×3, first 2 shown]
	s_clause 0x1
	global_load_b64 v[20:21], v2, s[12:13] scale_offset
	global_load_b64 v[30:31], v2, s[18:19] scale_offset
	v_dual_mov_b32 v24, 0 :: v_dual_mov_b32 v23, 0
	v_dual_mov_b32 v22, 0 :: v_dual_mov_b32 v19, 0
	;; [unrolled: 1-line block ×5, first 2 shown]
	v_mov_b32_e32 v12, 0
	s_and_b32 vcc_lo, exec_lo, s0
	s_cbranch_vccnz .LBB90_6
; %bb.4:                                ;   in Loop: Header=BB90_3 Depth=1
	s_lshl_b64 s[20:21], s[2:3], 3
	v_mov_b32_e32 v12, 0
	s_add_nc_u64 s[22:23], s[10:11], s[20:21]
	s_add_nc_u64 s[20:21], s[4:5], s[20:21]
	s_clause 0x1
	global_load_b64 v[28:29], v3, s[22:23]
	global_load_b64 v[34:35], v3, s[20:21]
	s_wait_xcnt 0x0
	s_mov_b64 s[20:21], 0
	v_dual_mov_b32 v13, v12 :: v_dual_mov_b32 v14, v12
	v_dual_mov_b32 v15, v12 :: v_dual_mov_b32 v16, v12
	;; [unrolled: 1-line block ×6, first 2 shown]
	v_mov_b32_e32 v27, v12
	s_wait_loadcnt 0x1
	v_add_nc_u64_e32 v[32:33], v[28:29], v[6:7]
	s_wait_loadcnt 0x0
	v_add_nc_u64_e32 v[34:35], v[34:35], v[8:9]
	v_dual_mov_b32 v28, v12 :: v_dual_mov_b32 v29, v12
.LBB90_5:                               ;   Parent Loop BB90_3 Depth=1
                                        ; =>  This Inner Loop Header: Depth=2
	flat_load_u16 v2, v[34:35]
	flat_load_u16 v40, v[32:33]
	s_add_nc_u64 s[20:21], s[20:21], 4
	s_wait_xcnt 0x0
	v_add_nc_u64_e32 v[32:33], 8, v[32:33]
	v_cmp_lt_i64_e64 s22, s[20:21], s[28:29]
	v_add_nc_u64_e32 v[34:35], 8, v[34:35]
	s_and_b32 vcc_lo, exec_lo, s22
	s_wait_loadcnt_dscnt 0x101
	v_cvt_f32_f16_e32 v2, v2
	s_wait_loadcnt_dscnt 0x0
	v_cvt_f32_f16_e32 v40, v40
	ds_store_b32 v38, v2
	ds_store_b32 v39, v40
	s_wait_dscnt 0x0
	s_barrier_signal -1
	s_barrier_wait -1
	ds_load_2addr_b32 v[56:57], v36 offset1:16
	ds_load_2addr_b32 v[58:59], v36 offset0:64 offset1:80
	ds_load_2addr_b32 v[60:61], v36 offset0:128 offset1:144
	;; [unrolled: 1-line block ×6, first 2 shown]
	ds_load_b128 v[40:43], v37
	ds_load_b128 v[44:47], v37 offset:256
	ds_load_2addr_b32 v[70:71], v36 offset0:224 offset1:240
	ds_load_b128 v[48:51], v37 offset:512
	ds_load_b128 v[52:55], v37 offset:768
	s_wait_dscnt 0x0
	s_barrier_signal -1
	s_barrier_wait -1
	v_dual_mov_b32 v72, v57 :: v_dual_mov_b32 v73, v56
	v_dual_mov_b32 v56, v59 :: v_dual_mov_b32 v57, v58
	;; [unrolled: 1-line block ×6, first 2 shown]
	v_pk_fma_f32 v[28:29], v[72:73], v[40:41], v[28:29] op_sel_hi:[1,0,1]
	v_pk_fma_f32 v[24:25], v[72:73], v[44:45], v[24:25] op_sel_hi:[1,0,1]
	s_delay_alu instid0(VALU_DEP_4)
	v_pk_fma_f32 v[26:27], v[62:63], v[40:41], v[26:27] op_sel_hi:[1,0,1]
	v_pk_fma_f32 v[18:19], v[72:73], v[48:49], v[18:19] op_sel_hi:[1,0,1]
	;; [unrolled: 1-line block ×6, first 2 shown]
	v_dual_mov_b32 v66, v69 :: v_dual_mov_b32 v67, v68
	v_pk_fma_f32 v[28:29], v[56:57], v[40:41], v[28:29] op_sel:[0,1,0]
	v_pk_fma_f32 v[26:27], v[64:65], v[40:41], v[26:27] op_sel:[0,1,0]
	;; [unrolled: 1-line block ×8, first 2 shown]
	v_dual_mov_b32 v2, v43 :: v_dual_mov_b32 v68, v71
	v_dual_mov_b32 v69, v70 :: v_dual_mov_b32 v70, v47
	;; [unrolled: 1-line block ×3, first 2 shown]
	v_pk_fma_f32 v[28:29], v[58:59], v[42:43], v[28:29] op_sel_hi:[1,0,1]
	v_pk_fma_f32 v[26:27], v[66:67], v[42:43], v[26:27] op_sel_hi:[1,0,1]
	;; [unrolled: 1-line block ×16, first 2 shown]
	s_cbranch_vccnz .LBB90_5
.LBB90_6:                               ;   in Loop: Header=BB90_3 Depth=1
	s_wait_loadcnt 0x0
	v_add_nc_u64_e32 v[30:31], s[6:7], v[30:31]
	s_and_not1_b32 vcc_lo, exec_lo, s1
	s_delay_alu instid0(VALU_DEP_1) | instskip(NEXT) | instid1(VALU_DEP_1)
	v_lshl_add_u64 v[30:31], v[0:1], 1, v[30:31]
	v_add_nc_u64_e32 v[32:33], v[30:31], v[10:11]
	v_add_nc_u64_e32 v[30:31], s[8:9], v[30:31]
	s_cbranch_vccnz .LBB90_8
; %bb.7:                                ;   in Loop: Header=BB90_3 Depth=1
	s_wait_xcnt 0x0
	v_fma_mixlo_f16 v2, s30, v29, 0
	v_fma_mixlo_f16 v40, s30, v28, 0
	s_delay_alu instid0(VALU_DEP_3)
	v_add_nc_u64_e32 v[34:35], s[8:9], v[30:31]
	v_fma_mixlo_f16 v41, s30, v27, 0
	v_fma_mixlo_f16 v42, s30, v26, 0
	s_clause 0x3
	flat_store_b16 v[32:33], v2
	flat_store_b16 v[32:33], v40 offset:32
	flat_store_b16 v[32:33], v41 offset:64
	;; [unrolled: 1-line block ×3, first 2 shown]
	s_wait_xcnt 0x1
	v_add_nc_u64_e32 v[40:41], v[30:31], v[10:11]
	v_fma_mixlo_f16 v2, s30, v25, 0
	v_fma_mixlo_f16 v44, s30, v24, 0
	s_wait_xcnt 0x0
	v_add_nc_u64_e32 v[42:43], v[34:35], v[10:11]
	v_add_nc_u64_e32 v[34:35], s[8:9], v[34:35]
	v_fma_mixlo_f16 v45, s30, v23, 0
	v_fma_mixlo_f16 v46, s30, v22, 0
	s_clause 0x3
	flat_store_b16 v[40:41], v2
	flat_store_b16 v[40:41], v44 offset:32
	flat_store_b16 v[40:41], v45 offset:64
	;; [unrolled: 1-line block ×3, first 2 shown]
	s_wait_xcnt 0x3
	v_fma_mixlo_f16 v2, s30, v19, 0
	s_wait_xcnt 0x0
	v_fma_mixlo_f16 v40, s30, v18, 0
	v_fma_mixlo_f16 v41, s30, v17, 0
	;; [unrolled: 1-line block ×3, first 2 shown]
	v_add_nc_u64_e32 v[34:35], v[34:35], v[10:11]
	s_clause 0x3
	flat_store_b16 v[42:43], v2
	flat_store_b16 v[42:43], v40 offset:32
	flat_store_b16 v[42:43], v41 offset:64
	;; [unrolled: 1-line block ×3, first 2 shown]
	s_wait_xcnt 0x3
	v_fma_mixlo_f16 v2, s30, v15, 0
	s_wait_xcnt 0x2
	v_fma_mixlo_f16 v40, s30, v14, 0
	s_wait_xcnt 0x1
	v_fma_mixlo_f16 v41, s30, v13, 0
	s_wait_xcnt 0x0
	v_fma_mixlo_f16 v42, s30, v12, 0
	s_clause 0x3
	flat_store_b16 v[34:35], v2
	flat_store_b16 v[34:35], v40 offset:32
	flat_store_b16 v[34:35], v41 offset:64
	;; [unrolled: 1-line block ×3, first 2 shown]
	s_cbranch_execnz .LBB90_2
	s_branch .LBB90_9
.LBB90_8:                               ;   in Loop: Header=BB90_3 Depth=1
.LBB90_9:                               ;   in Loop: Header=BB90_3 Depth=1
	v_add_nc_u64_e32 v[20:21], s[14:15], v[20:21]
	s_delay_alu instid0(VALU_DEP_1) | instskip(SKIP_1) | instid1(VALU_DEP_1)
	v_lshl_add_u64 v[20:21], v[4:5], 1, v[20:21]
	s_wait_xcnt 0x0
	v_add_nc_u64_e32 v[34:35], v[20:21], v[10:11]
	v_add_nc_u64_e32 v[20:21], s[16:17], v[20:21]
	flat_load_u16 v2, v[34:35]
	s_wait_loadcnt_dscnt 0x0
	v_cvt_f32_f16_e32 v2, v2
	s_delay_alu instid0(VALU_DEP_1) | instskip(NEXT) | instid1(VALU_DEP_1)
	v_mul_f32_e32 v2, s33, v2
	v_fma_mixlo_f16 v2, s30, v29, v2
	flat_store_b16 v[32:33], v2
	flat_load_u16 v2, v[34:35] offset:32
	s_wait_loadcnt_dscnt 0x0
	v_cvt_f32_f16_e32 v2, v2
	s_delay_alu instid0(VALU_DEP_1) | instskip(NEXT) | instid1(VALU_DEP_1)
	v_mul_f32_e32 v2, s33, v2
	v_fma_mixlo_f16 v2, s30, v28, v2
	v_add_nc_u64_e32 v[28:29], v[20:21], v[10:11]
	v_add_nc_u64_e32 v[20:21], s[16:17], v[20:21]
	flat_store_b16 v[32:33], v2 offset:32
	flat_load_u16 v2, v[34:35] offset:64
	s_wait_loadcnt_dscnt 0x0
	v_cvt_f32_f16_e32 v2, v2
	s_delay_alu instid0(VALU_DEP_1) | instskip(NEXT) | instid1(VALU_DEP_1)
	v_mul_f32_e32 v2, s33, v2
	v_fma_mixlo_f16 v2, s30, v27, v2
	flat_store_b16 v[32:33], v2 offset:64
	flat_load_u16 v2, v[34:35] offset:96
	s_wait_loadcnt_dscnt 0x0
	v_cvt_f32_f16_e32 v2, v2
	s_delay_alu instid0(VALU_DEP_1) | instskip(NEXT) | instid1(VALU_DEP_1)
	v_mul_f32_e32 v2, s33, v2
	v_fma_mixlo_f16 v2, s30, v26, v2
	v_add_nc_u64_e32 v[26:27], v[30:31], v[10:11]
	flat_store_b16 v[32:33], v2 offset:96
	flat_load_u16 v2, v[28:29]
	s_wait_loadcnt_dscnt 0x0
	v_cvt_f32_f16_e32 v2, v2
	s_delay_alu instid0(VALU_DEP_1) | instskip(NEXT) | instid1(VALU_DEP_1)
	v_mul_f32_e32 v2, s33, v2
	v_fma_mixlo_f16 v2, s30, v25, v2
	flat_store_b16 v[26:27], v2
	flat_load_u16 v2, v[28:29] offset:32
	s_wait_loadcnt_dscnt 0x0
	v_cvt_f32_f16_e32 v2, v2
	s_delay_alu instid0(VALU_DEP_1) | instskip(NEXT) | instid1(VALU_DEP_1)
	v_mul_f32_e32 v2, s33, v2
	v_fma_mixlo_f16 v2, s30, v24, v2
	v_add_nc_u64_e32 v[24:25], v[20:21], v[10:11]
	flat_store_b16 v[26:27], v2 offset:32
	flat_load_u16 v2, v[28:29] offset:64
	s_wait_loadcnt_dscnt 0x0
	v_cvt_f32_f16_e32 v2, v2
	s_delay_alu instid0(VALU_DEP_1) | instskip(NEXT) | instid1(VALU_DEP_1)
	v_mul_f32_e32 v2, s33, v2
	v_fma_mixlo_f16 v2, s30, v23, v2
	flat_store_b16 v[26:27], v2 offset:64
	flat_load_u16 v2, v[28:29] offset:96
	s_wait_loadcnt_dscnt 0x0
	v_cvt_f32_f16_e32 v2, v2
	s_delay_alu instid0(VALU_DEP_1) | instskip(NEXT) | instid1(VALU_DEP_1)
	v_mul_f32_e32 v2, s33, v2
	v_fma_mixlo_f16 v2, s30, v22, v2
	v_add_nc_u64_e32 v[22:23], s[8:9], v[30:31]
	flat_store_b16 v[26:27], v2 offset:96
	flat_load_u16 v2, v[24:25]
	v_add_nc_u64_e32 v[26:27], v[22:23], v[10:11]
	s_wait_loadcnt_dscnt 0x0
	v_cvt_f32_f16_e32 v2, v2
	s_delay_alu instid0(VALU_DEP_1) | instskip(NEXT) | instid1(VALU_DEP_1)
	v_mul_f32_e32 v2, s33, v2
	v_fma_mixlo_f16 v2, s30, v19, v2
	flat_store_b16 v[26:27], v2
	flat_load_u16 v2, v[24:25] offset:32
	s_wait_loadcnt_dscnt 0x0
	v_cvt_f32_f16_e32 v2, v2
	s_delay_alu instid0(VALU_DEP_1) | instskip(NEXT) | instid1(VALU_DEP_1)
	v_mul_f32_e32 v2, s33, v2
	v_fma_mixlo_f16 v2, s30, v18, v2
	v_add_nc_u64_e32 v[18:19], s[16:17], v[20:21]
	flat_store_b16 v[26:27], v2 offset:32
	flat_load_u16 v2, v[24:25] offset:64
	v_add_nc_u64_e32 v[18:19], v[18:19], v[10:11]
	s_wait_loadcnt_dscnt 0x0
	v_cvt_f32_f16_e32 v2, v2
	s_delay_alu instid0(VALU_DEP_1) | instskip(NEXT) | instid1(VALU_DEP_1)
	v_mul_f32_e32 v2, s33, v2
	v_fma_mixlo_f16 v2, s30, v17, v2
	flat_store_b16 v[26:27], v2 offset:64
	flat_load_u16 v2, v[24:25] offset:96
	s_wait_loadcnt_dscnt 0x0
	v_cvt_f32_f16_e32 v2, v2
	s_delay_alu instid0(VALU_DEP_1) | instskip(NEXT) | instid1(VALU_DEP_1)
	v_mul_f32_e32 v2, s33, v2
	v_fma_mixlo_f16 v2, s30, v16, v2
	v_add_nc_u64_e32 v[16:17], s[8:9], v[22:23]
	flat_store_b16 v[26:27], v2 offset:96
	flat_load_u16 v2, v[18:19]
	v_add_nc_u64_e32 v[16:17], v[16:17], v[10:11]
	s_wait_loadcnt_dscnt 0x0
	v_cvt_f32_f16_e32 v2, v2
	s_delay_alu instid0(VALU_DEP_1) | instskip(NEXT) | instid1(VALU_DEP_1)
	v_mul_f32_e32 v2, s33, v2
	v_fma_mixlo_f16 v2, s30, v15, v2
	flat_store_b16 v[16:17], v2
	flat_load_u16 v2, v[18:19] offset:32
	s_wait_loadcnt_dscnt 0x0
	v_cvt_f32_f16_e32 v2, v2
	s_delay_alu instid0(VALU_DEP_1) | instskip(NEXT) | instid1(VALU_DEP_1)
	v_mul_f32_e32 v2, s33, v2
	v_fma_mixlo_f16 v2, s30, v14, v2
	flat_store_b16 v[16:17], v2 offset:32
	flat_load_u16 v2, v[18:19] offset:64
	s_wait_loadcnt_dscnt 0x0
	v_cvt_f32_f16_e32 v2, v2
	s_delay_alu instid0(VALU_DEP_1) | instskip(NEXT) | instid1(VALU_DEP_1)
	v_mul_f32_e32 v2, s33, v2
	v_fma_mixlo_f16 v2, s30, v13, v2
	flat_store_b16 v[16:17], v2 offset:64
	;; [unrolled: 7-line block ×3, first 2 shown]
	s_branch .LBB90_2
.LBB90_10:
	s_sendmsg sendmsg(MSG_DEALLOC_VGPRS)
	s_endpgm
	.section	.rodata,"a",@progbits
	.p2align	6, 0x0
	.amdhsa_kernel _ZN12_GLOBAL__N_127rocblas_gemm_batched_kernelIfLi16ELi16ELi64ELi64ELi4ELi64ELi4ELi4ELi64ELc67ELc78EKPKDF16_S3_KPDF16_EEvlllT_PT11_llS8_llS6_PT12_llPT13_lli
		.amdhsa_group_segment_fixed_size 2048
		.amdhsa_private_segment_fixed_size 0
		.amdhsa_kernarg_size 140
		.amdhsa_user_sgpr_count 2
		.amdhsa_user_sgpr_dispatch_ptr 0
		.amdhsa_user_sgpr_queue_ptr 0
		.amdhsa_user_sgpr_kernarg_segment_ptr 1
		.amdhsa_user_sgpr_dispatch_id 0
		.amdhsa_user_sgpr_kernarg_preload_length 0
		.amdhsa_user_sgpr_kernarg_preload_offset 0
		.amdhsa_user_sgpr_private_segment_size 0
		.amdhsa_wavefront_size32 1
		.amdhsa_uses_dynamic_stack 0
		.amdhsa_enable_private_segment 0
		.amdhsa_system_sgpr_workgroup_id_x 1
		.amdhsa_system_sgpr_workgroup_id_y 1
		.amdhsa_system_sgpr_workgroup_id_z 1
		.amdhsa_system_sgpr_workgroup_info 0
		.amdhsa_system_vgpr_workitem_id 1
		.amdhsa_next_free_vgpr 78
		.amdhsa_next_free_sgpr 36
		.amdhsa_named_barrier_count 0
		.amdhsa_reserve_vcc 1
		.amdhsa_float_round_mode_32 0
		.amdhsa_float_round_mode_16_64 0
		.amdhsa_float_denorm_mode_32 3
		.amdhsa_float_denorm_mode_16_64 3
		.amdhsa_fp16_overflow 0
		.amdhsa_memory_ordered 1
		.amdhsa_forward_progress 1
		.amdhsa_inst_pref_size 21
		.amdhsa_round_robin_scheduling 0
		.amdhsa_exception_fp_ieee_invalid_op 0
		.amdhsa_exception_fp_denorm_src 0
		.amdhsa_exception_fp_ieee_div_zero 0
		.amdhsa_exception_fp_ieee_overflow 0
		.amdhsa_exception_fp_ieee_underflow 0
		.amdhsa_exception_fp_ieee_inexact 0
		.amdhsa_exception_int_div_zero 0
	.end_amdhsa_kernel
	.section	.text._ZN12_GLOBAL__N_127rocblas_gemm_batched_kernelIfLi16ELi16ELi64ELi64ELi4ELi64ELi4ELi4ELi64ELc67ELc78EKPKDF16_S3_KPDF16_EEvlllT_PT11_llS8_llS6_PT12_llPT13_lli,"axG",@progbits,_ZN12_GLOBAL__N_127rocblas_gemm_batched_kernelIfLi16ELi16ELi64ELi64ELi4ELi64ELi4ELi4ELi64ELc67ELc78EKPKDF16_S3_KPDF16_EEvlllT_PT11_llS8_llS6_PT12_llPT13_lli,comdat
.Lfunc_end90:
	.size	_ZN12_GLOBAL__N_127rocblas_gemm_batched_kernelIfLi16ELi16ELi64ELi64ELi4ELi64ELi4ELi4ELi64ELc67ELc78EKPKDF16_S3_KPDF16_EEvlllT_PT11_llS8_llS6_PT12_llPT13_lli, .Lfunc_end90-_ZN12_GLOBAL__N_127rocblas_gemm_batched_kernelIfLi16ELi16ELi64ELi64ELi4ELi64ELi4ELi4ELi64ELc67ELc78EKPKDF16_S3_KPDF16_EEvlllT_PT11_llS8_llS6_PT12_llPT13_lli
                                        ; -- End function
	.set _ZN12_GLOBAL__N_127rocblas_gemm_batched_kernelIfLi16ELi16ELi64ELi64ELi4ELi64ELi4ELi4ELi64ELc67ELc78EKPKDF16_S3_KPDF16_EEvlllT_PT11_llS8_llS6_PT12_llPT13_lli.num_vgpr, 78
	.set _ZN12_GLOBAL__N_127rocblas_gemm_batched_kernelIfLi16ELi16ELi64ELi64ELi4ELi64ELi4ELi4ELi64ELc67ELc78EKPKDF16_S3_KPDF16_EEvlllT_PT11_llS8_llS6_PT12_llPT13_lli.num_agpr, 0
	.set _ZN12_GLOBAL__N_127rocblas_gemm_batched_kernelIfLi16ELi16ELi64ELi64ELi4ELi64ELi4ELi4ELi64ELc67ELc78EKPKDF16_S3_KPDF16_EEvlllT_PT11_llS8_llS6_PT12_llPT13_lli.numbered_sgpr, 36
	.set _ZN12_GLOBAL__N_127rocblas_gemm_batched_kernelIfLi16ELi16ELi64ELi64ELi4ELi64ELi4ELi4ELi64ELc67ELc78EKPKDF16_S3_KPDF16_EEvlllT_PT11_llS8_llS6_PT12_llPT13_lli.num_named_barrier, 0
	.set _ZN12_GLOBAL__N_127rocblas_gemm_batched_kernelIfLi16ELi16ELi64ELi64ELi4ELi64ELi4ELi4ELi64ELc67ELc78EKPKDF16_S3_KPDF16_EEvlllT_PT11_llS8_llS6_PT12_llPT13_lli.private_seg_size, 0
	.set _ZN12_GLOBAL__N_127rocblas_gemm_batched_kernelIfLi16ELi16ELi64ELi64ELi4ELi64ELi4ELi4ELi64ELc67ELc78EKPKDF16_S3_KPDF16_EEvlllT_PT11_llS8_llS6_PT12_llPT13_lli.uses_vcc, 1
	.set _ZN12_GLOBAL__N_127rocblas_gemm_batched_kernelIfLi16ELi16ELi64ELi64ELi4ELi64ELi4ELi4ELi64ELc67ELc78EKPKDF16_S3_KPDF16_EEvlllT_PT11_llS8_llS6_PT12_llPT13_lli.uses_flat_scratch, 1
	.set _ZN12_GLOBAL__N_127rocblas_gemm_batched_kernelIfLi16ELi16ELi64ELi64ELi4ELi64ELi4ELi4ELi64ELc67ELc78EKPKDF16_S3_KPDF16_EEvlllT_PT11_llS8_llS6_PT12_llPT13_lli.has_dyn_sized_stack, 0
	.set _ZN12_GLOBAL__N_127rocblas_gemm_batched_kernelIfLi16ELi16ELi64ELi64ELi4ELi64ELi4ELi4ELi64ELc67ELc78EKPKDF16_S3_KPDF16_EEvlllT_PT11_llS8_llS6_PT12_llPT13_lli.has_recursion, 0
	.set _ZN12_GLOBAL__N_127rocblas_gemm_batched_kernelIfLi16ELi16ELi64ELi64ELi4ELi64ELi4ELi4ELi64ELc67ELc78EKPKDF16_S3_KPDF16_EEvlllT_PT11_llS8_llS6_PT12_llPT13_lli.has_indirect_call, 0
	.section	.AMDGPU.csdata,"",@progbits
; Kernel info:
; codeLenInByte = 2584
; TotalNumSgprs: 38
; NumVgprs: 78
; ScratchSize: 0
; MemoryBound: 0
; FloatMode: 240
; IeeeMode: 1
; LDSByteSize: 2048 bytes/workgroup (compile time only)
; SGPRBlocks: 0
; VGPRBlocks: 4
; NumSGPRsForWavesPerEU: 38
; NumVGPRsForWavesPerEU: 78
; NamedBarCnt: 0
; Occupancy: 12
; WaveLimiterHint : 1
; COMPUTE_PGM_RSRC2:SCRATCH_EN: 0
; COMPUTE_PGM_RSRC2:USER_SGPR: 2
; COMPUTE_PGM_RSRC2:TRAP_HANDLER: 0
; COMPUTE_PGM_RSRC2:TGID_X_EN: 1
; COMPUTE_PGM_RSRC2:TGID_Y_EN: 1
; COMPUTE_PGM_RSRC2:TGID_Z_EN: 1
; COMPUTE_PGM_RSRC2:TIDIG_COMP_CNT: 1
	.section	.text._ZN12_GLOBAL__N_127rocblas_gemm_batched_kernelIfLi16ELi16ELi64ELi64ELi4ELi64ELi4ELi4ELi64ELc67ELc84EKPKDF16_S3_KPDF16_EEvlllT_PT11_llS8_llS6_PT12_llPT13_lli,"axG",@progbits,_ZN12_GLOBAL__N_127rocblas_gemm_batched_kernelIfLi16ELi16ELi64ELi64ELi4ELi64ELi4ELi4ELi64ELc67ELc84EKPKDF16_S3_KPDF16_EEvlllT_PT11_llS8_llS6_PT12_llPT13_lli,comdat
	.globl	_ZN12_GLOBAL__N_127rocblas_gemm_batched_kernelIfLi16ELi16ELi64ELi64ELi4ELi64ELi4ELi4ELi64ELc67ELc84EKPKDF16_S3_KPDF16_EEvlllT_PT11_llS8_llS6_PT12_llPT13_lli ; -- Begin function _ZN12_GLOBAL__N_127rocblas_gemm_batched_kernelIfLi16ELi16ELi64ELi64ELi4ELi64ELi4ELi4ELi64ELc67ELc84EKPKDF16_S3_KPDF16_EEvlllT_PT11_llS8_llS6_PT12_llPT13_lli
	.p2align	8
	.type	_ZN12_GLOBAL__N_127rocblas_gemm_batched_kernelIfLi16ELi16ELi64ELi64ELi4ELi64ELi4ELi4ELi64ELc67ELc84EKPKDF16_S3_KPDF16_EEvlllT_PT11_llS8_llS6_PT12_llPT13_lli,@function
_ZN12_GLOBAL__N_127rocblas_gemm_batched_kernelIfLi16ELi16ELi64ELi64ELi4ELi64ELi4ELi4ELi64ELc67ELc84EKPKDF16_S3_KPDF16_EEvlllT_PT11_llS8_llS6_PT12_llPT13_lli: ; @_ZN12_GLOBAL__N_127rocblas_gemm_batched_kernelIfLi16ELi16ELi64ELi64ELi4ELi64ELi4ELi4ELi64ELc67ELc84EKPKDF16_S3_KPDF16_EEvlllT_PT11_llS8_llS6_PT12_llPT13_lli
; %bb.0:
	s_load_b32 s31, s[0:1], 0x88
	s_bfe_u32 s2, ttmp6, 0x40014
	s_lshr_b32 s3, ttmp7, 16
	s_add_co_i32 s2, s2, 1
	s_bfe_u32 s4, ttmp6, 0x40008
	s_mul_i32 s2, s3, s2
	s_getreg_b32 s28, hwreg(HW_REG_IB_STS2, 6, 4)
	s_add_co_i32 s4, s4, s2
	s_cmp_eq_u32 s28, 0
	s_cselect_b32 s2, s3, s4
	s_mov_b32 s3, 0
	s_wait_kmcnt 0x0
	s_cmp_ge_i32 s2, s31
	s_cbranch_scc1 .LBB91_10
; %bb.1:
	v_bfe_u32 v2, v0, 10, 10
	v_and_b32_e32 v6, 0x3ff, v0
	s_bfe_u32 s30, ttmp6, 0x4000c
	s_bfe_u32 s34, ttmp6, 0x40010
	s_clause 0x2
	s_load_b256 s[4:11], s[0:1], 0x20
	s_load_b128 s[24:27], s[0:1], 0x40
	s_load_b128 s[20:23], s[0:1], 0x78
	v_dual_mov_b32 v3, 0 :: v_dual_lshlrev_b32 v14, 4, v2
	s_and_b32 s33, ttmp7, 0xffff
	s_add_co_i32 s30, s30, 1
	s_add_co_i32 s34, s34, 1
	s_and_b32 s29, ttmp6, 15
	s_mul_i32 s30, ttmp9, s30
	s_mul_i32 s34, s33, s34
	s_bfe_u32 s35, ttmp6, 0x40004
	v_dual_add_nc_u32 v7, v14, v6 :: v_dual_bitop2_b32 v16, 3, v0 bitop3:0x40
	s_add_co_i32 s29, s29, s30
	s_add_co_i32 s35, s35, s34
	s_cmp_eq_u32 s28, 0
	s_delay_alu instid0(VALU_DEP_1)
	v_dual_lshrrev_b32 v8, 2, v7 :: v_dual_bitop2_b32 v15, 63, v7 bitop3:0x40
	s_cselect_b32 s28, ttmp9, s29
	s_cselect_b32 s30, s33, s35
	s_ashr_i32 s29, s28, 31
	s_load_b256 s[12:19], s[0:1], 0x58
	s_lshl_b64 s[34:35], s[28:29], 6
	s_delay_alu instid0(SALU_CYCLE_1)
	v_dual_mov_b32 v9, v3 :: v_dual_bitop2_b32 v0, s34, v15 bitop3:0x54
	v_mov_b32_e32 v1, s35
	s_load_b32 s33, s[0:1], 0x50
	v_add_nc_u32_e32 v39, 0x400, v14
	s_wait_kmcnt 0x0
	v_mad_nc_u64_u32 v[10:11], s24, v16, v[8:9]
	v_lshlrev_b32_e32 v9, 2, v15
	v_mul_u64_e32 v[12:13], s[6:7], v[0:1]
	s_lshl_b32 s6, s30, 6
	s_mov_b32 s7, s3
	s_load_b96 s[28:30], s[0:1], 0x10
	v_add_nc_u64_e32 v[4:5], s[6:7], v[2:3]
	v_dual_lshrrev_b32 v2, 6, v7 :: v_dual_lshlrev_b32 v7, 2, v16
	v_lshlrev_b32_e32 v38, 2, v6
	v_mad_u32 v11, s25, v16, v11
	s_delay_alu instid0(VALU_DEP_3)
	v_lshl_or_b32 v36, v2, 8, v9
	v_mul_u64_e32 v[0:1], s[20:21], v[4:5]
	v_mul_u64_e32 v[4:5], s[14:15], v[4:5]
	v_lshl_or_b32 v15, v8, 4, v7
	v_dual_mov_b32 v7, v3 :: v_dual_lshlrev_b32 v2, 1, v2
	s_cmp_eq_f32 s33, 0
	s_delay_alu instid0(VALU_DEP_2)
	v_add_nc_u32_e32 v37, 0x400, v15
	v_add_nc_u64_e32 v[8:9], s[6:7], v[10:11]
	s_wait_xcnt 0x0
	s_cselect_b32 s1, -1, 0
	v_add_nc_u64_e32 v[10:11], s[34:35], v[6:7]
	s_wait_kmcnt 0x0
	v_cmp_gt_i64_e64 s0, s[28:29], 0
	s_lshl_b64 s[6:7], s[8:9], 1
	s_lshl_b64 s[20:21], s[20:21], 4
	s_lshl_b64 s[34:35], s[14:15], 4
	v_lshlrev_b64_e32 v[6:7], 1, v[8:9]
	s_lshl_b64 s[8:9], s[22:23], 1
	v_lshlrev_b64_e32 v[10:11], 1, v[10:11]
	s_lshl_b64 s[14:15], s[20:21], 1
	s_lshl_b64 s[16:17], s[16:17], 1
	v_lshl_add_u64 v[8:9], v[12:13], 1, s[6:7]
	v_cndmask_b32_e64 v12, 0, 1, s0
	v_lshl_add_u64 v[6:7], s[26:27], 1, v[6:7]
	s_lshl_b64 s[6:7], s[24:25], 3
	s_lshl_b64 s[20:21], s[34:35], 1
	v_add_nc_u64_e32 v[8:9], v[8:9], v[2:3]
	v_cmp_ne_u32_e64 s0, 1, v12
	s_branch .LBB91_3
.LBB91_2:                               ;   in Loop: Header=BB91_3 Depth=1
	s_add_co_i32 s2, s2, 0x10000
	s_delay_alu instid0(SALU_CYCLE_1)
	s_cmp_lt_i32 s2, s31
	s_cbranch_scc0 .LBB91_10
.LBB91_3:                               ; =>This Loop Header: Depth=1
                                        ;     Child Loop BB91_5 Depth 2
	s_wait_xcnt 0x0
	v_dual_mov_b32 v2, s2 :: v_dual_mov_b32 v29, 0
	v_dual_mov_b32 v28, 0 :: v_dual_mov_b32 v27, 0
	;; [unrolled: 1-line block ×3, first 2 shown]
	s_clause 0x1
	global_load_b64 v[20:21], v2, s[12:13] scale_offset
	global_load_b64 v[30:31], v2, s[18:19] scale_offset
	v_dual_mov_b32 v24, 0 :: v_dual_mov_b32 v23, 0
	v_dual_mov_b32 v22, 0 :: v_dual_mov_b32 v19, 0
	;; [unrolled: 1-line block ×5, first 2 shown]
	v_mov_b32_e32 v12, 0
	s_and_b32 vcc_lo, exec_lo, s0
	s_cbranch_vccnz .LBB91_6
; %bb.4:                                ;   in Loop: Header=BB91_3 Depth=1
	s_lshl_b64 s[22:23], s[2:3], 3
	v_mov_b32_e32 v12, 0
	s_add_nc_u64 s[24:25], s[10:11], s[22:23]
	s_add_nc_u64 s[22:23], s[4:5], s[22:23]
	s_clause 0x1
	global_load_b64 v[28:29], v3, s[24:25]
	global_load_b64 v[34:35], v3, s[22:23]
	s_wait_xcnt 0x0
	s_mov_b64 s[22:23], 0
	v_dual_mov_b32 v13, v12 :: v_dual_mov_b32 v14, v12
	v_dual_mov_b32 v15, v12 :: v_dual_mov_b32 v16, v12
	;; [unrolled: 1-line block ×6, first 2 shown]
	v_mov_b32_e32 v27, v12
	s_wait_loadcnt 0x1
	v_add_nc_u64_e32 v[32:33], v[28:29], v[6:7]
	s_wait_loadcnt 0x0
	v_add_nc_u64_e32 v[34:35], v[34:35], v[8:9]
	v_dual_mov_b32 v28, v12 :: v_dual_mov_b32 v29, v12
.LBB91_5:                               ;   Parent Loop BB91_3 Depth=1
                                        ; =>  This Inner Loop Header: Depth=2
	flat_load_u16 v2, v[34:35]
	flat_load_u16 v40, v[32:33]
	s_add_nc_u64 s[22:23], s[22:23], 4
	s_wait_xcnt 0x0
	v_add_nc_u64_e32 v[32:33], s[6:7], v[32:33]
	v_cmp_lt_i64_e64 s24, s[22:23], s[28:29]
	v_add_nc_u64_e32 v[34:35], 8, v[34:35]
	s_and_b32 vcc_lo, exec_lo, s24
	s_wait_loadcnt_dscnt 0x101
	v_cvt_f32_f16_e32 v2, v2
	s_wait_loadcnt_dscnt 0x0
	v_cvt_f32_f16_e32 v40, v40
	ds_store_b32 v36, v2
	ds_store_b32 v37, v40
	s_wait_dscnt 0x0
	s_barrier_signal -1
	s_barrier_wait -1
	ds_load_2addr_b32 v[56:57], v38 offset1:16
	ds_load_2addr_b32 v[58:59], v38 offset0:64 offset1:80
	ds_load_2addr_b32 v[60:61], v38 offset0:128 offset1:144
	;; [unrolled: 1-line block ×6, first 2 shown]
	ds_load_b128 v[40:43], v39
	ds_load_b128 v[44:47], v39 offset:256
	ds_load_2addr_b32 v[70:71], v38 offset0:224 offset1:240
	ds_load_b128 v[48:51], v39 offset:512
	ds_load_b128 v[52:55], v39 offset:768
	s_wait_dscnt 0x0
	s_barrier_signal -1
	s_barrier_wait -1
	v_dual_mov_b32 v72, v57 :: v_dual_mov_b32 v73, v56
	v_dual_mov_b32 v56, v59 :: v_dual_mov_b32 v57, v58
	;; [unrolled: 1-line block ×6, first 2 shown]
	v_pk_fma_f32 v[28:29], v[72:73], v[40:41], v[28:29] op_sel_hi:[1,0,1]
	v_pk_fma_f32 v[24:25], v[72:73], v[44:45], v[24:25] op_sel_hi:[1,0,1]
	s_delay_alu instid0(VALU_DEP_4)
	v_pk_fma_f32 v[26:27], v[62:63], v[40:41], v[26:27] op_sel_hi:[1,0,1]
	v_pk_fma_f32 v[18:19], v[72:73], v[48:49], v[18:19] op_sel_hi:[1,0,1]
	;; [unrolled: 1-line block ×6, first 2 shown]
	v_dual_mov_b32 v66, v69 :: v_dual_mov_b32 v67, v68
	v_pk_fma_f32 v[28:29], v[56:57], v[40:41], v[28:29] op_sel:[0,1,0]
	v_pk_fma_f32 v[26:27], v[64:65], v[40:41], v[26:27] op_sel:[0,1,0]
	;; [unrolled: 1-line block ×8, first 2 shown]
	v_dual_mov_b32 v2, v43 :: v_dual_mov_b32 v68, v71
	v_dual_mov_b32 v69, v70 :: v_dual_mov_b32 v70, v47
	;; [unrolled: 1-line block ×3, first 2 shown]
	v_pk_fma_f32 v[28:29], v[58:59], v[42:43], v[28:29] op_sel_hi:[1,0,1]
	v_pk_fma_f32 v[26:27], v[66:67], v[42:43], v[26:27] op_sel_hi:[1,0,1]
	;; [unrolled: 1-line block ×16, first 2 shown]
	s_cbranch_vccnz .LBB91_5
.LBB91_6:                               ;   in Loop: Header=BB91_3 Depth=1
	s_wait_loadcnt 0x0
	v_add_nc_u64_e32 v[30:31], s[8:9], v[30:31]
	s_and_not1_b32 vcc_lo, exec_lo, s1
	s_delay_alu instid0(VALU_DEP_1) | instskip(NEXT) | instid1(VALU_DEP_1)
	v_lshl_add_u64 v[30:31], v[0:1], 1, v[30:31]
	v_add_nc_u64_e32 v[32:33], v[30:31], v[10:11]
	v_add_nc_u64_e32 v[30:31], s[14:15], v[30:31]
	s_cbranch_vccnz .LBB91_8
; %bb.7:                                ;   in Loop: Header=BB91_3 Depth=1
	s_wait_xcnt 0x0
	v_fma_mixlo_f16 v2, s30, v29, 0
	v_fma_mixlo_f16 v40, s30, v28, 0
	s_delay_alu instid0(VALU_DEP_3)
	v_add_nc_u64_e32 v[34:35], s[14:15], v[30:31]
	v_fma_mixlo_f16 v41, s30, v27, 0
	v_fma_mixlo_f16 v42, s30, v26, 0
	s_clause 0x3
	flat_store_b16 v[32:33], v2
	flat_store_b16 v[32:33], v40 offset:32
	flat_store_b16 v[32:33], v41 offset:64
	;; [unrolled: 1-line block ×3, first 2 shown]
	s_wait_xcnt 0x1
	v_add_nc_u64_e32 v[40:41], v[30:31], v[10:11]
	v_fma_mixlo_f16 v2, s30, v25, 0
	v_fma_mixlo_f16 v44, s30, v24, 0
	s_wait_xcnt 0x0
	v_add_nc_u64_e32 v[42:43], v[34:35], v[10:11]
	v_add_nc_u64_e32 v[34:35], s[14:15], v[34:35]
	v_fma_mixlo_f16 v45, s30, v23, 0
	v_fma_mixlo_f16 v46, s30, v22, 0
	s_clause 0x3
	flat_store_b16 v[40:41], v2
	flat_store_b16 v[40:41], v44 offset:32
	flat_store_b16 v[40:41], v45 offset:64
	;; [unrolled: 1-line block ×3, first 2 shown]
	s_wait_xcnt 0x3
	v_fma_mixlo_f16 v2, s30, v19, 0
	s_wait_xcnt 0x0
	v_fma_mixlo_f16 v40, s30, v18, 0
	v_fma_mixlo_f16 v41, s30, v17, 0
	;; [unrolled: 1-line block ×3, first 2 shown]
	v_add_nc_u64_e32 v[34:35], v[34:35], v[10:11]
	s_clause 0x3
	flat_store_b16 v[42:43], v2
	flat_store_b16 v[42:43], v40 offset:32
	flat_store_b16 v[42:43], v41 offset:64
	;; [unrolled: 1-line block ×3, first 2 shown]
	s_wait_xcnt 0x3
	v_fma_mixlo_f16 v2, s30, v15, 0
	s_wait_xcnt 0x2
	v_fma_mixlo_f16 v40, s30, v14, 0
	s_wait_xcnt 0x1
	v_fma_mixlo_f16 v41, s30, v13, 0
	s_wait_xcnt 0x0
	v_fma_mixlo_f16 v42, s30, v12, 0
	s_clause 0x3
	flat_store_b16 v[34:35], v2
	flat_store_b16 v[34:35], v40 offset:32
	flat_store_b16 v[34:35], v41 offset:64
	flat_store_b16 v[34:35], v42 offset:96
	s_cbranch_execnz .LBB91_2
	s_branch .LBB91_9
.LBB91_8:                               ;   in Loop: Header=BB91_3 Depth=1
.LBB91_9:                               ;   in Loop: Header=BB91_3 Depth=1
	v_add_nc_u64_e32 v[20:21], s[16:17], v[20:21]
	s_delay_alu instid0(VALU_DEP_1) | instskip(SKIP_1) | instid1(VALU_DEP_1)
	v_lshl_add_u64 v[20:21], v[4:5], 1, v[20:21]
	s_wait_xcnt 0x0
	v_add_nc_u64_e32 v[34:35], v[20:21], v[10:11]
	v_add_nc_u64_e32 v[20:21], s[20:21], v[20:21]
	flat_load_u16 v2, v[34:35]
	s_wait_loadcnt_dscnt 0x0
	v_cvt_f32_f16_e32 v2, v2
	s_delay_alu instid0(VALU_DEP_1) | instskip(NEXT) | instid1(VALU_DEP_1)
	v_mul_f32_e32 v2, s33, v2
	v_fma_mixlo_f16 v2, s30, v29, v2
	flat_store_b16 v[32:33], v2
	flat_load_u16 v2, v[34:35] offset:32
	s_wait_loadcnt_dscnt 0x0
	v_cvt_f32_f16_e32 v2, v2
	s_delay_alu instid0(VALU_DEP_1) | instskip(NEXT) | instid1(VALU_DEP_1)
	v_mul_f32_e32 v2, s33, v2
	v_fma_mixlo_f16 v2, s30, v28, v2
	v_add_nc_u64_e32 v[28:29], v[20:21], v[10:11]
	v_add_nc_u64_e32 v[20:21], s[20:21], v[20:21]
	flat_store_b16 v[32:33], v2 offset:32
	flat_load_u16 v2, v[34:35] offset:64
	s_wait_loadcnt_dscnt 0x0
	v_cvt_f32_f16_e32 v2, v2
	s_delay_alu instid0(VALU_DEP_1) | instskip(NEXT) | instid1(VALU_DEP_1)
	v_mul_f32_e32 v2, s33, v2
	v_fma_mixlo_f16 v2, s30, v27, v2
	flat_store_b16 v[32:33], v2 offset:64
	flat_load_u16 v2, v[34:35] offset:96
	s_wait_loadcnt_dscnt 0x0
	v_cvt_f32_f16_e32 v2, v2
	s_delay_alu instid0(VALU_DEP_1) | instskip(NEXT) | instid1(VALU_DEP_1)
	v_mul_f32_e32 v2, s33, v2
	v_fma_mixlo_f16 v2, s30, v26, v2
	v_add_nc_u64_e32 v[26:27], v[30:31], v[10:11]
	flat_store_b16 v[32:33], v2 offset:96
	flat_load_u16 v2, v[28:29]
	s_wait_loadcnt_dscnt 0x0
	v_cvt_f32_f16_e32 v2, v2
	s_delay_alu instid0(VALU_DEP_1) | instskip(NEXT) | instid1(VALU_DEP_1)
	v_mul_f32_e32 v2, s33, v2
	v_fma_mixlo_f16 v2, s30, v25, v2
	flat_store_b16 v[26:27], v2
	flat_load_u16 v2, v[28:29] offset:32
	s_wait_loadcnt_dscnt 0x0
	v_cvt_f32_f16_e32 v2, v2
	s_delay_alu instid0(VALU_DEP_1) | instskip(NEXT) | instid1(VALU_DEP_1)
	v_mul_f32_e32 v2, s33, v2
	v_fma_mixlo_f16 v2, s30, v24, v2
	v_add_nc_u64_e32 v[24:25], v[20:21], v[10:11]
	flat_store_b16 v[26:27], v2 offset:32
	flat_load_u16 v2, v[28:29] offset:64
	s_wait_loadcnt_dscnt 0x0
	v_cvt_f32_f16_e32 v2, v2
	s_delay_alu instid0(VALU_DEP_1) | instskip(NEXT) | instid1(VALU_DEP_1)
	v_mul_f32_e32 v2, s33, v2
	v_fma_mixlo_f16 v2, s30, v23, v2
	flat_store_b16 v[26:27], v2 offset:64
	flat_load_u16 v2, v[28:29] offset:96
	s_wait_loadcnt_dscnt 0x0
	v_cvt_f32_f16_e32 v2, v2
	s_delay_alu instid0(VALU_DEP_1) | instskip(NEXT) | instid1(VALU_DEP_1)
	v_mul_f32_e32 v2, s33, v2
	v_fma_mixlo_f16 v2, s30, v22, v2
	v_add_nc_u64_e32 v[22:23], s[14:15], v[30:31]
	flat_store_b16 v[26:27], v2 offset:96
	flat_load_u16 v2, v[24:25]
	v_add_nc_u64_e32 v[26:27], v[22:23], v[10:11]
	s_wait_loadcnt_dscnt 0x0
	v_cvt_f32_f16_e32 v2, v2
	s_delay_alu instid0(VALU_DEP_1) | instskip(NEXT) | instid1(VALU_DEP_1)
	v_mul_f32_e32 v2, s33, v2
	v_fma_mixlo_f16 v2, s30, v19, v2
	flat_store_b16 v[26:27], v2
	flat_load_u16 v2, v[24:25] offset:32
	s_wait_loadcnt_dscnt 0x0
	v_cvt_f32_f16_e32 v2, v2
	s_delay_alu instid0(VALU_DEP_1) | instskip(NEXT) | instid1(VALU_DEP_1)
	v_mul_f32_e32 v2, s33, v2
	v_fma_mixlo_f16 v2, s30, v18, v2
	v_add_nc_u64_e32 v[18:19], s[20:21], v[20:21]
	flat_store_b16 v[26:27], v2 offset:32
	flat_load_u16 v2, v[24:25] offset:64
	v_add_nc_u64_e32 v[18:19], v[18:19], v[10:11]
	s_wait_loadcnt_dscnt 0x0
	v_cvt_f32_f16_e32 v2, v2
	s_delay_alu instid0(VALU_DEP_1) | instskip(NEXT) | instid1(VALU_DEP_1)
	v_mul_f32_e32 v2, s33, v2
	v_fma_mixlo_f16 v2, s30, v17, v2
	flat_store_b16 v[26:27], v2 offset:64
	flat_load_u16 v2, v[24:25] offset:96
	s_wait_loadcnt_dscnt 0x0
	v_cvt_f32_f16_e32 v2, v2
	s_delay_alu instid0(VALU_DEP_1) | instskip(NEXT) | instid1(VALU_DEP_1)
	v_mul_f32_e32 v2, s33, v2
	v_fma_mixlo_f16 v2, s30, v16, v2
	v_add_nc_u64_e32 v[16:17], s[14:15], v[22:23]
	flat_store_b16 v[26:27], v2 offset:96
	flat_load_u16 v2, v[18:19]
	v_add_nc_u64_e32 v[16:17], v[16:17], v[10:11]
	s_wait_loadcnt_dscnt 0x0
	v_cvt_f32_f16_e32 v2, v2
	s_delay_alu instid0(VALU_DEP_1) | instskip(NEXT) | instid1(VALU_DEP_1)
	v_mul_f32_e32 v2, s33, v2
	v_fma_mixlo_f16 v2, s30, v15, v2
	flat_store_b16 v[16:17], v2
	flat_load_u16 v2, v[18:19] offset:32
	s_wait_loadcnt_dscnt 0x0
	v_cvt_f32_f16_e32 v2, v2
	s_delay_alu instid0(VALU_DEP_1) | instskip(NEXT) | instid1(VALU_DEP_1)
	v_mul_f32_e32 v2, s33, v2
	v_fma_mixlo_f16 v2, s30, v14, v2
	flat_store_b16 v[16:17], v2 offset:32
	flat_load_u16 v2, v[18:19] offset:64
	s_wait_loadcnt_dscnt 0x0
	v_cvt_f32_f16_e32 v2, v2
	s_delay_alu instid0(VALU_DEP_1) | instskip(NEXT) | instid1(VALU_DEP_1)
	v_mul_f32_e32 v2, s33, v2
	v_fma_mixlo_f16 v2, s30, v13, v2
	flat_store_b16 v[16:17], v2 offset:64
	;; [unrolled: 7-line block ×3, first 2 shown]
	s_branch .LBB91_2
.LBB91_10:
	s_sendmsg sendmsg(MSG_DEALLOC_VGPRS)
	s_endpgm
	.section	.rodata,"a",@progbits
	.p2align	6, 0x0
	.amdhsa_kernel _ZN12_GLOBAL__N_127rocblas_gemm_batched_kernelIfLi16ELi16ELi64ELi64ELi4ELi64ELi4ELi4ELi64ELc67ELc84EKPKDF16_S3_KPDF16_EEvlllT_PT11_llS8_llS6_PT12_llPT13_lli
		.amdhsa_group_segment_fixed_size 2048
		.amdhsa_private_segment_fixed_size 0
		.amdhsa_kernarg_size 140
		.amdhsa_user_sgpr_count 2
		.amdhsa_user_sgpr_dispatch_ptr 0
		.amdhsa_user_sgpr_queue_ptr 0
		.amdhsa_user_sgpr_kernarg_segment_ptr 1
		.amdhsa_user_sgpr_dispatch_id 0
		.amdhsa_user_sgpr_kernarg_preload_length 0
		.amdhsa_user_sgpr_kernarg_preload_offset 0
		.amdhsa_user_sgpr_private_segment_size 0
		.amdhsa_wavefront_size32 1
		.amdhsa_uses_dynamic_stack 0
		.amdhsa_enable_private_segment 0
		.amdhsa_system_sgpr_workgroup_id_x 1
		.amdhsa_system_sgpr_workgroup_id_y 1
		.amdhsa_system_sgpr_workgroup_id_z 1
		.amdhsa_system_sgpr_workgroup_info 0
		.amdhsa_system_vgpr_workitem_id 1
		.amdhsa_next_free_vgpr 78
		.amdhsa_next_free_sgpr 36
		.amdhsa_named_barrier_count 0
		.amdhsa_reserve_vcc 1
		.amdhsa_float_round_mode_32 0
		.amdhsa_float_round_mode_16_64 0
		.amdhsa_float_denorm_mode_32 3
		.amdhsa_float_denorm_mode_16_64 3
		.amdhsa_fp16_overflow 0
		.amdhsa_memory_ordered 1
		.amdhsa_forward_progress 1
		.amdhsa_inst_pref_size 21
		.amdhsa_round_robin_scheduling 0
		.amdhsa_exception_fp_ieee_invalid_op 0
		.amdhsa_exception_fp_denorm_src 0
		.amdhsa_exception_fp_ieee_div_zero 0
		.amdhsa_exception_fp_ieee_overflow 0
		.amdhsa_exception_fp_ieee_underflow 0
		.amdhsa_exception_fp_ieee_inexact 0
		.amdhsa_exception_int_div_zero 0
	.end_amdhsa_kernel
	.section	.text._ZN12_GLOBAL__N_127rocblas_gemm_batched_kernelIfLi16ELi16ELi64ELi64ELi4ELi64ELi4ELi4ELi64ELc67ELc84EKPKDF16_S3_KPDF16_EEvlllT_PT11_llS8_llS6_PT12_llPT13_lli,"axG",@progbits,_ZN12_GLOBAL__N_127rocblas_gemm_batched_kernelIfLi16ELi16ELi64ELi64ELi4ELi64ELi4ELi4ELi64ELc67ELc84EKPKDF16_S3_KPDF16_EEvlllT_PT11_llS8_llS6_PT12_llPT13_lli,comdat
.Lfunc_end91:
	.size	_ZN12_GLOBAL__N_127rocblas_gemm_batched_kernelIfLi16ELi16ELi64ELi64ELi4ELi64ELi4ELi4ELi64ELc67ELc84EKPKDF16_S3_KPDF16_EEvlllT_PT11_llS8_llS6_PT12_llPT13_lli, .Lfunc_end91-_ZN12_GLOBAL__N_127rocblas_gemm_batched_kernelIfLi16ELi16ELi64ELi64ELi4ELi64ELi4ELi4ELi64ELc67ELc84EKPKDF16_S3_KPDF16_EEvlllT_PT11_llS8_llS6_PT12_llPT13_lli
                                        ; -- End function
	.set _ZN12_GLOBAL__N_127rocblas_gemm_batched_kernelIfLi16ELi16ELi64ELi64ELi4ELi64ELi4ELi4ELi64ELc67ELc84EKPKDF16_S3_KPDF16_EEvlllT_PT11_llS8_llS6_PT12_llPT13_lli.num_vgpr, 78
	.set _ZN12_GLOBAL__N_127rocblas_gemm_batched_kernelIfLi16ELi16ELi64ELi64ELi4ELi64ELi4ELi4ELi64ELc67ELc84EKPKDF16_S3_KPDF16_EEvlllT_PT11_llS8_llS6_PT12_llPT13_lli.num_agpr, 0
	.set _ZN12_GLOBAL__N_127rocblas_gemm_batched_kernelIfLi16ELi16ELi64ELi64ELi4ELi64ELi4ELi4ELi64ELc67ELc84EKPKDF16_S3_KPDF16_EEvlllT_PT11_llS8_llS6_PT12_llPT13_lli.numbered_sgpr, 36
	.set _ZN12_GLOBAL__N_127rocblas_gemm_batched_kernelIfLi16ELi16ELi64ELi64ELi4ELi64ELi4ELi4ELi64ELc67ELc84EKPKDF16_S3_KPDF16_EEvlllT_PT11_llS8_llS6_PT12_llPT13_lli.num_named_barrier, 0
	.set _ZN12_GLOBAL__N_127rocblas_gemm_batched_kernelIfLi16ELi16ELi64ELi64ELi4ELi64ELi4ELi4ELi64ELc67ELc84EKPKDF16_S3_KPDF16_EEvlllT_PT11_llS8_llS6_PT12_llPT13_lli.private_seg_size, 0
	.set _ZN12_GLOBAL__N_127rocblas_gemm_batched_kernelIfLi16ELi16ELi64ELi64ELi4ELi64ELi4ELi4ELi64ELc67ELc84EKPKDF16_S3_KPDF16_EEvlllT_PT11_llS8_llS6_PT12_llPT13_lli.uses_vcc, 1
	.set _ZN12_GLOBAL__N_127rocblas_gemm_batched_kernelIfLi16ELi16ELi64ELi64ELi4ELi64ELi4ELi4ELi64ELc67ELc84EKPKDF16_S3_KPDF16_EEvlllT_PT11_llS8_llS6_PT12_llPT13_lli.uses_flat_scratch, 1
	.set _ZN12_GLOBAL__N_127rocblas_gemm_batched_kernelIfLi16ELi16ELi64ELi64ELi4ELi64ELi4ELi4ELi64ELc67ELc84EKPKDF16_S3_KPDF16_EEvlllT_PT11_llS8_llS6_PT12_llPT13_lli.has_dyn_sized_stack, 0
	.set _ZN12_GLOBAL__N_127rocblas_gemm_batched_kernelIfLi16ELi16ELi64ELi64ELi4ELi64ELi4ELi4ELi64ELc67ELc84EKPKDF16_S3_KPDF16_EEvlllT_PT11_llS8_llS6_PT12_llPT13_lli.has_recursion, 0
	.set _ZN12_GLOBAL__N_127rocblas_gemm_batched_kernelIfLi16ELi16ELi64ELi64ELi4ELi64ELi4ELi4ELi64ELc67ELc84EKPKDF16_S3_KPDF16_EEvlllT_PT11_llS8_llS6_PT12_llPT13_lli.has_indirect_call, 0
	.section	.AMDGPU.csdata,"",@progbits
; Kernel info:
; codeLenInByte = 2596
; TotalNumSgprs: 38
; NumVgprs: 78
; ScratchSize: 0
; MemoryBound: 0
; FloatMode: 240
; IeeeMode: 1
; LDSByteSize: 2048 bytes/workgroup (compile time only)
; SGPRBlocks: 0
; VGPRBlocks: 4
; NumSGPRsForWavesPerEU: 38
; NumVGPRsForWavesPerEU: 78
; NamedBarCnt: 0
; Occupancy: 12
; WaveLimiterHint : 1
; COMPUTE_PGM_RSRC2:SCRATCH_EN: 0
; COMPUTE_PGM_RSRC2:USER_SGPR: 2
; COMPUTE_PGM_RSRC2:TRAP_HANDLER: 0
; COMPUTE_PGM_RSRC2:TGID_X_EN: 1
; COMPUTE_PGM_RSRC2:TGID_Y_EN: 1
; COMPUTE_PGM_RSRC2:TGID_Z_EN: 1
; COMPUTE_PGM_RSRC2:TIDIG_COMP_CNT: 1
	.section	.text._ZN12_GLOBAL__N_127rocblas_gemm_batched_kernelIfLi16ELi16ELi64ELi64ELi4ELi64ELi4ELi4ELi64ELc78ELc67EKPKDF16_S3_KPDF16_EEvlllT_PT11_llS8_llS6_PT12_llPT13_lli,"axG",@progbits,_ZN12_GLOBAL__N_127rocblas_gemm_batched_kernelIfLi16ELi16ELi64ELi64ELi4ELi64ELi4ELi4ELi64ELc78ELc67EKPKDF16_S3_KPDF16_EEvlllT_PT11_llS8_llS6_PT12_llPT13_lli,comdat
	.globl	_ZN12_GLOBAL__N_127rocblas_gemm_batched_kernelIfLi16ELi16ELi64ELi64ELi4ELi64ELi4ELi4ELi64ELc78ELc67EKPKDF16_S3_KPDF16_EEvlllT_PT11_llS8_llS6_PT12_llPT13_lli ; -- Begin function _ZN12_GLOBAL__N_127rocblas_gemm_batched_kernelIfLi16ELi16ELi64ELi64ELi4ELi64ELi4ELi4ELi64ELc78ELc67EKPKDF16_S3_KPDF16_EEvlllT_PT11_llS8_llS6_PT12_llPT13_lli
	.p2align	8
	.type	_ZN12_GLOBAL__N_127rocblas_gemm_batched_kernelIfLi16ELi16ELi64ELi64ELi4ELi64ELi4ELi4ELi64ELc78ELc67EKPKDF16_S3_KPDF16_EEvlllT_PT11_llS8_llS6_PT12_llPT13_lli,@function
_ZN12_GLOBAL__N_127rocblas_gemm_batched_kernelIfLi16ELi16ELi64ELi64ELi4ELi64ELi4ELi4ELi64ELc78ELc67EKPKDF16_S3_KPDF16_EEvlllT_PT11_llS8_llS6_PT12_llPT13_lli: ; @_ZN12_GLOBAL__N_127rocblas_gemm_batched_kernelIfLi16ELi16ELi64ELi64ELi4ELi64ELi4ELi4ELi64ELc78ELc67EKPKDF16_S3_KPDF16_EEvlllT_PT11_llS8_llS6_PT12_llPT13_lli
; %bb.0:
	s_load_b32 s31, s[0:1], 0x88
	s_bfe_u32 s2, ttmp6, 0x40014
	s_lshr_b32 s3, ttmp7, 16
	s_add_co_i32 s2, s2, 1
	s_bfe_u32 s4, ttmp6, 0x40008
	s_mul_i32 s2, s3, s2
	s_getreg_b32 s28, hwreg(HW_REG_IB_STS2, 6, 4)
	s_add_co_i32 s4, s4, s2
	s_cmp_eq_u32 s28, 0
	s_cselect_b32 s2, s3, s4
	s_mov_b32 s3, 0
	s_wait_kmcnt 0x0
	s_cmp_ge_i32 s2, s31
	s_cbranch_scc1 .LBB92_10
; %bb.1:
	v_bfe_u32 v2, v0, 10, 10
	s_clause 0x2
	s_load_b256 s[4:11], s[0:1], 0x20
	s_load_b128 s[24:27], s[0:1], 0x40
	s_load_b32 s33, s[0:1], 0x50
	v_and_b32_e32 v6, 0x3ff, v0
	s_bfe_u32 s29, ttmp6, 0x4000c
	s_bfe_u32 s34, ttmp6, 0x40010
	v_dual_mov_b32 v3, 0 :: v_dual_lshlrev_b32 v16, 4, v2
	s_add_co_i32 s29, s29, 1
	s_and_b32 s35, ttmp7, 0xffff
	s_add_co_i32 s34, s34, 1
	s_and_b32 s30, ttmp6, 15
	s_mul_i32 s29, ttmp9, s29
	s_mul_i32 s34, s35, s34
	s_bfe_u32 s36, ttmp6, 0x40004
	v_dual_add_nc_u32 v1, v16, v6 :: v_dual_bitop2_b32 v0, 3, v0 bitop3:0x40
	s_clause 0x1
	s_load_b128 s[20:23], s[0:1], 0x78
	s_load_b256 s[12:19], s[0:1], 0x58
	s_add_co_i32 s30, s30, s29
	s_add_co_i32 s36, s36, s34
	s_cmp_eq_u32 s28, 0
	v_dual_mov_b32 v9, v3 :: v_dual_lshrrev_b32 v8, 2, v1
	s_cselect_b32 s28, ttmp9, s30
	v_dual_lshrrev_b32 v17, 6, v1 :: v_dual_bitop2_b32 v14, 63, v1 bitop3:0x40
	s_cselect_b32 s30, s35, s36
	s_ashr_i32 s29, s28, 31
	s_wait_kmcnt 0x0
	v_mad_nc_u64_u32 v[10:11], s24, v0, v[8:9]
	s_lshl_b64 s[34:35], s[28:29], 6
	s_lshl_b32 s36, s30, 6
	v_mad_nc_u64_u32 v[12:13], s6, v17, s[34:35]
	s_mov_b32 s37, s3
	s_load_b96 s[28:30], s[0:1], 0x10
	v_add_nc_u64_e32 v[4:5], s[36:37], v[2:3]
	v_dual_lshlrev_b32 v2, 2, v0 :: v_dual_lshlrev_b32 v18, 2, v14
	v_dual_mov_b32 v15, v3 :: v_dual_mov_b32 v7, v3
	v_mad_u32 v11, s25, v0, v11
	s_delay_alu instid0(VALU_DEP_3)
	v_lshl_or_b32 v19, v8, 4, v2
	v_mul_u64_e32 v[0:1], s[20:21], v[4:5]
	v_mad_u32 v13, s7, v17, v13
	v_mul_u64_e32 v[4:5], s[14:15], v[4:5]
	s_cmp_eq_f32 s33, 0
	v_lshlrev_b32_e32 v37, 2, v6
	v_lshl_or_b32 v2, v17, 8, v18
	v_add_nc_u32_e32 v36, 0x400, v19
	v_add_nc_u32_e32 v38, 0x400, v16
	s_wait_xcnt 0x0
	s_cselect_b32 s1, -1, 0
	v_add_nc_u64_e32 v[8:9], s[36:37], v[10:11]
	s_lshl_b64 s[20:21], s[20:21], 4
	s_lshl_b64 s[6:7], s[6:7], 3
	v_add_nc_u64_e32 v[10:11], v[12:13], v[14:15]
	s_wait_kmcnt 0x0
	v_cmp_gt_i64_e64 s0, s[28:29], 0
	v_add_nc_u64_e32 v[12:13], s[34:35], v[6:7]
	s_lshl_b64 s[34:35], s[14:15], 4
	v_lshlrev_b64_e32 v[8:9], 1, v[8:9]
	s_lshl_b64 s[14:15], s[24:25], 3
	s_lshl_b64 s[20:21], s[20:21], 1
	v_lshlrev_b64_e32 v[10:11], 1, v[10:11]
	v_cndmask_b32_e64 v14, 0, 1, s0
	s_lshl_b64 s[16:17], s[16:17], 1
	s_delay_alu instid0(VALU_DEP_3) | instskip(NEXT) | instid1(VALU_DEP_2)
	v_lshl_add_u64 v[6:7], s[26:27], 1, v[8:9]
	v_cmp_ne_u32_e64 s0, 1, v14
	s_delay_alu instid0(VALU_DEP_4)
	v_lshl_add_u64 v[8:9], s[8:9], 1, v[10:11]
	v_lshlrev_b64_e32 v[10:11], 1, v[12:13]
	s_lshl_b64 s[8:9], s[22:23], 1
	s_lshl_b64 s[22:23], s[34:35], 1
	s_branch .LBB92_3
.LBB92_2:                               ;   in Loop: Header=BB92_3 Depth=1
	s_add_co_i32 s2, s2, 0x10000
	s_delay_alu instid0(SALU_CYCLE_1)
	s_cmp_lt_i32 s2, s31
	s_cbranch_scc0 .LBB92_10
.LBB92_3:                               ; =>This Loop Header: Depth=1
                                        ;     Child Loop BB92_5 Depth 2
	s_wait_xcnt 0x0
	v_dual_mov_b32 v12, s2 :: v_dual_mov_b32 v29, 0
	v_dual_mov_b32 v28, 0 :: v_dual_mov_b32 v27, 0
	;; [unrolled: 1-line block ×3, first 2 shown]
	s_clause 0x1
	global_load_b64 v[20:21], v12, s[12:13] scale_offset
	global_load_b64 v[30:31], v12, s[18:19] scale_offset
	v_dual_mov_b32 v24, 0 :: v_dual_mov_b32 v23, 0
	v_dual_mov_b32 v22, 0 :: v_dual_mov_b32 v19, 0
	;; [unrolled: 1-line block ×5, first 2 shown]
	s_wait_xcnt 0x0
	v_mov_b32_e32 v12, 0
	s_and_b32 vcc_lo, exec_lo, s0
	s_cbranch_vccnz .LBB92_6
; %bb.4:                                ;   in Loop: Header=BB92_3 Depth=1
	s_lshl_b64 s[24:25], s[2:3], 3
	v_mov_b32_e32 v12, 0
	s_add_nc_u64 s[26:27], s[10:11], s[24:25]
	s_add_nc_u64 s[24:25], s[4:5], s[24:25]
	s_clause 0x1
	global_load_b64 v[28:29], v3, s[26:27]
	global_load_b64 v[34:35], v3, s[24:25]
	s_wait_xcnt 0x0
	s_mov_b64 s[24:25], 0
	v_dual_mov_b32 v13, v12 :: v_dual_mov_b32 v14, v12
	v_dual_mov_b32 v15, v12 :: v_dual_mov_b32 v16, v12
	;; [unrolled: 1-line block ×6, first 2 shown]
	v_mov_b32_e32 v27, v12
	s_wait_loadcnt 0x1
	v_add_nc_u64_e32 v[32:33], v[28:29], v[6:7]
	s_wait_loadcnt 0x0
	v_add_nc_u64_e32 v[34:35], v[34:35], v[8:9]
	v_dual_mov_b32 v28, v12 :: v_dual_mov_b32 v29, v12
.LBB92_5:                               ;   Parent Loop BB92_3 Depth=1
                                        ; =>  This Inner Loop Header: Depth=2
	flat_load_u16 v39, v[34:35]
	flat_load_u16 v40, v[32:33]
	s_add_nc_u64 s[24:25], s[24:25], 4
	s_wait_xcnt 0x0
	v_add_nc_u64_e32 v[32:33], s[14:15], v[32:33]
	v_cmp_lt_i64_e64 s26, s[24:25], s[28:29]
	v_add_nc_u64_e32 v[34:35], s[6:7], v[34:35]
	s_and_b32 vcc_lo, exec_lo, s26
	s_wait_loadcnt_dscnt 0x101
	v_cvt_f32_f16_e32 v39, v39
	s_wait_loadcnt_dscnt 0x0
	v_cvt_f32_f16_e32 v40, v40
	ds_store_b32 v2, v39
	ds_store_b32 v36, v40
	s_wait_dscnt 0x0
	s_barrier_signal -1
	s_barrier_wait -1
	ds_load_2addr_b32 v[56:57], v37 offset1:16
	ds_load_2addr_b32 v[58:59], v37 offset0:64 offset1:80
	ds_load_2addr_b32 v[60:61], v37 offset0:128 offset1:144
	;; [unrolled: 1-line block ×6, first 2 shown]
	ds_load_b128 v[40:43], v38
	ds_load_b128 v[44:47], v38 offset:256
	ds_load_2addr_b32 v[70:71], v37 offset0:224 offset1:240
	ds_load_b128 v[48:51], v38 offset:512
	ds_load_b128 v[52:55], v38 offset:768
	s_wait_dscnt 0x0
	s_barrier_signal -1
	s_barrier_wait -1
	v_dual_mov_b32 v72, v57 :: v_dual_mov_b32 v73, v56
	v_dual_mov_b32 v56, v59 :: v_dual_mov_b32 v57, v58
	v_dual_mov_b32 v58, v61 :: v_dual_mov_b32 v59, v60
	v_dual_mov_b32 v60, v63 :: v_dual_mov_b32 v61, v62
	v_dual_mov_b32 v62, v65 :: v_dual_mov_b32 v63, v64
	v_dual_mov_b32 v64, v67 :: v_dual_mov_b32 v65, v66
	v_pk_fma_f32 v[28:29], v[72:73], v[40:41], v[28:29] op_sel_hi:[1,0,1]
	v_pk_fma_f32 v[24:25], v[72:73], v[44:45], v[24:25] op_sel_hi:[1,0,1]
	s_delay_alu instid0(VALU_DEP_4)
	v_pk_fma_f32 v[26:27], v[62:63], v[40:41], v[26:27] op_sel_hi:[1,0,1]
	v_pk_fma_f32 v[18:19], v[72:73], v[48:49], v[18:19] op_sel_hi:[1,0,1]
	;; [unrolled: 1-line block ×6, first 2 shown]
	v_dual_mov_b32 v66, v69 :: v_dual_mov_b32 v67, v68
	v_pk_fma_f32 v[28:29], v[56:57], v[40:41], v[28:29] op_sel:[0,1,0]
	v_pk_fma_f32 v[26:27], v[64:65], v[40:41], v[26:27] op_sel:[0,1,0]
	;; [unrolled: 1-line block ×8, first 2 shown]
	v_dual_mov_b32 v68, v43 :: v_dual_mov_b32 v74, v71
	v_dual_mov_b32 v75, v70 :: v_dual_mov_b32 v70, v47
	v_dual_mov_b32 v76, v51 :: v_dual_mov_b32 v78, v55
	v_pk_fma_f32 v[28:29], v[58:59], v[42:43], v[28:29] op_sel_hi:[1,0,1]
	v_pk_fma_f32 v[26:27], v[66:67], v[42:43], v[26:27] op_sel_hi:[1,0,1]
	;; [unrolled: 1-line block ×16, first 2 shown]
	s_cbranch_vccnz .LBB92_5
.LBB92_6:                               ;   in Loop: Header=BB92_3 Depth=1
	s_wait_loadcnt 0x0
	v_add_nc_u64_e32 v[30:31], s[8:9], v[30:31]
	s_and_not1_b32 vcc_lo, exec_lo, s1
	s_delay_alu instid0(VALU_DEP_1) | instskip(NEXT) | instid1(VALU_DEP_1)
	v_lshl_add_u64 v[30:31], v[0:1], 1, v[30:31]
	v_add_nc_u64_e32 v[32:33], v[30:31], v[10:11]
	v_add_nc_u64_e32 v[30:31], s[20:21], v[30:31]
	s_cbranch_vccnz .LBB92_8
; %bb.7:                                ;   in Loop: Header=BB92_3 Depth=1
	v_fma_mixlo_f16 v39, s30, v29, 0
	v_fma_mixlo_f16 v40, s30, v28, 0
	s_delay_alu instid0(VALU_DEP_3)
	v_add_nc_u64_e32 v[34:35], s[20:21], v[30:31]
	v_fma_mixlo_f16 v41, s30, v27, 0
	v_fma_mixlo_f16 v42, s30, v26, 0
	s_clause 0x3
	flat_store_b16 v[32:33], v39
	flat_store_b16 v[32:33], v40 offset:32
	flat_store_b16 v[32:33], v41 offset:64
	;; [unrolled: 1-line block ×3, first 2 shown]
	s_wait_xcnt 0x1
	v_add_nc_u64_e32 v[40:41], v[30:31], v[10:11]
	v_fma_mixlo_f16 v39, s30, v25, 0
	v_fma_mixlo_f16 v44, s30, v24, 0
	s_wait_xcnt 0x0
	v_add_nc_u64_e32 v[42:43], v[34:35], v[10:11]
	v_add_nc_u64_e32 v[34:35], s[20:21], v[34:35]
	v_fma_mixlo_f16 v45, s30, v23, 0
	v_fma_mixlo_f16 v46, s30, v22, 0
	s_clause 0x3
	flat_store_b16 v[40:41], v39
	flat_store_b16 v[40:41], v44 offset:32
	flat_store_b16 v[40:41], v45 offset:64
	;; [unrolled: 1-line block ×3, first 2 shown]
	s_wait_xcnt 0x3
	v_fma_mixlo_f16 v39, s30, v19, 0
	s_wait_xcnt 0x0
	v_fma_mixlo_f16 v40, s30, v18, 0
	v_fma_mixlo_f16 v41, s30, v17, 0
	;; [unrolled: 1-line block ×3, first 2 shown]
	v_add_nc_u64_e32 v[34:35], v[34:35], v[10:11]
	s_clause 0x3
	flat_store_b16 v[42:43], v39
	flat_store_b16 v[42:43], v40 offset:32
	flat_store_b16 v[42:43], v41 offset:64
	;; [unrolled: 1-line block ×3, first 2 shown]
	s_wait_xcnt 0x3
	v_fma_mixlo_f16 v39, s30, v15, 0
	s_wait_xcnt 0x2
	v_fma_mixlo_f16 v40, s30, v14, 0
	;; [unrolled: 2-line block ×4, first 2 shown]
	s_clause 0x3
	flat_store_b16 v[34:35], v39
	flat_store_b16 v[34:35], v40 offset:32
	flat_store_b16 v[34:35], v41 offset:64
	;; [unrolled: 1-line block ×3, first 2 shown]
	s_cbranch_execnz .LBB92_2
	s_branch .LBB92_9
.LBB92_8:                               ;   in Loop: Header=BB92_3 Depth=1
.LBB92_9:                               ;   in Loop: Header=BB92_3 Depth=1
	v_add_nc_u64_e32 v[20:21], s[16:17], v[20:21]
	s_delay_alu instid0(VALU_DEP_1) | instskip(SKIP_1) | instid1(VALU_DEP_1)
	v_lshl_add_u64 v[20:21], v[4:5], 1, v[20:21]
	s_wait_xcnt 0x0
	v_add_nc_u64_e32 v[34:35], v[20:21], v[10:11]
	v_add_nc_u64_e32 v[20:21], s[22:23], v[20:21]
	flat_load_u16 v39, v[34:35]
	s_wait_loadcnt_dscnt 0x0
	v_cvt_f32_f16_e32 v39, v39
	s_delay_alu instid0(VALU_DEP_1) | instskip(NEXT) | instid1(VALU_DEP_1)
	v_mul_f32_e32 v39, s33, v39
	v_fma_mixlo_f16 v29, s30, v29, v39
	flat_store_b16 v[32:33], v29
	flat_load_u16 v29, v[34:35] offset:32
	s_wait_loadcnt_dscnt 0x0
	v_cvt_f32_f16_e32 v29, v29
	s_delay_alu instid0(VALU_DEP_1) | instskip(NEXT) | instid1(VALU_DEP_1)
	v_mul_f32_e32 v29, s33, v29
	v_fma_mixlo_f16 v28, s30, v28, v29
	flat_store_b16 v[32:33], v28 offset:32
	flat_load_u16 v28, v[34:35] offset:64
	s_wait_loadcnt_dscnt 0x0
	v_cvt_f32_f16_e32 v28, v28
	s_delay_alu instid0(VALU_DEP_1) | instskip(NEXT) | instid1(VALU_DEP_1)
	v_mul_f32_e32 v28, s33, v28
	v_fma_mixlo_f16 v27, s30, v27, v28
	v_add_nc_u64_e32 v[28:29], v[20:21], v[10:11]
	v_add_nc_u64_e32 v[20:21], s[22:23], v[20:21]
	flat_store_b16 v[32:33], v27 offset:64
	flat_load_u16 v27, v[34:35] offset:96
	s_wait_loadcnt_dscnt 0x0
	v_cvt_f32_f16_e32 v27, v27
	s_delay_alu instid0(VALU_DEP_1) | instskip(NEXT) | instid1(VALU_DEP_1)
	v_mul_f32_e32 v27, s33, v27
	v_fma_mixlo_f16 v26, s30, v26, v27
	flat_store_b16 v[32:33], v26 offset:96
	flat_load_u16 v26, v[28:29]
	s_wait_loadcnt_dscnt 0x0
	v_cvt_f32_f16_e32 v26, v26
	s_delay_alu instid0(VALU_DEP_1) | instskip(SKIP_1) | instid1(VALU_DEP_2)
	v_mul_f32_e32 v32, s33, v26
	v_add_nc_u64_e32 v[26:27], v[30:31], v[10:11]
	v_fma_mixlo_f16 v25, s30, v25, v32
	flat_store_b16 v[26:27], v25
	flat_load_u16 v25, v[28:29] offset:32
	s_wait_loadcnt_dscnt 0x0
	v_cvt_f32_f16_e32 v25, v25
	s_delay_alu instid0(VALU_DEP_1) | instskip(NEXT) | instid1(VALU_DEP_1)
	v_mul_f32_e32 v25, s33, v25
	v_fma_mixlo_f16 v24, s30, v24, v25
	flat_store_b16 v[26:27], v24 offset:32
	flat_load_u16 v24, v[28:29] offset:64
	s_wait_loadcnt_dscnt 0x0
	v_cvt_f32_f16_e32 v24, v24
	s_delay_alu instid0(VALU_DEP_1) | instskip(NEXT) | instid1(VALU_DEP_1)
	v_mul_f32_e32 v24, s33, v24
	v_fma_mixlo_f16 v23, s30, v23, v24
	v_add_nc_u64_e32 v[24:25], v[20:21], v[10:11]
	flat_store_b16 v[26:27], v23 offset:64
	flat_load_u16 v23, v[28:29] offset:96
	s_wait_loadcnt_dscnt 0x0
	v_cvt_f32_f16_e32 v23, v23
	s_delay_alu instid0(VALU_DEP_1) | instskip(NEXT) | instid1(VALU_DEP_1)
	v_mul_f32_e32 v23, s33, v23
	v_fma_mixlo_f16 v22, s30, v22, v23
	flat_store_b16 v[26:27], v22 offset:96
	flat_load_u16 v22, v[24:25]
	s_wait_loadcnt_dscnt 0x0
	v_cvt_f32_f16_e32 v26, v22
	v_add_nc_u64_e32 v[22:23], s[20:21], v[30:31]
	s_delay_alu instid0(VALU_DEP_2) | instskip(NEXT) | instid1(VALU_DEP_2)
	v_mul_f32_e32 v28, s33, v26
	v_add_nc_u64_e32 v[26:27], v[22:23], v[10:11]
	s_delay_alu instid0(VALU_DEP_2) | instskip(SKIP_4) | instid1(VALU_DEP_1)
	v_fma_mixlo_f16 v19, s30, v19, v28
	flat_store_b16 v[26:27], v19
	flat_load_u16 v19, v[24:25] offset:32
	s_wait_loadcnt_dscnt 0x0
	v_cvt_f32_f16_e32 v19, v19
	v_mul_f32_e32 v19, s33, v19
	s_delay_alu instid0(VALU_DEP_1) | instskip(SKIP_4) | instid1(VALU_DEP_1)
	v_fma_mixlo_f16 v18, s30, v18, v19
	flat_store_b16 v[26:27], v18 offset:32
	flat_load_u16 v18, v[24:25] offset:64
	s_wait_loadcnt_dscnt 0x0
	v_cvt_f32_f16_e32 v18, v18
	v_mul_f32_e32 v18, s33, v18
	s_delay_alu instid0(VALU_DEP_1)
	v_fma_mixlo_f16 v17, s30, v17, v18
	v_add_nc_u64_e32 v[18:19], s[22:23], v[20:21]
	flat_store_b16 v[26:27], v17 offset:64
	flat_load_u16 v17, v[24:25] offset:96
	v_add_nc_u64_e32 v[18:19], v[18:19], v[10:11]
	s_wait_loadcnt_dscnt 0x0
	v_cvt_f32_f16_e32 v17, v17
	s_delay_alu instid0(VALU_DEP_1) | instskip(NEXT) | instid1(VALU_DEP_1)
	v_mul_f32_e32 v17, s33, v17
	v_fma_mixlo_f16 v16, s30, v16, v17
	flat_store_b16 v[26:27], v16 offset:96
	flat_load_u16 v16, v[18:19]
	s_wait_loadcnt_dscnt 0x0
	v_cvt_f32_f16_e32 v20, v16
	v_add_nc_u64_e32 v[16:17], s[20:21], v[22:23]
	s_delay_alu instid0(VALU_DEP_2) | instskip(NEXT) | instid1(VALU_DEP_2)
	v_mul_f32_e32 v20, s33, v20
	v_add_nc_u64_e32 v[16:17], v[16:17], v[10:11]
	s_delay_alu instid0(VALU_DEP_2) | instskip(SKIP_4) | instid1(VALU_DEP_1)
	v_fma_mixlo_f16 v15, s30, v15, v20
	flat_store_b16 v[16:17], v15
	flat_load_u16 v15, v[18:19] offset:32
	s_wait_loadcnt_dscnt 0x0
	v_cvt_f32_f16_e32 v15, v15
	v_mul_f32_e32 v15, s33, v15
	s_delay_alu instid0(VALU_DEP_1) | instskip(SKIP_4) | instid1(VALU_DEP_1)
	v_fma_mixlo_f16 v14, s30, v14, v15
	flat_store_b16 v[16:17], v14 offset:32
	flat_load_u16 v14, v[18:19] offset:64
	s_wait_loadcnt_dscnt 0x0
	v_cvt_f32_f16_e32 v14, v14
	v_mul_f32_e32 v14, s33, v14
	s_delay_alu instid0(VALU_DEP_1) | instskip(SKIP_4) | instid1(VALU_DEP_1)
	v_fma_mixlo_f16 v13, s30, v13, v14
	flat_store_b16 v[16:17], v13 offset:64
	flat_load_u16 v13, v[18:19] offset:96
	s_wait_loadcnt_dscnt 0x0
	v_cvt_f32_f16_e32 v13, v13
	v_mul_f32_e32 v13, s33, v13
	s_delay_alu instid0(VALU_DEP_1)
	v_fma_mixlo_f16 v12, s30, v12, v13
	flat_store_b16 v[16:17], v12 offset:96
	s_branch .LBB92_2
.LBB92_10:
	s_sendmsg sendmsg(MSG_DEALLOC_VGPRS)
	s_endpgm
	.section	.rodata,"a",@progbits
	.p2align	6, 0x0
	.amdhsa_kernel _ZN12_GLOBAL__N_127rocblas_gemm_batched_kernelIfLi16ELi16ELi64ELi64ELi4ELi64ELi4ELi4ELi64ELc78ELc67EKPKDF16_S3_KPDF16_EEvlllT_PT11_llS8_llS6_PT12_llPT13_lli
		.amdhsa_group_segment_fixed_size 2048
		.amdhsa_private_segment_fixed_size 0
		.amdhsa_kernarg_size 140
		.amdhsa_user_sgpr_count 2
		.amdhsa_user_sgpr_dispatch_ptr 0
		.amdhsa_user_sgpr_queue_ptr 0
		.amdhsa_user_sgpr_kernarg_segment_ptr 1
		.amdhsa_user_sgpr_dispatch_id 0
		.amdhsa_user_sgpr_kernarg_preload_length 0
		.amdhsa_user_sgpr_kernarg_preload_offset 0
		.amdhsa_user_sgpr_private_segment_size 0
		.amdhsa_wavefront_size32 1
		.amdhsa_uses_dynamic_stack 0
		.amdhsa_enable_private_segment 0
		.amdhsa_system_sgpr_workgroup_id_x 1
		.amdhsa_system_sgpr_workgroup_id_y 1
		.amdhsa_system_sgpr_workgroup_id_z 1
		.amdhsa_system_sgpr_workgroup_info 0
		.amdhsa_system_vgpr_workitem_id 1
		.amdhsa_next_free_vgpr 80
		.amdhsa_next_free_sgpr 38
		.amdhsa_named_barrier_count 0
		.amdhsa_reserve_vcc 1
		.amdhsa_float_round_mode_32 0
		.amdhsa_float_round_mode_16_64 0
		.amdhsa_float_denorm_mode_32 3
		.amdhsa_float_denorm_mode_16_64 3
		.amdhsa_fp16_overflow 0
		.amdhsa_memory_ordered 1
		.amdhsa_forward_progress 1
		.amdhsa_inst_pref_size 21
		.amdhsa_round_robin_scheduling 0
		.amdhsa_exception_fp_ieee_invalid_op 0
		.amdhsa_exception_fp_denorm_src 0
		.amdhsa_exception_fp_ieee_div_zero 0
		.amdhsa_exception_fp_ieee_overflow 0
		.amdhsa_exception_fp_ieee_underflow 0
		.amdhsa_exception_fp_ieee_inexact 0
		.amdhsa_exception_int_div_zero 0
	.end_amdhsa_kernel
	.section	.text._ZN12_GLOBAL__N_127rocblas_gemm_batched_kernelIfLi16ELi16ELi64ELi64ELi4ELi64ELi4ELi4ELi64ELc78ELc67EKPKDF16_S3_KPDF16_EEvlllT_PT11_llS8_llS6_PT12_llPT13_lli,"axG",@progbits,_ZN12_GLOBAL__N_127rocblas_gemm_batched_kernelIfLi16ELi16ELi64ELi64ELi4ELi64ELi4ELi4ELi64ELc78ELc67EKPKDF16_S3_KPDF16_EEvlllT_PT11_llS8_llS6_PT12_llPT13_lli,comdat
.Lfunc_end92:
	.size	_ZN12_GLOBAL__N_127rocblas_gemm_batched_kernelIfLi16ELi16ELi64ELi64ELi4ELi64ELi4ELi4ELi64ELc78ELc67EKPKDF16_S3_KPDF16_EEvlllT_PT11_llS8_llS6_PT12_llPT13_lli, .Lfunc_end92-_ZN12_GLOBAL__N_127rocblas_gemm_batched_kernelIfLi16ELi16ELi64ELi64ELi4ELi64ELi4ELi4ELi64ELc78ELc67EKPKDF16_S3_KPDF16_EEvlllT_PT11_llS8_llS6_PT12_llPT13_lli
                                        ; -- End function
	.set _ZN12_GLOBAL__N_127rocblas_gemm_batched_kernelIfLi16ELi16ELi64ELi64ELi4ELi64ELi4ELi4ELi64ELc78ELc67EKPKDF16_S3_KPDF16_EEvlllT_PT11_llS8_llS6_PT12_llPT13_lli.num_vgpr, 80
	.set _ZN12_GLOBAL__N_127rocblas_gemm_batched_kernelIfLi16ELi16ELi64ELi64ELi4ELi64ELi4ELi4ELi64ELc78ELc67EKPKDF16_S3_KPDF16_EEvlllT_PT11_llS8_llS6_PT12_llPT13_lli.num_agpr, 0
	.set _ZN12_GLOBAL__N_127rocblas_gemm_batched_kernelIfLi16ELi16ELi64ELi64ELi4ELi64ELi4ELi4ELi64ELc78ELc67EKPKDF16_S3_KPDF16_EEvlllT_PT11_llS8_llS6_PT12_llPT13_lli.numbered_sgpr, 38
	.set _ZN12_GLOBAL__N_127rocblas_gemm_batched_kernelIfLi16ELi16ELi64ELi64ELi4ELi64ELi4ELi4ELi64ELc78ELc67EKPKDF16_S3_KPDF16_EEvlllT_PT11_llS8_llS6_PT12_llPT13_lli.num_named_barrier, 0
	.set _ZN12_GLOBAL__N_127rocblas_gemm_batched_kernelIfLi16ELi16ELi64ELi64ELi4ELi64ELi4ELi4ELi64ELc78ELc67EKPKDF16_S3_KPDF16_EEvlllT_PT11_llS8_llS6_PT12_llPT13_lli.private_seg_size, 0
	.set _ZN12_GLOBAL__N_127rocblas_gemm_batched_kernelIfLi16ELi16ELi64ELi64ELi4ELi64ELi4ELi4ELi64ELc78ELc67EKPKDF16_S3_KPDF16_EEvlllT_PT11_llS8_llS6_PT12_llPT13_lli.uses_vcc, 1
	.set _ZN12_GLOBAL__N_127rocblas_gemm_batched_kernelIfLi16ELi16ELi64ELi64ELi4ELi64ELi4ELi4ELi64ELc78ELc67EKPKDF16_S3_KPDF16_EEvlllT_PT11_llS8_llS6_PT12_llPT13_lli.uses_flat_scratch, 1
	.set _ZN12_GLOBAL__N_127rocblas_gemm_batched_kernelIfLi16ELi16ELi64ELi64ELi4ELi64ELi4ELi4ELi64ELc78ELc67EKPKDF16_S3_KPDF16_EEvlllT_PT11_llS8_llS6_PT12_llPT13_lli.has_dyn_sized_stack, 0
	.set _ZN12_GLOBAL__N_127rocblas_gemm_batched_kernelIfLi16ELi16ELi64ELi64ELi4ELi64ELi4ELi4ELi64ELc78ELc67EKPKDF16_S3_KPDF16_EEvlllT_PT11_llS8_llS6_PT12_llPT13_lli.has_recursion, 0
	.set _ZN12_GLOBAL__N_127rocblas_gemm_batched_kernelIfLi16ELi16ELi64ELi64ELi4ELi64ELi4ELi4ELi64ELc78ELc67EKPKDF16_S3_KPDF16_EEvlllT_PT11_llS8_llS6_PT12_llPT13_lli.has_indirect_call, 0
	.section	.AMDGPU.csdata,"",@progbits
; Kernel info:
; codeLenInByte = 2612
; TotalNumSgprs: 40
; NumVgprs: 80
; ScratchSize: 0
; MemoryBound: 0
; FloatMode: 240
; IeeeMode: 1
; LDSByteSize: 2048 bytes/workgroup (compile time only)
; SGPRBlocks: 0
; VGPRBlocks: 4
; NumSGPRsForWavesPerEU: 40
; NumVGPRsForWavesPerEU: 80
; NamedBarCnt: 0
; Occupancy: 12
; WaveLimiterHint : 1
; COMPUTE_PGM_RSRC2:SCRATCH_EN: 0
; COMPUTE_PGM_RSRC2:USER_SGPR: 2
; COMPUTE_PGM_RSRC2:TRAP_HANDLER: 0
; COMPUTE_PGM_RSRC2:TGID_X_EN: 1
; COMPUTE_PGM_RSRC2:TGID_Y_EN: 1
; COMPUTE_PGM_RSRC2:TGID_Z_EN: 1
; COMPUTE_PGM_RSRC2:TIDIG_COMP_CNT: 1
	.section	.text._ZN12_GLOBAL__N_127rocblas_gemm_batched_kernelIfLi16ELi16ELi64ELi64ELi4ELi64ELi4ELi4ELi64ELc84ELc67EKPKDF16_S3_KPDF16_EEvlllT_PT11_llS8_llS6_PT12_llPT13_lli,"axG",@progbits,_ZN12_GLOBAL__N_127rocblas_gemm_batched_kernelIfLi16ELi16ELi64ELi64ELi4ELi64ELi4ELi4ELi64ELc84ELc67EKPKDF16_S3_KPDF16_EEvlllT_PT11_llS8_llS6_PT12_llPT13_lli,comdat
	.globl	_ZN12_GLOBAL__N_127rocblas_gemm_batched_kernelIfLi16ELi16ELi64ELi64ELi4ELi64ELi4ELi4ELi64ELc84ELc67EKPKDF16_S3_KPDF16_EEvlllT_PT11_llS8_llS6_PT12_llPT13_lli ; -- Begin function _ZN12_GLOBAL__N_127rocblas_gemm_batched_kernelIfLi16ELi16ELi64ELi64ELi4ELi64ELi4ELi4ELi64ELc84ELc67EKPKDF16_S3_KPDF16_EEvlllT_PT11_llS8_llS6_PT12_llPT13_lli
	.p2align	8
	.type	_ZN12_GLOBAL__N_127rocblas_gemm_batched_kernelIfLi16ELi16ELi64ELi64ELi4ELi64ELi4ELi4ELi64ELc84ELc67EKPKDF16_S3_KPDF16_EEvlllT_PT11_llS8_llS6_PT12_llPT13_lli,@function
_ZN12_GLOBAL__N_127rocblas_gemm_batched_kernelIfLi16ELi16ELi64ELi64ELi4ELi64ELi4ELi4ELi64ELc84ELc67EKPKDF16_S3_KPDF16_EEvlllT_PT11_llS8_llS6_PT12_llPT13_lli: ; @_ZN12_GLOBAL__N_127rocblas_gemm_batched_kernelIfLi16ELi16ELi64ELi64ELi4ELi64ELi4ELi4ELi64ELc84ELc67EKPKDF16_S3_KPDF16_EEvlllT_PT11_llS8_llS6_PT12_llPT13_lli
; %bb.0:
	s_load_b32 s31, s[0:1], 0x88
	s_bfe_u32 s2, ttmp6, 0x40014
	s_lshr_b32 s3, ttmp7, 16
	s_add_co_i32 s2, s2, 1
	s_bfe_u32 s4, ttmp6, 0x40008
	s_mul_i32 s2, s3, s2
	s_getreg_b32 s28, hwreg(HW_REG_IB_STS2, 6, 4)
	s_add_co_i32 s4, s4, s2
	s_cmp_eq_u32 s28, 0
	s_cselect_b32 s2, s3, s4
	s_mov_b32 s3, 0
	s_wait_kmcnt 0x0
	s_cmp_ge_i32 s2, s31
	s_cbranch_scc1 .LBB93_10
; %bb.1:
	v_bfe_u32 v2, v0, 10, 10
	v_and_b32_e32 v6, 0x3ff, v0
	s_bfe_u32 s30, ttmp6, 0x4000c
	s_bfe_u32 s34, ttmp6, 0x40010
	s_clause 0x2
	s_load_b256 s[4:11], s[0:1], 0x20
	s_load_b128 s[24:27], s[0:1], 0x40
	s_load_b128 s[20:23], s[0:1], 0x78
	v_dual_mov_b32 v3, 0 :: v_dual_lshlrev_b32 v14, 4, v2
	s_and_b32 s33, ttmp7, 0xffff
	s_add_co_i32 s30, s30, 1
	s_add_co_i32 s34, s34, 1
	s_and_b32 s29, ttmp6, 15
	s_mul_i32 s30, ttmp9, s30
	s_mul_i32 s34, s33, s34
	s_bfe_u32 s35, ttmp6, 0x40004
	v_dual_add_nc_u32 v7, v14, v6 :: v_dual_bitop2_b32 v16, 3, v0 bitop3:0x40
	s_add_co_i32 s29, s29, s30
	s_add_co_i32 s35, s35, s34
	s_cmp_eq_u32 s28, 0
	s_delay_alu instid0(VALU_DEP_1)
	v_dual_lshrrev_b32 v8, 2, v7 :: v_dual_bitop2_b32 v15, 63, v7 bitop3:0x40
	s_cselect_b32 s28, ttmp9, s29
	s_cselect_b32 s30, s33, s35
	s_ashr_i32 s29, s28, 31
	s_load_b256 s[12:19], s[0:1], 0x58
	s_lshl_b64 s[34:35], s[28:29], 6
	s_delay_alu instid0(SALU_CYCLE_1)
	v_dual_mov_b32 v9, v3 :: v_dual_bitop2_b32 v0, s34, v15 bitop3:0x54
	v_mov_b32_e32 v1, s35
	s_load_b32 s33, s[0:1], 0x50
	v_add_nc_u32_e32 v39, 0x400, v14
	s_wait_kmcnt 0x0
	v_mad_nc_u64_u32 v[10:11], s24, v16, v[8:9]
	v_lshlrev_b32_e32 v9, 2, v15
	v_mul_u64_e32 v[12:13], s[6:7], v[0:1]
	s_lshl_b32 s6, s30, 6
	s_mov_b32 s7, s3
	s_load_b96 s[28:30], s[0:1], 0x10
	v_add_nc_u64_e32 v[4:5], s[6:7], v[2:3]
	v_dual_lshrrev_b32 v2, 6, v7 :: v_dual_lshlrev_b32 v7, 2, v16
	v_lshlrev_b32_e32 v38, 2, v6
	v_mad_u32 v11, s25, v16, v11
	s_delay_alu instid0(VALU_DEP_3)
	v_lshl_or_b32 v36, v2, 8, v9
	v_mul_u64_e32 v[0:1], s[20:21], v[4:5]
	v_mul_u64_e32 v[4:5], s[14:15], v[4:5]
	v_lshl_or_b32 v15, v8, 4, v7
	v_dual_mov_b32 v7, v3 :: v_dual_lshlrev_b32 v2, 1, v2
	s_cmp_eq_f32 s33, 0
	s_delay_alu instid0(VALU_DEP_2)
	v_add_nc_u32_e32 v37, 0x400, v15
	v_add_nc_u64_e32 v[8:9], s[6:7], v[10:11]
	s_wait_xcnt 0x0
	s_cselect_b32 s1, -1, 0
	v_add_nc_u64_e32 v[10:11], s[34:35], v[6:7]
	s_wait_kmcnt 0x0
	v_cmp_gt_i64_e64 s0, s[28:29], 0
	s_lshl_b64 s[6:7], s[8:9], 1
	s_lshl_b64 s[20:21], s[20:21], 4
	;; [unrolled: 1-line block ×3, first 2 shown]
	v_lshlrev_b64_e32 v[6:7], 1, v[8:9]
	s_lshl_b64 s[8:9], s[22:23], 1
	v_lshlrev_b64_e32 v[10:11], 1, v[10:11]
	s_lshl_b64 s[14:15], s[20:21], 1
	s_lshl_b64 s[16:17], s[16:17], 1
	v_lshl_add_u64 v[8:9], v[12:13], 1, s[6:7]
	v_cndmask_b32_e64 v12, 0, 1, s0
	v_lshl_add_u64 v[6:7], s[26:27], 1, v[6:7]
	s_lshl_b64 s[6:7], s[24:25], 3
	s_lshl_b64 s[20:21], s[34:35], 1
	v_add_nc_u64_e32 v[8:9], v[8:9], v[2:3]
	v_cmp_ne_u32_e64 s0, 1, v12
	s_branch .LBB93_3
.LBB93_2:                               ;   in Loop: Header=BB93_3 Depth=1
	s_add_co_i32 s2, s2, 0x10000
	s_delay_alu instid0(SALU_CYCLE_1)
	s_cmp_lt_i32 s2, s31
	s_cbranch_scc0 .LBB93_10
.LBB93_3:                               ; =>This Loop Header: Depth=1
                                        ;     Child Loop BB93_5 Depth 2
	s_wait_xcnt 0x0
	v_dual_mov_b32 v2, s2 :: v_dual_mov_b32 v29, 0
	v_dual_mov_b32 v28, 0 :: v_dual_mov_b32 v27, 0
	v_dual_mov_b32 v26, 0 :: v_dual_mov_b32 v25, 0
	s_clause 0x1
	global_load_b64 v[20:21], v2, s[12:13] scale_offset
	global_load_b64 v[30:31], v2, s[18:19] scale_offset
	v_dual_mov_b32 v24, 0 :: v_dual_mov_b32 v23, 0
	v_dual_mov_b32 v22, 0 :: v_dual_mov_b32 v19, 0
	;; [unrolled: 1-line block ×5, first 2 shown]
	v_mov_b32_e32 v12, 0
	s_and_b32 vcc_lo, exec_lo, s0
	s_cbranch_vccnz .LBB93_6
; %bb.4:                                ;   in Loop: Header=BB93_3 Depth=1
	s_lshl_b64 s[22:23], s[2:3], 3
	v_mov_b32_e32 v12, 0
	s_add_nc_u64 s[24:25], s[10:11], s[22:23]
	s_add_nc_u64 s[22:23], s[4:5], s[22:23]
	s_clause 0x1
	global_load_b64 v[28:29], v3, s[24:25]
	global_load_b64 v[34:35], v3, s[22:23]
	s_wait_xcnt 0x0
	s_mov_b64 s[22:23], 0
	v_dual_mov_b32 v13, v12 :: v_dual_mov_b32 v14, v12
	v_dual_mov_b32 v15, v12 :: v_dual_mov_b32 v16, v12
	;; [unrolled: 1-line block ×6, first 2 shown]
	v_mov_b32_e32 v27, v12
	s_wait_loadcnt 0x1
	v_add_nc_u64_e32 v[32:33], v[28:29], v[6:7]
	s_wait_loadcnt 0x0
	v_add_nc_u64_e32 v[34:35], v[34:35], v[8:9]
	v_dual_mov_b32 v28, v12 :: v_dual_mov_b32 v29, v12
.LBB93_5:                               ;   Parent Loop BB93_3 Depth=1
                                        ; =>  This Inner Loop Header: Depth=2
	flat_load_u16 v2, v[34:35]
	flat_load_u16 v40, v[32:33]
	s_add_nc_u64 s[22:23], s[22:23], 4
	s_wait_xcnt 0x0
	v_add_nc_u64_e32 v[32:33], s[6:7], v[32:33]
	v_cmp_lt_i64_e64 s24, s[22:23], s[28:29]
	v_add_nc_u64_e32 v[34:35], 8, v[34:35]
	s_and_b32 vcc_lo, exec_lo, s24
	s_wait_loadcnt_dscnt 0x101
	v_cvt_f32_f16_e32 v2, v2
	s_wait_loadcnt_dscnt 0x0
	v_cvt_f32_f16_e32 v40, v40
	ds_store_b32 v36, v2
	ds_store_b32 v37, v40
	s_wait_dscnt 0x0
	s_barrier_signal -1
	s_barrier_wait -1
	ds_load_2addr_b32 v[56:57], v38 offset1:16
	ds_load_2addr_b32 v[58:59], v38 offset0:64 offset1:80
	ds_load_2addr_b32 v[60:61], v38 offset0:128 offset1:144
	ds_load_2addr_b32 v[62:63], v38 offset0:192 offset1:208
	ds_load_2addr_b32 v[64:65], v38 offset0:32 offset1:48
	ds_load_2addr_b32 v[66:67], v38 offset0:96 offset1:112
	ds_load_2addr_b32 v[68:69], v38 offset0:160 offset1:176
	ds_load_b128 v[40:43], v39
	ds_load_b128 v[44:47], v39 offset:256
	ds_load_2addr_b32 v[70:71], v38 offset0:224 offset1:240
	ds_load_b128 v[48:51], v39 offset:512
	ds_load_b128 v[52:55], v39 offset:768
	s_wait_dscnt 0x0
	s_barrier_signal -1
	s_barrier_wait -1
	v_dual_mov_b32 v72, v57 :: v_dual_mov_b32 v73, v56
	v_dual_mov_b32 v56, v59 :: v_dual_mov_b32 v57, v58
	;; [unrolled: 1-line block ×6, first 2 shown]
	v_pk_fma_f32 v[28:29], v[72:73], v[40:41], v[28:29] op_sel_hi:[1,0,1]
	v_pk_fma_f32 v[24:25], v[72:73], v[44:45], v[24:25] op_sel_hi:[1,0,1]
	s_delay_alu instid0(VALU_DEP_4)
	v_pk_fma_f32 v[26:27], v[62:63], v[40:41], v[26:27] op_sel_hi:[1,0,1]
	v_pk_fma_f32 v[18:19], v[72:73], v[48:49], v[18:19] op_sel_hi:[1,0,1]
	;; [unrolled: 1-line block ×6, first 2 shown]
	v_dual_mov_b32 v66, v69 :: v_dual_mov_b32 v67, v68
	v_pk_fma_f32 v[28:29], v[56:57], v[40:41], v[28:29] op_sel:[0,1,0]
	v_pk_fma_f32 v[26:27], v[64:65], v[40:41], v[26:27] op_sel:[0,1,0]
	;; [unrolled: 1-line block ×8, first 2 shown]
	v_dual_mov_b32 v2, v43 :: v_dual_mov_b32 v68, v71
	v_dual_mov_b32 v69, v70 :: v_dual_mov_b32 v70, v47
	;; [unrolled: 1-line block ×3, first 2 shown]
	v_pk_fma_f32 v[28:29], v[58:59], v[42:43], v[28:29] op_sel_hi:[1,0,1]
	v_pk_fma_f32 v[26:27], v[66:67], v[42:43], v[26:27] op_sel_hi:[1,0,1]
	;; [unrolled: 1-line block ×16, first 2 shown]
	s_cbranch_vccnz .LBB93_5
.LBB93_6:                               ;   in Loop: Header=BB93_3 Depth=1
	s_wait_loadcnt 0x0
	v_add_nc_u64_e32 v[30:31], s[8:9], v[30:31]
	s_and_not1_b32 vcc_lo, exec_lo, s1
	s_delay_alu instid0(VALU_DEP_1) | instskip(NEXT) | instid1(VALU_DEP_1)
	v_lshl_add_u64 v[30:31], v[0:1], 1, v[30:31]
	v_add_nc_u64_e32 v[32:33], v[30:31], v[10:11]
	v_add_nc_u64_e32 v[30:31], s[14:15], v[30:31]
	s_cbranch_vccnz .LBB93_8
; %bb.7:                                ;   in Loop: Header=BB93_3 Depth=1
	s_wait_xcnt 0x0
	v_fma_mixlo_f16 v2, s30, v29, 0
	v_fma_mixlo_f16 v40, s30, v28, 0
	s_delay_alu instid0(VALU_DEP_3)
	v_add_nc_u64_e32 v[34:35], s[14:15], v[30:31]
	v_fma_mixlo_f16 v41, s30, v27, 0
	v_fma_mixlo_f16 v42, s30, v26, 0
	s_clause 0x3
	flat_store_b16 v[32:33], v2
	flat_store_b16 v[32:33], v40 offset:32
	flat_store_b16 v[32:33], v41 offset:64
	;; [unrolled: 1-line block ×3, first 2 shown]
	s_wait_xcnt 0x1
	v_add_nc_u64_e32 v[40:41], v[30:31], v[10:11]
	v_fma_mixlo_f16 v2, s30, v25, 0
	v_fma_mixlo_f16 v44, s30, v24, 0
	s_wait_xcnt 0x0
	v_add_nc_u64_e32 v[42:43], v[34:35], v[10:11]
	v_add_nc_u64_e32 v[34:35], s[14:15], v[34:35]
	v_fma_mixlo_f16 v45, s30, v23, 0
	v_fma_mixlo_f16 v46, s30, v22, 0
	s_clause 0x3
	flat_store_b16 v[40:41], v2
	flat_store_b16 v[40:41], v44 offset:32
	flat_store_b16 v[40:41], v45 offset:64
	;; [unrolled: 1-line block ×3, first 2 shown]
	s_wait_xcnt 0x3
	v_fma_mixlo_f16 v2, s30, v19, 0
	s_wait_xcnt 0x0
	v_fma_mixlo_f16 v40, s30, v18, 0
	v_fma_mixlo_f16 v41, s30, v17, 0
	v_fma_mixlo_f16 v44, s30, v16, 0
	v_add_nc_u64_e32 v[34:35], v[34:35], v[10:11]
	s_clause 0x3
	flat_store_b16 v[42:43], v2
	flat_store_b16 v[42:43], v40 offset:32
	flat_store_b16 v[42:43], v41 offset:64
	;; [unrolled: 1-line block ×3, first 2 shown]
	s_wait_xcnt 0x3
	v_fma_mixlo_f16 v2, s30, v15, 0
	s_wait_xcnt 0x2
	v_fma_mixlo_f16 v40, s30, v14, 0
	;; [unrolled: 2-line block ×4, first 2 shown]
	s_clause 0x3
	flat_store_b16 v[34:35], v2
	flat_store_b16 v[34:35], v40 offset:32
	flat_store_b16 v[34:35], v41 offset:64
	;; [unrolled: 1-line block ×3, first 2 shown]
	s_cbranch_execnz .LBB93_2
	s_branch .LBB93_9
.LBB93_8:                               ;   in Loop: Header=BB93_3 Depth=1
.LBB93_9:                               ;   in Loop: Header=BB93_3 Depth=1
	v_add_nc_u64_e32 v[20:21], s[16:17], v[20:21]
	s_delay_alu instid0(VALU_DEP_1) | instskip(SKIP_1) | instid1(VALU_DEP_1)
	v_lshl_add_u64 v[20:21], v[4:5], 1, v[20:21]
	s_wait_xcnt 0x0
	v_add_nc_u64_e32 v[34:35], v[20:21], v[10:11]
	v_add_nc_u64_e32 v[20:21], s[20:21], v[20:21]
	flat_load_u16 v2, v[34:35]
	s_wait_loadcnt_dscnt 0x0
	v_cvt_f32_f16_e32 v2, v2
	s_delay_alu instid0(VALU_DEP_1) | instskip(NEXT) | instid1(VALU_DEP_1)
	v_mul_f32_e32 v2, s33, v2
	v_fma_mixlo_f16 v2, s30, v29, v2
	flat_store_b16 v[32:33], v2
	flat_load_u16 v2, v[34:35] offset:32
	s_wait_loadcnt_dscnt 0x0
	v_cvt_f32_f16_e32 v2, v2
	s_delay_alu instid0(VALU_DEP_1) | instskip(NEXT) | instid1(VALU_DEP_1)
	v_mul_f32_e32 v2, s33, v2
	v_fma_mixlo_f16 v2, s30, v28, v2
	v_add_nc_u64_e32 v[28:29], v[20:21], v[10:11]
	v_add_nc_u64_e32 v[20:21], s[20:21], v[20:21]
	flat_store_b16 v[32:33], v2 offset:32
	flat_load_u16 v2, v[34:35] offset:64
	s_wait_loadcnt_dscnt 0x0
	v_cvt_f32_f16_e32 v2, v2
	s_delay_alu instid0(VALU_DEP_1) | instskip(NEXT) | instid1(VALU_DEP_1)
	v_mul_f32_e32 v2, s33, v2
	v_fma_mixlo_f16 v2, s30, v27, v2
	flat_store_b16 v[32:33], v2 offset:64
	flat_load_u16 v2, v[34:35] offset:96
	s_wait_loadcnt_dscnt 0x0
	v_cvt_f32_f16_e32 v2, v2
	s_delay_alu instid0(VALU_DEP_1) | instskip(NEXT) | instid1(VALU_DEP_1)
	v_mul_f32_e32 v2, s33, v2
	v_fma_mixlo_f16 v2, s30, v26, v2
	v_add_nc_u64_e32 v[26:27], v[30:31], v[10:11]
	flat_store_b16 v[32:33], v2 offset:96
	flat_load_u16 v2, v[28:29]
	s_wait_loadcnt_dscnt 0x0
	v_cvt_f32_f16_e32 v2, v2
	s_delay_alu instid0(VALU_DEP_1) | instskip(NEXT) | instid1(VALU_DEP_1)
	v_mul_f32_e32 v2, s33, v2
	v_fma_mixlo_f16 v2, s30, v25, v2
	flat_store_b16 v[26:27], v2
	flat_load_u16 v2, v[28:29] offset:32
	s_wait_loadcnt_dscnt 0x0
	v_cvt_f32_f16_e32 v2, v2
	s_delay_alu instid0(VALU_DEP_1) | instskip(NEXT) | instid1(VALU_DEP_1)
	v_mul_f32_e32 v2, s33, v2
	v_fma_mixlo_f16 v2, s30, v24, v2
	v_add_nc_u64_e32 v[24:25], v[20:21], v[10:11]
	flat_store_b16 v[26:27], v2 offset:32
	flat_load_u16 v2, v[28:29] offset:64
	s_wait_loadcnt_dscnt 0x0
	v_cvt_f32_f16_e32 v2, v2
	s_delay_alu instid0(VALU_DEP_1) | instskip(NEXT) | instid1(VALU_DEP_1)
	v_mul_f32_e32 v2, s33, v2
	v_fma_mixlo_f16 v2, s30, v23, v2
	flat_store_b16 v[26:27], v2 offset:64
	flat_load_u16 v2, v[28:29] offset:96
	s_wait_loadcnt_dscnt 0x0
	v_cvt_f32_f16_e32 v2, v2
	s_delay_alu instid0(VALU_DEP_1) | instskip(NEXT) | instid1(VALU_DEP_1)
	v_mul_f32_e32 v2, s33, v2
	v_fma_mixlo_f16 v2, s30, v22, v2
	v_add_nc_u64_e32 v[22:23], s[14:15], v[30:31]
	flat_store_b16 v[26:27], v2 offset:96
	flat_load_u16 v2, v[24:25]
	v_add_nc_u64_e32 v[26:27], v[22:23], v[10:11]
	s_wait_loadcnt_dscnt 0x0
	v_cvt_f32_f16_e32 v2, v2
	s_delay_alu instid0(VALU_DEP_1) | instskip(NEXT) | instid1(VALU_DEP_1)
	v_mul_f32_e32 v2, s33, v2
	v_fma_mixlo_f16 v2, s30, v19, v2
	flat_store_b16 v[26:27], v2
	flat_load_u16 v2, v[24:25] offset:32
	s_wait_loadcnt_dscnt 0x0
	v_cvt_f32_f16_e32 v2, v2
	s_delay_alu instid0(VALU_DEP_1) | instskip(NEXT) | instid1(VALU_DEP_1)
	v_mul_f32_e32 v2, s33, v2
	v_fma_mixlo_f16 v2, s30, v18, v2
	v_add_nc_u64_e32 v[18:19], s[20:21], v[20:21]
	flat_store_b16 v[26:27], v2 offset:32
	flat_load_u16 v2, v[24:25] offset:64
	v_add_nc_u64_e32 v[18:19], v[18:19], v[10:11]
	s_wait_loadcnt_dscnt 0x0
	v_cvt_f32_f16_e32 v2, v2
	s_delay_alu instid0(VALU_DEP_1) | instskip(NEXT) | instid1(VALU_DEP_1)
	v_mul_f32_e32 v2, s33, v2
	v_fma_mixlo_f16 v2, s30, v17, v2
	flat_store_b16 v[26:27], v2 offset:64
	flat_load_u16 v2, v[24:25] offset:96
	s_wait_loadcnt_dscnt 0x0
	v_cvt_f32_f16_e32 v2, v2
	s_delay_alu instid0(VALU_DEP_1) | instskip(NEXT) | instid1(VALU_DEP_1)
	v_mul_f32_e32 v2, s33, v2
	v_fma_mixlo_f16 v2, s30, v16, v2
	v_add_nc_u64_e32 v[16:17], s[14:15], v[22:23]
	flat_store_b16 v[26:27], v2 offset:96
	flat_load_u16 v2, v[18:19]
	v_add_nc_u64_e32 v[16:17], v[16:17], v[10:11]
	s_wait_loadcnt_dscnt 0x0
	v_cvt_f32_f16_e32 v2, v2
	s_delay_alu instid0(VALU_DEP_1) | instskip(NEXT) | instid1(VALU_DEP_1)
	v_mul_f32_e32 v2, s33, v2
	v_fma_mixlo_f16 v2, s30, v15, v2
	flat_store_b16 v[16:17], v2
	flat_load_u16 v2, v[18:19] offset:32
	s_wait_loadcnt_dscnt 0x0
	v_cvt_f32_f16_e32 v2, v2
	s_delay_alu instid0(VALU_DEP_1) | instskip(NEXT) | instid1(VALU_DEP_1)
	v_mul_f32_e32 v2, s33, v2
	v_fma_mixlo_f16 v2, s30, v14, v2
	flat_store_b16 v[16:17], v2 offset:32
	flat_load_u16 v2, v[18:19] offset:64
	s_wait_loadcnt_dscnt 0x0
	v_cvt_f32_f16_e32 v2, v2
	s_delay_alu instid0(VALU_DEP_1) | instskip(NEXT) | instid1(VALU_DEP_1)
	v_mul_f32_e32 v2, s33, v2
	v_fma_mixlo_f16 v2, s30, v13, v2
	flat_store_b16 v[16:17], v2 offset:64
	flat_load_u16 v2, v[18:19] offset:96
	s_wait_loadcnt_dscnt 0x0
	v_cvt_f32_f16_e32 v2, v2
	s_delay_alu instid0(VALU_DEP_1) | instskip(NEXT) | instid1(VALU_DEP_1)
	v_mul_f32_e32 v2, s33, v2
	v_fma_mixlo_f16 v2, s30, v12, v2
	flat_store_b16 v[16:17], v2 offset:96
	s_branch .LBB93_2
.LBB93_10:
	s_sendmsg sendmsg(MSG_DEALLOC_VGPRS)
	s_endpgm
	.section	.rodata,"a",@progbits
	.p2align	6, 0x0
	.amdhsa_kernel _ZN12_GLOBAL__N_127rocblas_gemm_batched_kernelIfLi16ELi16ELi64ELi64ELi4ELi64ELi4ELi4ELi64ELc84ELc67EKPKDF16_S3_KPDF16_EEvlllT_PT11_llS8_llS6_PT12_llPT13_lli
		.amdhsa_group_segment_fixed_size 2048
		.amdhsa_private_segment_fixed_size 0
		.amdhsa_kernarg_size 140
		.amdhsa_user_sgpr_count 2
		.amdhsa_user_sgpr_dispatch_ptr 0
		.amdhsa_user_sgpr_queue_ptr 0
		.amdhsa_user_sgpr_kernarg_segment_ptr 1
		.amdhsa_user_sgpr_dispatch_id 0
		.amdhsa_user_sgpr_kernarg_preload_length 0
		.amdhsa_user_sgpr_kernarg_preload_offset 0
		.amdhsa_user_sgpr_private_segment_size 0
		.amdhsa_wavefront_size32 1
		.amdhsa_uses_dynamic_stack 0
		.amdhsa_enable_private_segment 0
		.amdhsa_system_sgpr_workgroup_id_x 1
		.amdhsa_system_sgpr_workgroup_id_y 1
		.amdhsa_system_sgpr_workgroup_id_z 1
		.amdhsa_system_sgpr_workgroup_info 0
		.amdhsa_system_vgpr_workitem_id 1
		.amdhsa_next_free_vgpr 78
		.amdhsa_next_free_sgpr 36
		.amdhsa_named_barrier_count 0
		.amdhsa_reserve_vcc 1
		.amdhsa_float_round_mode_32 0
		.amdhsa_float_round_mode_16_64 0
		.amdhsa_float_denorm_mode_32 3
		.amdhsa_float_denorm_mode_16_64 3
		.amdhsa_fp16_overflow 0
		.amdhsa_memory_ordered 1
		.amdhsa_forward_progress 1
		.amdhsa_inst_pref_size 21
		.amdhsa_round_robin_scheduling 0
		.amdhsa_exception_fp_ieee_invalid_op 0
		.amdhsa_exception_fp_denorm_src 0
		.amdhsa_exception_fp_ieee_div_zero 0
		.amdhsa_exception_fp_ieee_overflow 0
		.amdhsa_exception_fp_ieee_underflow 0
		.amdhsa_exception_fp_ieee_inexact 0
		.amdhsa_exception_int_div_zero 0
	.end_amdhsa_kernel
	.section	.text._ZN12_GLOBAL__N_127rocblas_gemm_batched_kernelIfLi16ELi16ELi64ELi64ELi4ELi64ELi4ELi4ELi64ELc84ELc67EKPKDF16_S3_KPDF16_EEvlllT_PT11_llS8_llS6_PT12_llPT13_lli,"axG",@progbits,_ZN12_GLOBAL__N_127rocblas_gemm_batched_kernelIfLi16ELi16ELi64ELi64ELi4ELi64ELi4ELi4ELi64ELc84ELc67EKPKDF16_S3_KPDF16_EEvlllT_PT11_llS8_llS6_PT12_llPT13_lli,comdat
.Lfunc_end93:
	.size	_ZN12_GLOBAL__N_127rocblas_gemm_batched_kernelIfLi16ELi16ELi64ELi64ELi4ELi64ELi4ELi4ELi64ELc84ELc67EKPKDF16_S3_KPDF16_EEvlllT_PT11_llS8_llS6_PT12_llPT13_lli, .Lfunc_end93-_ZN12_GLOBAL__N_127rocblas_gemm_batched_kernelIfLi16ELi16ELi64ELi64ELi4ELi64ELi4ELi4ELi64ELc84ELc67EKPKDF16_S3_KPDF16_EEvlllT_PT11_llS8_llS6_PT12_llPT13_lli
                                        ; -- End function
	.set _ZN12_GLOBAL__N_127rocblas_gemm_batched_kernelIfLi16ELi16ELi64ELi64ELi4ELi64ELi4ELi4ELi64ELc84ELc67EKPKDF16_S3_KPDF16_EEvlllT_PT11_llS8_llS6_PT12_llPT13_lli.num_vgpr, 78
	.set _ZN12_GLOBAL__N_127rocblas_gemm_batched_kernelIfLi16ELi16ELi64ELi64ELi4ELi64ELi4ELi4ELi64ELc84ELc67EKPKDF16_S3_KPDF16_EEvlllT_PT11_llS8_llS6_PT12_llPT13_lli.num_agpr, 0
	.set _ZN12_GLOBAL__N_127rocblas_gemm_batched_kernelIfLi16ELi16ELi64ELi64ELi4ELi64ELi4ELi4ELi64ELc84ELc67EKPKDF16_S3_KPDF16_EEvlllT_PT11_llS8_llS6_PT12_llPT13_lli.numbered_sgpr, 36
	.set _ZN12_GLOBAL__N_127rocblas_gemm_batched_kernelIfLi16ELi16ELi64ELi64ELi4ELi64ELi4ELi4ELi64ELc84ELc67EKPKDF16_S3_KPDF16_EEvlllT_PT11_llS8_llS6_PT12_llPT13_lli.num_named_barrier, 0
	.set _ZN12_GLOBAL__N_127rocblas_gemm_batched_kernelIfLi16ELi16ELi64ELi64ELi4ELi64ELi4ELi4ELi64ELc84ELc67EKPKDF16_S3_KPDF16_EEvlllT_PT11_llS8_llS6_PT12_llPT13_lli.private_seg_size, 0
	.set _ZN12_GLOBAL__N_127rocblas_gemm_batched_kernelIfLi16ELi16ELi64ELi64ELi4ELi64ELi4ELi4ELi64ELc84ELc67EKPKDF16_S3_KPDF16_EEvlllT_PT11_llS8_llS6_PT12_llPT13_lli.uses_vcc, 1
	.set _ZN12_GLOBAL__N_127rocblas_gemm_batched_kernelIfLi16ELi16ELi64ELi64ELi4ELi64ELi4ELi4ELi64ELc84ELc67EKPKDF16_S3_KPDF16_EEvlllT_PT11_llS8_llS6_PT12_llPT13_lli.uses_flat_scratch, 1
	.set _ZN12_GLOBAL__N_127rocblas_gemm_batched_kernelIfLi16ELi16ELi64ELi64ELi4ELi64ELi4ELi4ELi64ELc84ELc67EKPKDF16_S3_KPDF16_EEvlllT_PT11_llS8_llS6_PT12_llPT13_lli.has_dyn_sized_stack, 0
	.set _ZN12_GLOBAL__N_127rocblas_gemm_batched_kernelIfLi16ELi16ELi64ELi64ELi4ELi64ELi4ELi4ELi64ELc84ELc67EKPKDF16_S3_KPDF16_EEvlllT_PT11_llS8_llS6_PT12_llPT13_lli.has_recursion, 0
	.set _ZN12_GLOBAL__N_127rocblas_gemm_batched_kernelIfLi16ELi16ELi64ELi64ELi4ELi64ELi4ELi4ELi64ELc84ELc67EKPKDF16_S3_KPDF16_EEvlllT_PT11_llS8_llS6_PT12_llPT13_lli.has_indirect_call, 0
	.section	.AMDGPU.csdata,"",@progbits
; Kernel info:
; codeLenInByte = 2596
; TotalNumSgprs: 38
; NumVgprs: 78
; ScratchSize: 0
; MemoryBound: 0
; FloatMode: 240
; IeeeMode: 1
; LDSByteSize: 2048 bytes/workgroup (compile time only)
; SGPRBlocks: 0
; VGPRBlocks: 4
; NumSGPRsForWavesPerEU: 38
; NumVGPRsForWavesPerEU: 78
; NamedBarCnt: 0
; Occupancy: 12
; WaveLimiterHint : 1
; COMPUTE_PGM_RSRC2:SCRATCH_EN: 0
; COMPUTE_PGM_RSRC2:USER_SGPR: 2
; COMPUTE_PGM_RSRC2:TRAP_HANDLER: 0
; COMPUTE_PGM_RSRC2:TGID_X_EN: 1
; COMPUTE_PGM_RSRC2:TGID_Y_EN: 1
; COMPUTE_PGM_RSRC2:TGID_Z_EN: 1
; COMPUTE_PGM_RSRC2:TIDIG_COMP_CNT: 1
	.section	.text._ZN12_GLOBAL__N_127rocblas_gemm_batched_kernelIfLi16ELi16ELi32ELi32ELi8ELi32ELi8ELi8ELi32ELc78ELc78EKPKDF16_S3_KPDF16_EEvlllT_PT11_llS8_llS6_PT12_llPT13_lli,"axG",@progbits,_ZN12_GLOBAL__N_127rocblas_gemm_batched_kernelIfLi16ELi16ELi32ELi32ELi8ELi32ELi8ELi8ELi32ELc78ELc78EKPKDF16_S3_KPDF16_EEvlllT_PT11_llS8_llS6_PT12_llPT13_lli,comdat
	.globl	_ZN12_GLOBAL__N_127rocblas_gemm_batched_kernelIfLi16ELi16ELi32ELi32ELi8ELi32ELi8ELi8ELi32ELc78ELc78EKPKDF16_S3_KPDF16_EEvlllT_PT11_llS8_llS6_PT12_llPT13_lli ; -- Begin function _ZN12_GLOBAL__N_127rocblas_gemm_batched_kernelIfLi16ELi16ELi32ELi32ELi8ELi32ELi8ELi8ELi32ELc78ELc78EKPKDF16_S3_KPDF16_EEvlllT_PT11_llS8_llS6_PT12_llPT13_lli
	.p2align	8
	.type	_ZN12_GLOBAL__N_127rocblas_gemm_batched_kernelIfLi16ELi16ELi32ELi32ELi8ELi32ELi8ELi8ELi32ELc78ELc78EKPKDF16_S3_KPDF16_EEvlllT_PT11_llS8_llS6_PT12_llPT13_lli,@function
_ZN12_GLOBAL__N_127rocblas_gemm_batched_kernelIfLi16ELi16ELi32ELi32ELi8ELi32ELi8ELi8ELi32ELc78ELc78EKPKDF16_S3_KPDF16_EEvlllT_PT11_llS8_llS6_PT12_llPT13_lli: ; @_ZN12_GLOBAL__N_127rocblas_gemm_batched_kernelIfLi16ELi16ELi32ELi32ELi8ELi32ELi8ELi8ELi32ELc78ELc78EKPKDF16_S3_KPDF16_EEvlllT_PT11_llS8_llS6_PT12_llPT13_lli
; %bb.0:
	s_load_b32 s31, s[0:1], 0x88
	s_bfe_u32 s2, ttmp6, 0x40014
	s_lshr_b32 s3, ttmp7, 16
	s_add_co_i32 s2, s2, 1
	s_bfe_u32 s4, ttmp6, 0x40008
	s_mul_i32 s2, s3, s2
	s_getreg_b32 s12, hwreg(HW_REG_IB_STS2, 6, 4)
	s_add_co_i32 s4, s4, s2
	s_cmp_eq_u32 s12, 0
	s_cselect_b32 s2, s3, s4
	s_mov_b32 s3, 0
	s_wait_kmcnt 0x0
	s_cmp_ge_i32 s2, s31
	s_cbranch_scc1 .LBB94_10
; %bb.1:
	v_bfe_u32 v2, v0, 10, 10
	v_and_b32_e32 v6, 0x3ff, v0
	s_clause 0x1
	s_load_b256 s[4:11], s[0:1], 0x20
	s_load_b128 s[20:23], s[0:1], 0x40
	s_bfe_u32 s14, ttmp6, 0x4000c
	s_bfe_u32 s15, ttmp6, 0x40010
	s_add_co_i32 s14, s14, 1
	s_and_b32 s16, ttmp7, 0xffff
	s_add_co_i32 s15, s15, 1
	v_lshl_add_u32 v14, v2, 4, v6
	v_mov_b32_e32 v3, 0
	s_and_b32 s13, ttmp6, 15
	s_mul_i32 s14, ttmp9, s14
	s_mul_i32 s15, s16, s15
	s_bfe_u32 s17, ttmp6, 0x40004
	s_add_co_i32 s13, s13, s14
	s_add_co_i32 s17, s17, s15
	s_cmp_eq_u32 s12, 0
	v_dual_mov_b32 v9, v3 :: v_dual_lshrrev_b32 v8, 3, v14
	v_lshrrev_b32_e32 v16, 5, v14
	s_cselect_b32 s12, s16, s17
	s_cselect_b32 s28, ttmp9, s13
	s_lshl_b32 s34, s12, 5
	s_mov_b32 s35, s3
	s_clause 0x2
	s_load_b128 s[24:27], s[0:1], 0x78
	s_load_b256 s[12:19], s[0:1], 0x58
	s_load_b32 s33, s[0:1], 0x50
	v_add_nc_u64_e32 v[4:5], s[34:35], v[8:9]
	s_ashr_i32 s29, s28, 31
	v_dual_mov_b32 v7, v3 :: v_dual_bitop2_b32 v17, 7, v0 bitop3:0x40
	v_dual_mov_b32 v15, v3 :: v_dual_bitop2_b32 v14, 31, v14 bitop3:0x40
	v_lshlrev_b32_e32 v24, 2, v6
	s_wait_kmcnt 0x0
	s_delay_alu instid0(VALU_DEP_4)
	v_mul_u64_e32 v[10:11], s[20:21], v[4:5]
	s_lshl_b64 s[20:21], s[28:29], 5
	v_add_nc_u64_e32 v[4:5], s[34:35], v[2:3]
	v_mad_nc_u64_u32 v[12:13], s6, v16, s[20:21]
	s_load_b96 s[28:30], s[0:1], 0x10
	v_lshlrev_b32_e32 v9, 2, v17
	v_lshl_add_u32 v25, v2, 5, 0x400
	v_lshlrev_b32_e32 v2, 2, v14
	v_mul_u64_e32 v[0:1], s[24:25], v[4:5]
	v_mul_u64_e32 v[4:5], s[14:15], v[4:5]
	v_lshl_or_b32 v18, v8, 5, v9
	v_add_nc_u64_e32 v[8:9], s[20:21], v[6:7]
	v_mad_u32 v13, s7, v16, v13
	s_cmp_eq_f32 s33, 0
	v_lshl_or_b32 v26, v16, 7, v2
	v_lshlrev_b32_e32 v2, 1, v17
	v_add_nc_u32_e32 v27, 0x400, v18
	s_wait_xcnt 0x0
	s_cselect_b32 s1, -1, 0
	s_lshl_b64 s[20:21], s[22:23], 1
	v_lshlrev_b64_e32 v[8:9], 1, v[8:9]
	s_lshl_b64 s[14:15], s[14:15], 4
	s_lshl_b64 s[6:7], s[6:7], 4
	s_wait_kmcnt 0x0
	v_cmp_gt_i64_e64 s0, s[28:29], 0
	v_add_nc_u64_e32 v[6:7], v[12:13], v[14:15]
	s_lshl_b64 s[16:17], s[16:17], 1
	v_cndmask_b32_e64 v14, 0, 1, s0
	v_lshl_add_u64 v[10:11], v[10:11], 1, s[20:21]
	s_delay_alu instid0(VALU_DEP_3) | instskip(SKIP_1) | instid1(VALU_DEP_3)
	v_lshlrev_b64_e32 v[12:13], 1, v[6:7]
	s_lshl_b64 s[20:21], s[24:25], 4
	v_cmp_ne_u32_e64 s0, 1, v14
	s_delay_alu instid0(VALU_DEP_3) | instskip(NEXT) | instid1(VALU_DEP_3)
	v_add_nc_u64_e32 v[6:7], v[10:11], v[2:3]
	v_lshl_add_u64 v[10:11], s[8:9], 1, v[12:13]
	s_lshl_b64 s[8:9], s[26:27], 1
	s_branch .LBB94_3
.LBB94_2:                               ;   in Loop: Header=BB94_3 Depth=1
	s_add_co_i32 s2, s2, 0x10000
	s_delay_alu instid0(SALU_CYCLE_1)
	s_cmp_lt_i32 s2, s31
	s_cbranch_scc0 .LBB94_10
.LBB94_3:                               ; =>This Loop Header: Depth=1
                                        ;     Child Loop BB94_5 Depth 2
	s_wait_xcnt 0x0
	v_dual_mov_b32 v2, s2 :: v_dual_mov_b32 v19, 0
	v_dual_mov_b32 v18, 0 :: v_dual_mov_b32 v15, 0
	v_mov_b32_e32 v14, 0
	s_clause 0x1
	global_load_b64 v[12:13], v2, s[12:13] scale_offset
	global_load_b64 v[16:17], v2, s[18:19] scale_offset
	s_and_b32 vcc_lo, exec_lo, s0
	s_cbranch_vccnz .LBB94_6
; %bb.4:                                ;   in Loop: Header=BB94_3 Depth=1
	s_lshl_b64 s[22:23], s[2:3], 3
	v_mov_b32_e32 v14, 0
	s_add_nc_u64 s[24:25], s[10:11], s[22:23]
	s_add_nc_u64 s[22:23], s[4:5], s[22:23]
	s_clause 0x1
	global_load_b64 v[18:19], v3, s[24:25]
	global_load_b64 v[22:23], v3, s[22:23]
	s_wait_xcnt 0x0
	s_mov_b64 s[22:23], 0
	v_mov_b32_e32 v15, v14
	s_wait_loadcnt 0x1
	v_add_nc_u64_e32 v[20:21], v[18:19], v[6:7]
	s_wait_loadcnt 0x0
	v_add_nc_u64_e32 v[22:23], v[22:23], v[10:11]
	v_dual_mov_b32 v18, v14 :: v_dual_mov_b32 v19, v14
.LBB94_5:                               ;   Parent Loop BB94_3 Depth=1
                                        ; =>  This Inner Loop Header: Depth=2
	flat_load_u16 v2, v[22:23]
	flat_load_u16 v28, v[20:21]
	s_add_nc_u64 s[22:23], s[22:23], 8
	s_wait_xcnt 0x0
	v_add_nc_u64_e32 v[20:21], 16, v[20:21]
	v_cmp_lt_i64_e64 s24, s[22:23], s[28:29]
	v_add_nc_u64_e32 v[22:23], s[6:7], v[22:23]
	s_and_b32 vcc_lo, exec_lo, s24
	s_wait_loadcnt_dscnt 0x101
	v_cvt_f32_f16_e32 v2, v2
	s_wait_loadcnt_dscnt 0x0
	v_cvt_f32_f16_e32 v28, v28
	ds_store_b32 v26, v2
	ds_store_b32 v27, v28
	s_wait_dscnt 0x0
	s_barrier_signal -1
	s_barrier_wait -1
	ds_load_2addr_b32 v[44:45], v24 offset1:16
	ds_load_2addr_b32 v[46:47], v24 offset0:32 offset1:48
	ds_load_b128 v[28:31], v25
	ds_load_2addr_b32 v[48:49], v24 offset0:64 offset1:80
	ds_load_b128 v[32:35], v25 offset:512
	ds_load_2addr_b32 v[50:51], v24 offset0:96 offset1:112
	ds_load_b128 v[36:39], v25 offset:16
	;; [unrolled: 2-line block ×3, first 2 shown]
	ds_load_2addr_b32 v[54:55], v24 offset0:160 offset1:176
	ds_load_2addr_b32 v[56:57], v24 offset0:192 offset1:208
	;; [unrolled: 1-line block ×3, first 2 shown]
	s_wait_dscnt 0x0
	s_barrier_signal -1
	s_barrier_wait -1
	v_dual_mov_b32 v60, v45 :: v_dual_mov_b32 v61, v44
	v_dual_mov_b32 v44, v47 :: v_dual_mov_b32 v45, v46
	;; [unrolled: 1-line block ×3, first 2 shown]
	s_delay_alu instid0(VALU_DEP_3) | instskip(SKIP_3) | instid1(VALU_DEP_4)
	v_pk_fma_f32 v[18:19], v[60:61], v[28:29], v[18:19] op_sel_hi:[1,0,1]
	v_pk_fma_f32 v[14:15], v[60:61], v[32:33], v[14:15] op_sel_hi:[1,0,1]
	v_dual_mov_b32 v48, v51 :: v_dual_mov_b32 v49, v50
	v_mov_b32_e32 v2, v31
	v_pk_fma_f32 v[18:19], v[44:45], v[28:29], v[18:19] op_sel:[0,1,0]
	s_delay_alu instid0(VALU_DEP_4) | instskip(SKIP_2) | instid1(VALU_DEP_4)
	v_pk_fma_f32 v[14:15], v[44:45], v[32:33], v[14:15] op_sel:[0,1,0]
	v_dual_mov_b32 v28, v35 :: v_dual_mov_b32 v32, v59
	v_mov_b32_e32 v33, v58
	v_pk_fma_f32 v[18:19], v[46:47], v[30:31], v[18:19] op_sel_hi:[1,0,1]
	s_delay_alu instid0(VALU_DEP_4) | instskip(SKIP_1) | instid1(VALU_DEP_3)
	v_pk_fma_f32 v[14:15], v[46:47], v[34:35], v[14:15] op_sel_hi:[1,0,1]
	v_dual_mov_b32 v30, v53 :: v_dual_mov_b32 v31, v52
	v_pk_fma_f32 v[18:19], v[48:49], v[2:3], v[18:19] op_sel_hi:[1,0,1]
	s_delay_alu instid0(VALU_DEP_3) | instskip(SKIP_2) | instid1(VALU_DEP_4)
	v_pk_fma_f32 v[14:15], v[48:49], v[28:29], v[14:15] op_sel_hi:[1,0,1]
	v_dual_mov_b32 v28, v55 :: v_dual_mov_b32 v29, v54
	v_mov_b32_e32 v2, v39
	v_pk_fma_f32 v[18:19], v[30:31], v[36:37], v[18:19] op_sel_hi:[1,0,1]
	s_delay_alu instid0(VALU_DEP_4) | instskip(SKIP_1) | instid1(VALU_DEP_3)
	v_pk_fma_f32 v[14:15], v[30:31], v[40:41], v[14:15] op_sel_hi:[1,0,1]
	v_dual_mov_b32 v30, v57 :: v_dual_mov_b32 v31, v56
	v_pk_fma_f32 v[18:19], v[28:29], v[36:37], v[18:19] op_sel:[0,1,0]
	s_delay_alu instid0(VALU_DEP_3) | instskip(SKIP_1) | instid1(VALU_DEP_3)
	v_pk_fma_f32 v[14:15], v[28:29], v[40:41], v[14:15] op_sel:[0,1,0]
	v_mov_b32_e32 v28, v43
	v_pk_fma_f32 v[18:19], v[30:31], v[38:39], v[18:19] op_sel_hi:[1,0,1]
	s_delay_alu instid0(VALU_DEP_3) | instskip(NEXT) | instid1(VALU_DEP_2)
	v_pk_fma_f32 v[14:15], v[30:31], v[42:43], v[14:15] op_sel_hi:[1,0,1]
	v_pk_fma_f32 v[18:19], v[32:33], v[2:3], v[18:19] op_sel_hi:[1,0,1]
	s_delay_alu instid0(VALU_DEP_2)
	v_pk_fma_f32 v[14:15], v[32:33], v[28:29], v[14:15] op_sel_hi:[1,0,1]
	s_cbranch_vccnz .LBB94_5
.LBB94_6:                               ;   in Loop: Header=BB94_3 Depth=1
	s_wait_loadcnt 0x0
	v_add_nc_u64_e32 v[16:17], s[8:9], v[16:17]
	s_and_not1_b32 vcc_lo, exec_lo, s1
	s_delay_alu instid0(VALU_DEP_1) | instskip(NEXT) | instid1(VALU_DEP_1)
	v_lshl_add_u64 v[16:17], v[0:1], 1, v[16:17]
	v_add_nc_u64_e32 v[20:21], v[16:17], v[8:9]
	v_lshl_add_u64 v[16:17], s[20:21], 1, v[16:17]
	s_cbranch_vccnz .LBB94_8
; %bb.7:                                ;   in Loop: Header=BB94_3 Depth=1
	s_delay_alu instid0(VALU_DEP_1)
	v_add_nc_u64_e32 v[22:23], v[16:17], v[8:9]
	s_wait_xcnt 0x0
	v_fma_mixlo_f16 v2, s30, v19, 0
	v_fma_mixlo_f16 v29, s30, v15, 0
	;; [unrolled: 1-line block ×4, first 2 shown]
	s_clause 0x3
	flat_store_b16 v[20:21], v2
	flat_store_b16 v[20:21], v28 offset:32
	flat_store_b16 v[22:23], v29
	flat_store_b16 v[22:23], v30 offset:32
	s_cbranch_execnz .LBB94_2
	s_branch .LBB94_9
.LBB94_8:                               ;   in Loop: Header=BB94_3 Depth=1
.LBB94_9:                               ;   in Loop: Header=BB94_3 Depth=1
	v_add_nc_u64_e32 v[12:13], s[16:17], v[12:13]
	s_delay_alu instid0(VALU_DEP_2) | instskip(NEXT) | instid1(VALU_DEP_2)
	v_add_nc_u64_e32 v[16:17], v[16:17], v[8:9]
	v_lshl_add_u64 v[12:13], v[4:5], 1, v[12:13]
	s_wait_xcnt 0x0
	s_delay_alu instid0(VALU_DEP_1) | instskip(SKIP_1) | instid1(VALU_DEP_1)
	v_add_nc_u64_e32 v[22:23], v[12:13], v[8:9]
	v_lshl_add_u64 v[12:13], s[14:15], 1, v[12:13]
	v_add_nc_u64_e32 v[12:13], v[12:13], v[8:9]
	flat_load_u16 v2, v[22:23]
	s_wait_loadcnt_dscnt 0x0
	v_cvt_f32_f16_e32 v2, v2
	s_delay_alu instid0(VALU_DEP_1) | instskip(NEXT) | instid1(VALU_DEP_1)
	v_mul_f32_e32 v2, s33, v2
	v_fma_mixlo_f16 v2, s30, v19, v2
	flat_store_b16 v[20:21], v2
	flat_load_u16 v2, v[22:23] offset:32
	s_wait_loadcnt_dscnt 0x0
	v_cvt_f32_f16_e32 v2, v2
	s_delay_alu instid0(VALU_DEP_1) | instskip(NEXT) | instid1(VALU_DEP_1)
	v_mul_f32_e32 v2, s33, v2
	v_fma_mixlo_f16 v2, s30, v18, v2
	flat_store_b16 v[20:21], v2 offset:32
	flat_load_u16 v2, v[12:13]
	s_wait_loadcnt_dscnt 0x0
	v_cvt_f32_f16_e32 v2, v2
	s_delay_alu instid0(VALU_DEP_1) | instskip(NEXT) | instid1(VALU_DEP_1)
	v_mul_f32_e32 v2, s33, v2
	v_fma_mixlo_f16 v2, s30, v15, v2
	flat_store_b16 v[16:17], v2
	flat_load_u16 v2, v[12:13] offset:32
	s_wait_loadcnt_dscnt 0x0
	v_cvt_f32_f16_e32 v2, v2
	s_delay_alu instid0(VALU_DEP_1) | instskip(NEXT) | instid1(VALU_DEP_1)
	v_mul_f32_e32 v2, s33, v2
	v_fma_mixlo_f16 v2, s30, v14, v2
	flat_store_b16 v[16:17], v2 offset:32
	s_branch .LBB94_2
.LBB94_10:
	s_endpgm
	.section	.rodata,"a",@progbits
	.p2align	6, 0x0
	.amdhsa_kernel _ZN12_GLOBAL__N_127rocblas_gemm_batched_kernelIfLi16ELi16ELi32ELi32ELi8ELi32ELi8ELi8ELi32ELc78ELc78EKPKDF16_S3_KPDF16_EEvlllT_PT11_llS8_llS6_PT12_llPT13_lli
		.amdhsa_group_segment_fixed_size 2048
		.amdhsa_private_segment_fixed_size 0
		.amdhsa_kernarg_size 140
		.amdhsa_user_sgpr_count 2
		.amdhsa_user_sgpr_dispatch_ptr 0
		.amdhsa_user_sgpr_queue_ptr 0
		.amdhsa_user_sgpr_kernarg_segment_ptr 1
		.amdhsa_user_sgpr_dispatch_id 0
		.amdhsa_user_sgpr_kernarg_preload_length 0
		.amdhsa_user_sgpr_kernarg_preload_offset 0
		.amdhsa_user_sgpr_private_segment_size 0
		.amdhsa_wavefront_size32 1
		.amdhsa_uses_dynamic_stack 0
		.amdhsa_enable_private_segment 0
		.amdhsa_system_sgpr_workgroup_id_x 1
		.amdhsa_system_sgpr_workgroup_id_y 1
		.amdhsa_system_sgpr_workgroup_id_z 1
		.amdhsa_system_sgpr_workgroup_info 0
		.amdhsa_system_vgpr_workitem_id 1
		.amdhsa_next_free_vgpr 62
		.amdhsa_next_free_sgpr 36
		.amdhsa_named_barrier_count 0
		.amdhsa_reserve_vcc 1
		.amdhsa_float_round_mode_32 0
		.amdhsa_float_round_mode_16_64 0
		.amdhsa_float_denorm_mode_32 3
		.amdhsa_float_denorm_mode_16_64 3
		.amdhsa_fp16_overflow 0
		.amdhsa_memory_ordered 1
		.amdhsa_forward_progress 1
		.amdhsa_inst_pref_size 12
		.amdhsa_round_robin_scheduling 0
		.amdhsa_exception_fp_ieee_invalid_op 0
		.amdhsa_exception_fp_denorm_src 0
		.amdhsa_exception_fp_ieee_div_zero 0
		.amdhsa_exception_fp_ieee_overflow 0
		.amdhsa_exception_fp_ieee_underflow 0
		.amdhsa_exception_fp_ieee_inexact 0
		.amdhsa_exception_int_div_zero 0
	.end_amdhsa_kernel
	.section	.text._ZN12_GLOBAL__N_127rocblas_gemm_batched_kernelIfLi16ELi16ELi32ELi32ELi8ELi32ELi8ELi8ELi32ELc78ELc78EKPKDF16_S3_KPDF16_EEvlllT_PT11_llS8_llS6_PT12_llPT13_lli,"axG",@progbits,_ZN12_GLOBAL__N_127rocblas_gemm_batched_kernelIfLi16ELi16ELi32ELi32ELi8ELi32ELi8ELi8ELi32ELc78ELc78EKPKDF16_S3_KPDF16_EEvlllT_PT11_llS8_llS6_PT12_llPT13_lli,comdat
.Lfunc_end94:
	.size	_ZN12_GLOBAL__N_127rocblas_gemm_batched_kernelIfLi16ELi16ELi32ELi32ELi8ELi32ELi8ELi8ELi32ELc78ELc78EKPKDF16_S3_KPDF16_EEvlllT_PT11_llS8_llS6_PT12_llPT13_lli, .Lfunc_end94-_ZN12_GLOBAL__N_127rocblas_gemm_batched_kernelIfLi16ELi16ELi32ELi32ELi8ELi32ELi8ELi8ELi32ELc78ELc78EKPKDF16_S3_KPDF16_EEvlllT_PT11_llS8_llS6_PT12_llPT13_lli
                                        ; -- End function
	.set _ZN12_GLOBAL__N_127rocblas_gemm_batched_kernelIfLi16ELi16ELi32ELi32ELi8ELi32ELi8ELi8ELi32ELc78ELc78EKPKDF16_S3_KPDF16_EEvlllT_PT11_llS8_llS6_PT12_llPT13_lli.num_vgpr, 62
	.set _ZN12_GLOBAL__N_127rocblas_gemm_batched_kernelIfLi16ELi16ELi32ELi32ELi8ELi32ELi8ELi8ELi32ELc78ELc78EKPKDF16_S3_KPDF16_EEvlllT_PT11_llS8_llS6_PT12_llPT13_lli.num_agpr, 0
	.set _ZN12_GLOBAL__N_127rocblas_gemm_batched_kernelIfLi16ELi16ELi32ELi32ELi8ELi32ELi8ELi8ELi32ELc78ELc78EKPKDF16_S3_KPDF16_EEvlllT_PT11_llS8_llS6_PT12_llPT13_lli.numbered_sgpr, 36
	.set _ZN12_GLOBAL__N_127rocblas_gemm_batched_kernelIfLi16ELi16ELi32ELi32ELi8ELi32ELi8ELi8ELi32ELc78ELc78EKPKDF16_S3_KPDF16_EEvlllT_PT11_llS8_llS6_PT12_llPT13_lli.num_named_barrier, 0
	.set _ZN12_GLOBAL__N_127rocblas_gemm_batched_kernelIfLi16ELi16ELi32ELi32ELi8ELi32ELi8ELi8ELi32ELc78ELc78EKPKDF16_S3_KPDF16_EEvlllT_PT11_llS8_llS6_PT12_llPT13_lli.private_seg_size, 0
	.set _ZN12_GLOBAL__N_127rocblas_gemm_batched_kernelIfLi16ELi16ELi32ELi32ELi8ELi32ELi8ELi8ELi32ELc78ELc78EKPKDF16_S3_KPDF16_EEvlllT_PT11_llS8_llS6_PT12_llPT13_lli.uses_vcc, 1
	.set _ZN12_GLOBAL__N_127rocblas_gemm_batched_kernelIfLi16ELi16ELi32ELi32ELi8ELi32ELi8ELi8ELi32ELc78ELc78EKPKDF16_S3_KPDF16_EEvlllT_PT11_llS8_llS6_PT12_llPT13_lli.uses_flat_scratch, 1
	.set _ZN12_GLOBAL__N_127rocblas_gemm_batched_kernelIfLi16ELi16ELi32ELi32ELi8ELi32ELi8ELi8ELi32ELc78ELc78EKPKDF16_S3_KPDF16_EEvlllT_PT11_llS8_llS6_PT12_llPT13_lli.has_dyn_sized_stack, 0
	.set _ZN12_GLOBAL__N_127rocblas_gemm_batched_kernelIfLi16ELi16ELi32ELi32ELi8ELi32ELi8ELi8ELi32ELc78ELc78EKPKDF16_S3_KPDF16_EEvlllT_PT11_llS8_llS6_PT12_llPT13_lli.has_recursion, 0
	.set _ZN12_GLOBAL__N_127rocblas_gemm_batched_kernelIfLi16ELi16ELi32ELi32ELi8ELi32ELi8ELi8ELi32ELc78ELc78EKPKDF16_S3_KPDF16_EEvlllT_PT11_llS8_llS6_PT12_llPT13_lli.has_indirect_call, 0
	.section	.AMDGPU.csdata,"",@progbits
; Kernel info:
; codeLenInByte = 1484
; TotalNumSgprs: 38
; NumVgprs: 62
; ScratchSize: 0
; MemoryBound: 0
; FloatMode: 240
; IeeeMode: 1
; LDSByteSize: 2048 bytes/workgroup (compile time only)
; SGPRBlocks: 0
; VGPRBlocks: 3
; NumSGPRsForWavesPerEU: 38
; NumVGPRsForWavesPerEU: 62
; NamedBarCnt: 0
; Occupancy: 16
; WaveLimiterHint : 1
; COMPUTE_PGM_RSRC2:SCRATCH_EN: 0
; COMPUTE_PGM_RSRC2:USER_SGPR: 2
; COMPUTE_PGM_RSRC2:TRAP_HANDLER: 0
; COMPUTE_PGM_RSRC2:TGID_X_EN: 1
; COMPUTE_PGM_RSRC2:TGID_Y_EN: 1
; COMPUTE_PGM_RSRC2:TGID_Z_EN: 1
; COMPUTE_PGM_RSRC2:TIDIG_COMP_CNT: 1
	.section	.text._ZN12_GLOBAL__N_127rocblas_gemm_batched_kernelIfLi16ELi16ELi32ELi32ELi8ELi32ELi8ELi8ELi32ELc84ELc78EKPKDF16_S3_KPDF16_EEvlllT_PT11_llS8_llS6_PT12_llPT13_lli,"axG",@progbits,_ZN12_GLOBAL__N_127rocblas_gemm_batched_kernelIfLi16ELi16ELi32ELi32ELi8ELi32ELi8ELi8ELi32ELc84ELc78EKPKDF16_S3_KPDF16_EEvlllT_PT11_llS8_llS6_PT12_llPT13_lli,comdat
	.globl	_ZN12_GLOBAL__N_127rocblas_gemm_batched_kernelIfLi16ELi16ELi32ELi32ELi8ELi32ELi8ELi8ELi32ELc84ELc78EKPKDF16_S3_KPDF16_EEvlllT_PT11_llS8_llS6_PT12_llPT13_lli ; -- Begin function _ZN12_GLOBAL__N_127rocblas_gemm_batched_kernelIfLi16ELi16ELi32ELi32ELi8ELi32ELi8ELi8ELi32ELc84ELc78EKPKDF16_S3_KPDF16_EEvlllT_PT11_llS8_llS6_PT12_llPT13_lli
	.p2align	8
	.type	_ZN12_GLOBAL__N_127rocblas_gemm_batched_kernelIfLi16ELi16ELi32ELi32ELi8ELi32ELi8ELi8ELi32ELc84ELc78EKPKDF16_S3_KPDF16_EEvlllT_PT11_llS8_llS6_PT12_llPT13_lli,@function
_ZN12_GLOBAL__N_127rocblas_gemm_batched_kernelIfLi16ELi16ELi32ELi32ELi8ELi32ELi8ELi8ELi32ELc84ELc78EKPKDF16_S3_KPDF16_EEvlllT_PT11_llS8_llS6_PT12_llPT13_lli: ; @_ZN12_GLOBAL__N_127rocblas_gemm_batched_kernelIfLi16ELi16ELi32ELi32ELi8ELi32ELi8ELi8ELi32ELc84ELc78EKPKDF16_S3_KPDF16_EEvlllT_PT11_llS8_llS6_PT12_llPT13_lli
; %bb.0:
	s_load_b32 s31, s[0:1], 0x88
	s_bfe_u32 s2, ttmp6, 0x40014
	s_lshr_b32 s3, ttmp7, 16
	s_add_co_i32 s2, s2, 1
	s_bfe_u32 s4, ttmp6, 0x40008
	s_mul_i32 s2, s3, s2
	s_getreg_b32 s12, hwreg(HW_REG_IB_STS2, 6, 4)
	s_add_co_i32 s4, s4, s2
	s_cmp_eq_u32 s12, 0
	s_cselect_b32 s2, s3, s4
	s_mov_b32 s3, 0
	s_wait_kmcnt 0x0
	s_cmp_ge_i32 s2, s31
	s_cbranch_scc1 .LBB95_10
; %bb.1:
	v_bfe_u32 v2, v0, 10, 10
	v_and_b32_e32 v6, 0x3ff, v0
	s_bfe_u32 s13, ttmp6, 0x4000c
	s_bfe_u32 s15, ttmp6, 0x40010
	s_clause 0x2
	s_load_b256 s[4:11], s[0:1], 0x20
	s_load_b128 s[20:23], s[0:1], 0x40
	s_load_b32 s33, s[0:1], 0x50
	s_add_co_i32 s13, s13, 1
	s_and_b32 s16, ttmp7, 0xffff
	s_add_co_i32 s15, s15, 1
	v_lshl_add_u32 v14, v2, 4, v6
	v_mov_b32_e32 v3, 0
	s_and_b32 s14, ttmp6, 15
	s_mul_i32 s13, ttmp9, s13
	s_mul_i32 s15, s16, s15
	s_bfe_u32 s17, ttmp6, 0x40004
	s_add_co_i32 s14, s14, s13
	s_add_co_i32 s17, s17, s15
	s_cmp_eq_u32 s12, 0
	v_dual_mov_b32 v9, v3 :: v_dual_lshrrev_b32 v8, 3, v14
	v_and_b32_e32 v15, 31, v14
	s_cselect_b32 s13, s16, s17
	s_cselect_b32 s12, ttmp9, s14
	s_lshl_b32 s28, s13, 5
	s_mov_b32 s29, s3
	s_ashr_i32 s13, s12, 31
	v_add_nc_u64_e32 v[4:5], s[28:29], v[8:9]
	s_load_b128 s[24:27], s[0:1], 0x78
	s_lshl_b64 s[34:35], s[12:13], 5
	s_load_b256 s[12:19], s[0:1], 0x58
	v_dual_mov_b32 v11, s35 :: v_dual_bitop2_b32 v10, s34, v15 bitop3:0x54
	v_dual_mov_b32 v7, v3 :: v_dual_bitop2_b32 v9, 7, v0 bitop3:0x40
	s_wait_kmcnt 0x0
	v_mul_u64_e32 v[12:13], s[20:21], v[4:5]
	v_add_nc_u64_e32 v[4:5], s[28:29], v[2:3]
	v_mul_u64_e32 v[10:11], s[6:7], v[10:11]
	s_load_b96 s[28:30], s[0:1], 0x10
	s_cmp_eq_f32 s33, 0
	v_dual_lshlrev_b32 v16, 2, v9 :: v_dual_lshlrev_b32 v24, 2, v6
	v_lshl_add_u32 v25, v2, 5, 0x400
	s_wait_xcnt 0x0
	s_cselect_b32 s1, -1, 0
	s_lshl_b64 s[6:7], s[22:23], 1
	v_dual_lshrrev_b32 v17, 5, v14 :: v_dual_lshlrev_b32 v2, 1, v9
	v_lshlrev_b32_e32 v18, 2, v15
	v_mul_u64_e32 v[0:1], s[24:25], v[4:5]
	v_add_nc_u64_e32 v[14:15], s[34:35], v[6:7]
	v_mul_u64_e32 v[4:5], s[14:15], v[4:5]
	v_lshl_or_b32 v16, v8, 5, v16
	s_lshl_b64 s[16:17], s[16:17], 1
	s_delay_alu instid0(VALU_DEP_1)
	v_add_nc_u32_e32 v27, 0x400, v16
	s_wait_kmcnt 0x0
	v_cmp_gt_i64_e64 s0, s[28:29], 0
	v_lshl_add_u64 v[12:13], v[12:13], 1, s[6:7]
	s_lshl_b64 s[6:7], s[8:9], 1
	s_lshl_b64 s[8:9], s[14:15], 4
	v_lshl_add_u64 v[8:9], v[10:11], 1, s[6:7]
	v_lshlrev_b64_e32 v[10:11], 1, v[14:15]
	v_add_nc_u64_e32 v[6:7], v[12:13], v[2:3]
	v_lshlrev_b32_e32 v2, 1, v17
	v_cndmask_b32_e64 v12, 0, 1, s0
	v_lshl_or_b32 v26, v17, 7, v18
	s_lshl_b64 s[6:7], s[24:25], 4
	s_lshl_b64 s[14:15], s[26:27], 1
	v_add_nc_u64_e32 v[8:9], v[8:9], v[2:3]
	v_cmp_ne_u32_e64 s0, 1, v12
	s_branch .LBB95_3
.LBB95_2:                               ;   in Loop: Header=BB95_3 Depth=1
	s_add_co_i32 s2, s2, 0x10000
	s_delay_alu instid0(SALU_CYCLE_1)
	s_cmp_lt_i32 s2, s31
	s_cbranch_scc0 .LBB95_10
.LBB95_3:                               ; =>This Loop Header: Depth=1
                                        ;     Child Loop BB95_5 Depth 2
	s_wait_xcnt 0x0
	v_dual_mov_b32 v2, s2 :: v_dual_mov_b32 v19, 0
	v_dual_mov_b32 v18, 0 :: v_dual_mov_b32 v15, 0
	v_mov_b32_e32 v14, 0
	s_clause 0x1
	global_load_b64 v[12:13], v2, s[12:13] scale_offset
	global_load_b64 v[16:17], v2, s[18:19] scale_offset
	s_and_b32 vcc_lo, exec_lo, s0
	s_cbranch_vccnz .LBB95_6
; %bb.4:                                ;   in Loop: Header=BB95_3 Depth=1
	s_lshl_b64 s[20:21], s[2:3], 3
	v_mov_b32_e32 v14, 0
	s_add_nc_u64 s[22:23], s[10:11], s[20:21]
	s_add_nc_u64 s[20:21], s[4:5], s[20:21]
	s_clause 0x1
	global_load_b64 v[18:19], v3, s[22:23]
	global_load_b64 v[22:23], v3, s[20:21]
	s_wait_xcnt 0x0
	s_mov_b64 s[20:21], 0
	v_mov_b32_e32 v15, v14
	s_wait_loadcnt 0x1
	v_add_nc_u64_e32 v[20:21], v[18:19], v[6:7]
	s_wait_loadcnt 0x0
	v_add_nc_u64_e32 v[22:23], v[22:23], v[8:9]
	v_dual_mov_b32 v18, v14 :: v_dual_mov_b32 v19, v14
.LBB95_5:                               ;   Parent Loop BB95_3 Depth=1
                                        ; =>  This Inner Loop Header: Depth=2
	flat_load_u16 v2, v[22:23]
	flat_load_u16 v28, v[20:21]
	s_add_nc_u64 s[20:21], s[20:21], 8
	s_wait_xcnt 0x0
	v_add_nc_u64_e32 v[20:21], 16, v[20:21]
	v_cmp_lt_i64_e64 s22, s[20:21], s[28:29]
	v_add_nc_u64_e32 v[22:23], 16, v[22:23]
	s_and_b32 vcc_lo, exec_lo, s22
	s_wait_loadcnt_dscnt 0x101
	v_cvt_f32_f16_e32 v2, v2
	s_wait_loadcnt_dscnt 0x0
	v_cvt_f32_f16_e32 v28, v28
	ds_store_b32 v26, v2
	ds_store_b32 v27, v28
	s_wait_dscnt 0x0
	s_barrier_signal -1
	s_barrier_wait -1
	ds_load_2addr_b32 v[44:45], v24 offset1:16
	ds_load_2addr_b32 v[46:47], v24 offset0:32 offset1:48
	ds_load_b128 v[28:31], v25
	ds_load_2addr_b32 v[48:49], v24 offset0:64 offset1:80
	ds_load_b128 v[32:35], v25 offset:512
	ds_load_2addr_b32 v[50:51], v24 offset0:96 offset1:112
	ds_load_b128 v[36:39], v25 offset:16
	;; [unrolled: 2-line block ×3, first 2 shown]
	ds_load_2addr_b32 v[54:55], v24 offset0:160 offset1:176
	ds_load_2addr_b32 v[56:57], v24 offset0:192 offset1:208
	;; [unrolled: 1-line block ×3, first 2 shown]
	s_wait_dscnt 0x0
	s_barrier_signal -1
	s_barrier_wait -1
	v_dual_mov_b32 v60, v45 :: v_dual_mov_b32 v61, v44
	v_dual_mov_b32 v44, v47 :: v_dual_mov_b32 v45, v46
	;; [unrolled: 1-line block ×3, first 2 shown]
	s_delay_alu instid0(VALU_DEP_3) | instskip(SKIP_3) | instid1(VALU_DEP_4)
	v_pk_fma_f32 v[18:19], v[60:61], v[28:29], v[18:19] op_sel_hi:[1,0,1]
	v_pk_fma_f32 v[14:15], v[60:61], v[32:33], v[14:15] op_sel_hi:[1,0,1]
	v_dual_mov_b32 v48, v51 :: v_dual_mov_b32 v49, v50
	v_mov_b32_e32 v2, v31
	v_pk_fma_f32 v[18:19], v[44:45], v[28:29], v[18:19] op_sel:[0,1,0]
	s_delay_alu instid0(VALU_DEP_4) | instskip(SKIP_2) | instid1(VALU_DEP_4)
	v_pk_fma_f32 v[14:15], v[44:45], v[32:33], v[14:15] op_sel:[0,1,0]
	v_dual_mov_b32 v28, v35 :: v_dual_mov_b32 v32, v59
	v_mov_b32_e32 v33, v58
	v_pk_fma_f32 v[18:19], v[46:47], v[30:31], v[18:19] op_sel_hi:[1,0,1]
	s_delay_alu instid0(VALU_DEP_4) | instskip(SKIP_1) | instid1(VALU_DEP_3)
	v_pk_fma_f32 v[14:15], v[46:47], v[34:35], v[14:15] op_sel_hi:[1,0,1]
	v_dual_mov_b32 v30, v53 :: v_dual_mov_b32 v31, v52
	v_pk_fma_f32 v[18:19], v[48:49], v[2:3], v[18:19] op_sel_hi:[1,0,1]
	s_delay_alu instid0(VALU_DEP_3) | instskip(SKIP_2) | instid1(VALU_DEP_4)
	v_pk_fma_f32 v[14:15], v[48:49], v[28:29], v[14:15] op_sel_hi:[1,0,1]
	v_dual_mov_b32 v28, v55 :: v_dual_mov_b32 v29, v54
	v_mov_b32_e32 v2, v39
	v_pk_fma_f32 v[18:19], v[30:31], v[36:37], v[18:19] op_sel_hi:[1,0,1]
	s_delay_alu instid0(VALU_DEP_4) | instskip(SKIP_1) | instid1(VALU_DEP_3)
	v_pk_fma_f32 v[14:15], v[30:31], v[40:41], v[14:15] op_sel_hi:[1,0,1]
	v_dual_mov_b32 v30, v57 :: v_dual_mov_b32 v31, v56
	v_pk_fma_f32 v[18:19], v[28:29], v[36:37], v[18:19] op_sel:[0,1,0]
	s_delay_alu instid0(VALU_DEP_3) | instskip(SKIP_1) | instid1(VALU_DEP_3)
	v_pk_fma_f32 v[14:15], v[28:29], v[40:41], v[14:15] op_sel:[0,1,0]
	v_mov_b32_e32 v28, v43
	v_pk_fma_f32 v[18:19], v[30:31], v[38:39], v[18:19] op_sel_hi:[1,0,1]
	s_delay_alu instid0(VALU_DEP_3) | instskip(NEXT) | instid1(VALU_DEP_2)
	v_pk_fma_f32 v[14:15], v[30:31], v[42:43], v[14:15] op_sel_hi:[1,0,1]
	v_pk_fma_f32 v[18:19], v[32:33], v[2:3], v[18:19] op_sel_hi:[1,0,1]
	s_delay_alu instid0(VALU_DEP_2)
	v_pk_fma_f32 v[14:15], v[32:33], v[28:29], v[14:15] op_sel_hi:[1,0,1]
	s_cbranch_vccnz .LBB95_5
.LBB95_6:                               ;   in Loop: Header=BB95_3 Depth=1
	s_wait_loadcnt 0x0
	v_add_nc_u64_e32 v[16:17], s[14:15], v[16:17]
	s_and_not1_b32 vcc_lo, exec_lo, s1
	s_delay_alu instid0(VALU_DEP_1) | instskip(NEXT) | instid1(VALU_DEP_1)
	v_lshl_add_u64 v[16:17], v[0:1], 1, v[16:17]
	v_add_nc_u64_e32 v[20:21], v[16:17], v[10:11]
	v_lshl_add_u64 v[16:17], s[6:7], 1, v[16:17]
	s_cbranch_vccnz .LBB95_8
; %bb.7:                                ;   in Loop: Header=BB95_3 Depth=1
	s_delay_alu instid0(VALU_DEP_1)
	v_add_nc_u64_e32 v[22:23], v[16:17], v[10:11]
	s_wait_xcnt 0x0
	v_fma_mixlo_f16 v2, s30, v19, 0
	v_fma_mixlo_f16 v29, s30, v15, 0
	;; [unrolled: 1-line block ×4, first 2 shown]
	s_clause 0x3
	flat_store_b16 v[20:21], v2
	flat_store_b16 v[20:21], v28 offset:32
	flat_store_b16 v[22:23], v29
	flat_store_b16 v[22:23], v30 offset:32
	s_cbranch_execnz .LBB95_2
	s_branch .LBB95_9
.LBB95_8:                               ;   in Loop: Header=BB95_3 Depth=1
.LBB95_9:                               ;   in Loop: Header=BB95_3 Depth=1
	v_add_nc_u64_e32 v[12:13], s[16:17], v[12:13]
	s_delay_alu instid0(VALU_DEP_2) | instskip(NEXT) | instid1(VALU_DEP_2)
	v_add_nc_u64_e32 v[16:17], v[16:17], v[10:11]
	v_lshl_add_u64 v[12:13], v[4:5], 1, v[12:13]
	s_wait_xcnt 0x0
	s_delay_alu instid0(VALU_DEP_1) | instskip(SKIP_1) | instid1(VALU_DEP_1)
	v_add_nc_u64_e32 v[22:23], v[12:13], v[10:11]
	v_lshl_add_u64 v[12:13], s[8:9], 1, v[12:13]
	v_add_nc_u64_e32 v[12:13], v[12:13], v[10:11]
	flat_load_u16 v2, v[22:23]
	s_wait_loadcnt_dscnt 0x0
	v_cvt_f32_f16_e32 v2, v2
	s_delay_alu instid0(VALU_DEP_1) | instskip(NEXT) | instid1(VALU_DEP_1)
	v_mul_f32_e32 v2, s33, v2
	v_fma_mixlo_f16 v2, s30, v19, v2
	flat_store_b16 v[20:21], v2
	flat_load_u16 v2, v[22:23] offset:32
	s_wait_loadcnt_dscnt 0x0
	v_cvt_f32_f16_e32 v2, v2
	s_delay_alu instid0(VALU_DEP_1) | instskip(NEXT) | instid1(VALU_DEP_1)
	v_mul_f32_e32 v2, s33, v2
	v_fma_mixlo_f16 v2, s30, v18, v2
	flat_store_b16 v[20:21], v2 offset:32
	flat_load_u16 v2, v[12:13]
	s_wait_loadcnt_dscnt 0x0
	v_cvt_f32_f16_e32 v2, v2
	s_delay_alu instid0(VALU_DEP_1) | instskip(NEXT) | instid1(VALU_DEP_1)
	v_mul_f32_e32 v2, s33, v2
	v_fma_mixlo_f16 v2, s30, v15, v2
	flat_store_b16 v[16:17], v2
	flat_load_u16 v2, v[12:13] offset:32
	s_wait_loadcnt_dscnt 0x0
	v_cvt_f32_f16_e32 v2, v2
	s_delay_alu instid0(VALU_DEP_1) | instskip(NEXT) | instid1(VALU_DEP_1)
	v_mul_f32_e32 v2, s33, v2
	v_fma_mixlo_f16 v2, s30, v14, v2
	flat_store_b16 v[16:17], v2 offset:32
	s_branch .LBB95_2
.LBB95_10:
	s_endpgm
	.section	.rodata,"a",@progbits
	.p2align	6, 0x0
	.amdhsa_kernel _ZN12_GLOBAL__N_127rocblas_gemm_batched_kernelIfLi16ELi16ELi32ELi32ELi8ELi32ELi8ELi8ELi32ELc84ELc78EKPKDF16_S3_KPDF16_EEvlllT_PT11_llS8_llS6_PT12_llPT13_lli
		.amdhsa_group_segment_fixed_size 2048
		.amdhsa_private_segment_fixed_size 0
		.amdhsa_kernarg_size 140
		.amdhsa_user_sgpr_count 2
		.amdhsa_user_sgpr_dispatch_ptr 0
		.amdhsa_user_sgpr_queue_ptr 0
		.amdhsa_user_sgpr_kernarg_segment_ptr 1
		.amdhsa_user_sgpr_dispatch_id 0
		.amdhsa_user_sgpr_kernarg_preload_length 0
		.amdhsa_user_sgpr_kernarg_preload_offset 0
		.amdhsa_user_sgpr_private_segment_size 0
		.amdhsa_wavefront_size32 1
		.amdhsa_uses_dynamic_stack 0
		.amdhsa_enable_private_segment 0
		.amdhsa_system_sgpr_workgroup_id_x 1
		.amdhsa_system_sgpr_workgroup_id_y 1
		.amdhsa_system_sgpr_workgroup_id_z 1
		.amdhsa_system_sgpr_workgroup_info 0
		.amdhsa_system_vgpr_workitem_id 1
		.amdhsa_next_free_vgpr 62
		.amdhsa_next_free_sgpr 36
		.amdhsa_named_barrier_count 0
		.amdhsa_reserve_vcc 1
		.amdhsa_float_round_mode_32 0
		.amdhsa_float_round_mode_16_64 0
		.amdhsa_float_denorm_mode_32 3
		.amdhsa_float_denorm_mode_16_64 3
		.amdhsa_fp16_overflow 0
		.amdhsa_memory_ordered 1
		.amdhsa_forward_progress 1
		.amdhsa_inst_pref_size 12
		.amdhsa_round_robin_scheduling 0
		.amdhsa_exception_fp_ieee_invalid_op 0
		.amdhsa_exception_fp_denorm_src 0
		.amdhsa_exception_fp_ieee_div_zero 0
		.amdhsa_exception_fp_ieee_overflow 0
		.amdhsa_exception_fp_ieee_underflow 0
		.amdhsa_exception_fp_ieee_inexact 0
		.amdhsa_exception_int_div_zero 0
	.end_amdhsa_kernel
	.section	.text._ZN12_GLOBAL__N_127rocblas_gemm_batched_kernelIfLi16ELi16ELi32ELi32ELi8ELi32ELi8ELi8ELi32ELc84ELc78EKPKDF16_S3_KPDF16_EEvlllT_PT11_llS8_llS6_PT12_llPT13_lli,"axG",@progbits,_ZN12_GLOBAL__N_127rocblas_gemm_batched_kernelIfLi16ELi16ELi32ELi32ELi8ELi32ELi8ELi8ELi32ELc84ELc78EKPKDF16_S3_KPDF16_EEvlllT_PT11_llS8_llS6_PT12_llPT13_lli,comdat
.Lfunc_end95:
	.size	_ZN12_GLOBAL__N_127rocblas_gemm_batched_kernelIfLi16ELi16ELi32ELi32ELi8ELi32ELi8ELi8ELi32ELc84ELc78EKPKDF16_S3_KPDF16_EEvlllT_PT11_llS8_llS6_PT12_llPT13_lli, .Lfunc_end95-_ZN12_GLOBAL__N_127rocblas_gemm_batched_kernelIfLi16ELi16ELi32ELi32ELi8ELi32ELi8ELi8ELi32ELc84ELc78EKPKDF16_S3_KPDF16_EEvlllT_PT11_llS8_llS6_PT12_llPT13_lli
                                        ; -- End function
	.set _ZN12_GLOBAL__N_127rocblas_gemm_batched_kernelIfLi16ELi16ELi32ELi32ELi8ELi32ELi8ELi8ELi32ELc84ELc78EKPKDF16_S3_KPDF16_EEvlllT_PT11_llS8_llS6_PT12_llPT13_lli.num_vgpr, 62
	.set _ZN12_GLOBAL__N_127rocblas_gemm_batched_kernelIfLi16ELi16ELi32ELi32ELi8ELi32ELi8ELi8ELi32ELc84ELc78EKPKDF16_S3_KPDF16_EEvlllT_PT11_llS8_llS6_PT12_llPT13_lli.num_agpr, 0
	.set _ZN12_GLOBAL__N_127rocblas_gemm_batched_kernelIfLi16ELi16ELi32ELi32ELi8ELi32ELi8ELi8ELi32ELc84ELc78EKPKDF16_S3_KPDF16_EEvlllT_PT11_llS8_llS6_PT12_llPT13_lli.numbered_sgpr, 36
	.set _ZN12_GLOBAL__N_127rocblas_gemm_batched_kernelIfLi16ELi16ELi32ELi32ELi8ELi32ELi8ELi8ELi32ELc84ELc78EKPKDF16_S3_KPDF16_EEvlllT_PT11_llS8_llS6_PT12_llPT13_lli.num_named_barrier, 0
	.set _ZN12_GLOBAL__N_127rocblas_gemm_batched_kernelIfLi16ELi16ELi32ELi32ELi8ELi32ELi8ELi8ELi32ELc84ELc78EKPKDF16_S3_KPDF16_EEvlllT_PT11_llS8_llS6_PT12_llPT13_lli.private_seg_size, 0
	.set _ZN12_GLOBAL__N_127rocblas_gemm_batched_kernelIfLi16ELi16ELi32ELi32ELi8ELi32ELi8ELi8ELi32ELc84ELc78EKPKDF16_S3_KPDF16_EEvlllT_PT11_llS8_llS6_PT12_llPT13_lli.uses_vcc, 1
	.set _ZN12_GLOBAL__N_127rocblas_gemm_batched_kernelIfLi16ELi16ELi32ELi32ELi8ELi32ELi8ELi8ELi32ELc84ELc78EKPKDF16_S3_KPDF16_EEvlllT_PT11_llS8_llS6_PT12_llPT13_lli.uses_flat_scratch, 1
	.set _ZN12_GLOBAL__N_127rocblas_gemm_batched_kernelIfLi16ELi16ELi32ELi32ELi8ELi32ELi8ELi8ELi32ELc84ELc78EKPKDF16_S3_KPDF16_EEvlllT_PT11_llS8_llS6_PT12_llPT13_lli.has_dyn_sized_stack, 0
	.set _ZN12_GLOBAL__N_127rocblas_gemm_batched_kernelIfLi16ELi16ELi32ELi32ELi8ELi32ELi8ELi8ELi32ELc84ELc78EKPKDF16_S3_KPDF16_EEvlllT_PT11_llS8_llS6_PT12_llPT13_lli.has_recursion, 0
	.set _ZN12_GLOBAL__N_127rocblas_gemm_batched_kernelIfLi16ELi16ELi32ELi32ELi8ELi32ELi8ELi8ELi32ELc84ELc78EKPKDF16_S3_KPDF16_EEvlllT_PT11_llS8_llS6_PT12_llPT13_lli.has_indirect_call, 0
	.section	.AMDGPU.csdata,"",@progbits
; Kernel info:
; codeLenInByte = 1472
; TotalNumSgprs: 38
; NumVgprs: 62
; ScratchSize: 0
; MemoryBound: 0
; FloatMode: 240
; IeeeMode: 1
; LDSByteSize: 2048 bytes/workgroup (compile time only)
; SGPRBlocks: 0
; VGPRBlocks: 3
; NumSGPRsForWavesPerEU: 38
; NumVGPRsForWavesPerEU: 62
; NamedBarCnt: 0
; Occupancy: 16
; WaveLimiterHint : 1
; COMPUTE_PGM_RSRC2:SCRATCH_EN: 0
; COMPUTE_PGM_RSRC2:USER_SGPR: 2
; COMPUTE_PGM_RSRC2:TRAP_HANDLER: 0
; COMPUTE_PGM_RSRC2:TGID_X_EN: 1
; COMPUTE_PGM_RSRC2:TGID_Y_EN: 1
; COMPUTE_PGM_RSRC2:TGID_Z_EN: 1
; COMPUTE_PGM_RSRC2:TIDIG_COMP_CNT: 1
	.section	.text._ZN12_GLOBAL__N_127rocblas_gemm_batched_kernelIfLi16ELi16ELi32ELi32ELi8ELi32ELi8ELi8ELi32ELc78ELc84EKPKDF16_S3_KPDF16_EEvlllT_PT11_llS8_llS6_PT12_llPT13_lli,"axG",@progbits,_ZN12_GLOBAL__N_127rocblas_gemm_batched_kernelIfLi16ELi16ELi32ELi32ELi8ELi32ELi8ELi8ELi32ELc78ELc84EKPKDF16_S3_KPDF16_EEvlllT_PT11_llS8_llS6_PT12_llPT13_lli,comdat
	.globl	_ZN12_GLOBAL__N_127rocblas_gemm_batched_kernelIfLi16ELi16ELi32ELi32ELi8ELi32ELi8ELi8ELi32ELc78ELc84EKPKDF16_S3_KPDF16_EEvlllT_PT11_llS8_llS6_PT12_llPT13_lli ; -- Begin function _ZN12_GLOBAL__N_127rocblas_gemm_batched_kernelIfLi16ELi16ELi32ELi32ELi8ELi32ELi8ELi8ELi32ELc78ELc84EKPKDF16_S3_KPDF16_EEvlllT_PT11_llS8_llS6_PT12_llPT13_lli
	.p2align	8
	.type	_ZN12_GLOBAL__N_127rocblas_gemm_batched_kernelIfLi16ELi16ELi32ELi32ELi8ELi32ELi8ELi8ELi32ELc78ELc84EKPKDF16_S3_KPDF16_EEvlllT_PT11_llS8_llS6_PT12_llPT13_lli,@function
_ZN12_GLOBAL__N_127rocblas_gemm_batched_kernelIfLi16ELi16ELi32ELi32ELi8ELi32ELi8ELi8ELi32ELc78ELc84EKPKDF16_S3_KPDF16_EEvlllT_PT11_llS8_llS6_PT12_llPT13_lli: ; @_ZN12_GLOBAL__N_127rocblas_gemm_batched_kernelIfLi16ELi16ELi32ELi32ELi8ELi32ELi8ELi8ELi32ELc78ELc84EKPKDF16_S3_KPDF16_EEvlllT_PT11_llS8_llS6_PT12_llPT13_lli
; %bb.0:
	s_load_b32 s31, s[0:1], 0x88
	s_bfe_u32 s2, ttmp6, 0x40014
	s_lshr_b32 s3, ttmp7, 16
	s_add_co_i32 s2, s2, 1
	s_bfe_u32 s4, ttmp6, 0x40008
	s_mul_i32 s2, s3, s2
	s_getreg_b32 s28, hwreg(HW_REG_IB_STS2, 6, 4)
	s_add_co_i32 s4, s4, s2
	s_cmp_eq_u32 s28, 0
	s_cselect_b32 s2, s3, s4
	s_mov_b32 s3, 0
	s_wait_kmcnt 0x0
	s_cmp_ge_i32 s2, s31
	s_cbranch_scc1 .LBB96_10
; %bb.1:
	s_clause 0x2
	s_load_b256 s[4:11], s[0:1], 0x20
	s_load_b128 s[24:27], s[0:1], 0x40
	s_load_b32 s33, s[0:1], 0x50
	v_bfe_u32 v2, v0, 10, 10
	v_and_b32_e32 v6, 0x3ff, v0
	s_bfe_u32 s29, ttmp6, 0x4000c
	s_bfe_u32 s34, ttmp6, 0x40010
	s_add_co_i32 s29, s29, 1
	s_and_b32 s35, ttmp7, 0xffff
	s_add_co_i32 s34, s34, 1
	v_lshl_add_u32 v1, v2, 4, v6
	v_dual_mov_b32 v3, 0 :: v_dual_bitop2_b32 v0, 7, v0 bitop3:0x40
	s_clause 0x1
	s_load_b128 s[20:23], s[0:1], 0x78
	s_load_b256 s[12:19], s[0:1], 0x58
	s_and_b32 s30, ttmp6, 15
	s_mul_i32 s29, ttmp9, s29
	s_mul_i32 s34, s35, s34
	s_bfe_u32 s36, ttmp6, 0x40004
	s_add_co_i32 s30, s30, s29
	s_add_co_i32 s36, s36, s34
	s_cmp_eq_u32 s28, 0
	v_dual_mov_b32 v9, v3 :: v_dual_lshrrev_b32 v8, 3, v1
	s_cselect_b32 s28, ttmp9, s30
	v_dual_lshrrev_b32 v16, 5, v1 :: v_dual_bitop2_b32 v14, 31, v1 bitop3:0x40
	s_cselect_b32 s30, s35, s36
	s_ashr_i32 s29, s28, 31
	s_wait_kmcnt 0x0
	v_mad_nc_u64_u32 v[10:11], s24, v0, v[8:9]
	s_lshl_b64 s[34:35], s[28:29], 5
	s_lshl_b32 s36, s30, 5
	s_mov_b32 s37, s3
	v_mad_nc_u64_u32 v[12:13], s6, v16, s[34:35]
	v_add_nc_u64_e32 v[4:5], s[36:37], v[2:3]
	s_load_b96 s[28:30], s[0:1], 0x10
	v_dual_lshlrev_b32 v7, 2, v0 :: v_dual_lshlrev_b32 v9, 2, v14
	v_dual_mov_b32 v15, v3 :: v_dual_lshlrev_b32 v26, 2, v6
	v_mad_u32 v11, s25, v0, v11
	s_delay_alu instid0(VALU_DEP_4)
	v_mul_u64_e32 v[0:1], s[20:21], v[4:5]
	v_mul_u64_e32 v[4:5], s[14:15], v[4:5]
	v_lshl_or_b32 v17, v8, 5, v7
	v_mad_u32 v13, s7, v16, v13
	v_mov_b32_e32 v7, v3
	v_lshl_or_b32 v24, v16, 7, v9
	s_cmp_eq_f32 s33, 0
	v_add_nc_u32_e32 v25, 0x400, v17
	v_lshl_add_u32 v2, v2, 5, 0x400
	v_add_nc_u64_e32 v[8:9], s[36:37], v[10:11]
	s_wait_xcnt 0x0
	s_cselect_b32 s1, -1, 0
	s_lshl_b64 s[20:21], s[20:21], 4
	s_lshl_b64 s[14:15], s[14:15], 4
	v_add_nc_u64_e32 v[10:11], v[12:13], v[14:15]
	s_wait_kmcnt 0x0
	v_cmp_gt_i64_e64 s0, s[28:29], 0
	v_add_nc_u64_e32 v[12:13], s[34:35], v[6:7]
	v_lshlrev_b64_e32 v[8:9], 1, v[8:9]
	s_lshl_b64 s[24:25], s[24:25], 4
	s_lshl_b64 s[6:7], s[6:7], 4
	;; [unrolled: 1-line block ×3, first 2 shown]
	v_lshlrev_b64_e32 v[10:11], 1, v[10:11]
	v_cndmask_b32_e64 v14, 0, 1, s0
	s_delay_alu instid0(VALU_DEP_3) | instskip(SKIP_1) | instid1(VALU_DEP_3)
	v_lshl_add_u64 v[6:7], s[26:27], 1, v[8:9]
	v_lshlrev_b64_e32 v[8:9], 1, v[12:13]
	v_cmp_ne_u32_e64 s0, 1, v14
	v_lshl_add_u64 v[10:11], s[8:9], 1, v[10:11]
	s_lshl_b64 s[8:9], s[22:23], 1
	s_branch .LBB96_3
.LBB96_2:                               ;   in Loop: Header=BB96_3 Depth=1
	s_add_co_i32 s2, s2, 0x10000
	s_delay_alu instid0(SALU_CYCLE_1)
	s_cmp_lt_i32 s2, s31
	s_cbranch_scc0 .LBB96_10
.LBB96_3:                               ; =>This Loop Header: Depth=1
                                        ;     Child Loop BB96_5 Depth 2
	v_dual_mov_b32 v14, s2 :: v_dual_mov_b32 v19, 0
	v_dual_mov_b32 v18, 0 :: v_dual_mov_b32 v15, 0
	s_and_b32 vcc_lo, exec_lo, s0
	s_clause 0x1
	global_load_b64 v[12:13], v14, s[12:13] scale_offset
	global_load_b64 v[16:17], v14, s[18:19] scale_offset
	s_wait_xcnt 0x0
	v_mov_b32_e32 v14, 0
	s_cbranch_vccnz .LBB96_6
; %bb.4:                                ;   in Loop: Header=BB96_3 Depth=1
	s_lshl_b64 s[22:23], s[2:3], 3
	v_mov_b32_e32 v14, 0
	s_add_nc_u64 s[26:27], s[10:11], s[22:23]
	s_add_nc_u64 s[22:23], s[4:5], s[22:23]
	s_clause 0x1
	global_load_b64 v[18:19], v3, s[26:27]
	global_load_b64 v[22:23], v3, s[22:23]
	s_wait_xcnt 0x0
	s_mov_b64 s[22:23], 0
	v_mov_b32_e32 v15, v14
	s_wait_loadcnt 0x1
	v_add_nc_u64_e32 v[20:21], v[18:19], v[6:7]
	s_wait_loadcnt 0x0
	v_add_nc_u64_e32 v[22:23], v[22:23], v[10:11]
	v_dual_mov_b32 v18, v14 :: v_dual_mov_b32 v19, v14
.LBB96_5:                               ;   Parent Loop BB96_3 Depth=1
                                        ; =>  This Inner Loop Header: Depth=2
	flat_load_u16 v27, v[22:23]
	flat_load_u16 v28, v[20:21]
	s_add_nc_u64 s[22:23], s[22:23], 8
	s_wait_xcnt 0x0
	v_add_nc_u64_e32 v[20:21], s[24:25], v[20:21]
	v_cmp_lt_i64_e64 s26, s[22:23], s[28:29]
	v_add_nc_u64_e32 v[22:23], s[6:7], v[22:23]
	s_and_b32 vcc_lo, exec_lo, s26
	s_wait_loadcnt_dscnt 0x101
	v_cvt_f32_f16_e32 v27, v27
	s_wait_loadcnt_dscnt 0x0
	v_cvt_f32_f16_e32 v28, v28
	ds_store_b32 v24, v27
	ds_store_b32 v25, v28
	s_wait_dscnt 0x0
	s_barrier_signal -1
	s_barrier_wait -1
	ds_load_2addr_b32 v[44:45], v26 offset1:16
	ds_load_2addr_b32 v[46:47], v26 offset0:32 offset1:48
	ds_load_b128 v[28:31], v2
	ds_load_2addr_b32 v[48:49], v26 offset0:64 offset1:80
	ds_load_b128 v[32:35], v2 offset:512
	ds_load_2addr_b32 v[50:51], v26 offset0:96 offset1:112
	ds_load_b128 v[36:39], v2 offset:16
	;; [unrolled: 2-line block ×3, first 2 shown]
	ds_load_2addr_b32 v[54:55], v26 offset0:160 offset1:176
	ds_load_2addr_b32 v[56:57], v26 offset0:192 offset1:208
	ds_load_2addr_b32 v[58:59], v26 offset0:224 offset1:240
	s_wait_dscnt 0x0
	s_barrier_signal -1
	s_barrier_wait -1
	v_dual_mov_b32 v60, v45 :: v_dual_mov_b32 v61, v44
	v_dual_mov_b32 v44, v47 :: v_dual_mov_b32 v45, v46
	;; [unrolled: 1-line block ×3, first 2 shown]
	s_delay_alu instid0(VALU_DEP_3) | instskip(SKIP_3) | instid1(VALU_DEP_4)
	v_pk_fma_f32 v[18:19], v[60:61], v[28:29], v[18:19] op_sel_hi:[1,0,1]
	v_pk_fma_f32 v[14:15], v[60:61], v[32:33], v[14:15] op_sel_hi:[1,0,1]
	v_dual_mov_b32 v48, v51 :: v_dual_mov_b32 v49, v50
	v_mov_b32_e32 v50, v31
	v_pk_fma_f32 v[18:19], v[44:45], v[28:29], v[18:19] op_sel:[0,1,0]
	s_delay_alu instid0(VALU_DEP_4) | instskip(SKIP_2) | instid1(VALU_DEP_4)
	v_pk_fma_f32 v[14:15], v[44:45], v[32:33], v[14:15] op_sel:[0,1,0]
	v_dual_mov_b32 v28, v35 :: v_dual_mov_b32 v32, v59
	v_mov_b32_e32 v33, v58
	v_pk_fma_f32 v[18:19], v[46:47], v[30:31], v[18:19] op_sel_hi:[1,0,1]
	s_delay_alu instid0(VALU_DEP_4) | instskip(SKIP_2) | instid1(VALU_DEP_4)
	v_pk_fma_f32 v[14:15], v[46:47], v[34:35], v[14:15] op_sel_hi:[1,0,1]
	v_dual_mov_b32 v30, v53 :: v_dual_mov_b32 v31, v52
	v_mov_b32_e32 v34, v43
	v_pk_fma_f32 v[18:19], v[48:49], v[50:51], v[18:19] op_sel_hi:[1,0,1]
	s_delay_alu instid0(VALU_DEP_4) | instskip(SKIP_1) | instid1(VALU_DEP_3)
	v_pk_fma_f32 v[14:15], v[48:49], v[28:29], v[14:15] op_sel_hi:[1,0,1]
	v_dual_mov_b32 v28, v55 :: v_dual_mov_b32 v29, v54
	v_pk_fma_f32 v[18:19], v[30:31], v[36:37], v[18:19] op_sel_hi:[1,0,1]
	s_delay_alu instid0(VALU_DEP_3) | instskip(SKIP_1) | instid1(VALU_DEP_3)
	v_pk_fma_f32 v[14:15], v[30:31], v[40:41], v[14:15] op_sel_hi:[1,0,1]
	v_dual_mov_b32 v30, v57 :: v_dual_mov_b32 v31, v56
	v_pk_fma_f32 v[18:19], v[28:29], v[36:37], v[18:19] op_sel:[0,1,0]
	s_delay_alu instid0(VALU_DEP_3) | instskip(SKIP_1) | instid1(VALU_DEP_3)
	v_pk_fma_f32 v[14:15], v[28:29], v[40:41], v[14:15] op_sel:[0,1,0]
	v_mov_b32_e32 v28, v39
	v_pk_fma_f32 v[18:19], v[30:31], v[38:39], v[18:19] op_sel_hi:[1,0,1]
	s_delay_alu instid0(VALU_DEP_3) | instskip(NEXT) | instid1(VALU_DEP_2)
	v_pk_fma_f32 v[14:15], v[30:31], v[42:43], v[14:15] op_sel_hi:[1,0,1]
	v_pk_fma_f32 v[18:19], v[32:33], v[28:29], v[18:19] op_sel_hi:[1,0,1]
	s_delay_alu instid0(VALU_DEP_2)
	v_pk_fma_f32 v[14:15], v[32:33], v[34:35], v[14:15] op_sel_hi:[1,0,1]
	s_cbranch_vccnz .LBB96_5
.LBB96_6:                               ;   in Loop: Header=BB96_3 Depth=1
	s_wait_loadcnt 0x0
	v_add_nc_u64_e32 v[16:17], s[8:9], v[16:17]
	s_and_not1_b32 vcc_lo, exec_lo, s1
	s_delay_alu instid0(VALU_DEP_1) | instskip(NEXT) | instid1(VALU_DEP_1)
	v_lshl_add_u64 v[16:17], v[0:1], 1, v[16:17]
	v_add_nc_u64_e32 v[20:21], v[16:17], v[8:9]
	v_lshl_add_u64 v[16:17], s[20:21], 1, v[16:17]
	s_cbranch_vccnz .LBB96_8
; %bb.7:                                ;   in Loop: Header=BB96_3 Depth=1
	s_delay_alu instid0(VALU_DEP_1)
	v_add_nc_u64_e32 v[22:23], v[16:17], v[8:9]
	v_fma_mixlo_f16 v27, s30, v19, 0
	v_fma_mixlo_f16 v29, s30, v15, 0
	;; [unrolled: 1-line block ×4, first 2 shown]
	s_clause 0x3
	flat_store_b16 v[20:21], v27
	flat_store_b16 v[20:21], v28 offset:32
	flat_store_b16 v[22:23], v29
	flat_store_b16 v[22:23], v30 offset:32
	s_cbranch_execnz .LBB96_2
	s_branch .LBB96_9
.LBB96_8:                               ;   in Loop: Header=BB96_3 Depth=1
.LBB96_9:                               ;   in Loop: Header=BB96_3 Depth=1
	v_add_nc_u64_e32 v[12:13], s[16:17], v[12:13]
	s_delay_alu instid0(VALU_DEP_2) | instskip(NEXT) | instid1(VALU_DEP_2)
	v_add_nc_u64_e32 v[16:17], v[16:17], v[8:9]
	v_lshl_add_u64 v[12:13], v[4:5], 1, v[12:13]
	s_wait_xcnt 0x0
	s_delay_alu instid0(VALU_DEP_1) | instskip(SKIP_1) | instid1(VALU_DEP_1)
	v_add_nc_u64_e32 v[22:23], v[12:13], v[8:9]
	v_lshl_add_u64 v[12:13], s[14:15], 1, v[12:13]
	v_add_nc_u64_e32 v[12:13], v[12:13], v[8:9]
	flat_load_u16 v27, v[22:23]
	s_wait_loadcnt_dscnt 0x0
	v_cvt_f32_f16_e32 v27, v27
	s_delay_alu instid0(VALU_DEP_1) | instskip(NEXT) | instid1(VALU_DEP_1)
	v_mul_f32_e32 v27, s33, v27
	v_fma_mixlo_f16 v19, s30, v19, v27
	flat_store_b16 v[20:21], v19
	flat_load_u16 v19, v[22:23] offset:32
	s_wait_loadcnt_dscnt 0x0
	v_cvt_f32_f16_e32 v19, v19
	s_delay_alu instid0(VALU_DEP_1) | instskip(NEXT) | instid1(VALU_DEP_1)
	v_mul_f32_e32 v19, s33, v19
	v_fma_mixlo_f16 v18, s30, v18, v19
	flat_store_b16 v[20:21], v18 offset:32
	flat_load_u16 v18, v[12:13]
	s_wait_loadcnt_dscnt 0x0
	v_cvt_f32_f16_e32 v18, v18
	s_delay_alu instid0(VALU_DEP_1) | instskip(NEXT) | instid1(VALU_DEP_1)
	v_mul_f32_e32 v18, s33, v18
	v_fma_mixlo_f16 v15, s30, v15, v18
	flat_store_b16 v[16:17], v15
	flat_load_u16 v12, v[12:13] offset:32
	s_wait_loadcnt_dscnt 0x0
	s_wait_xcnt 0x0
	v_cvt_f32_f16_e32 v12, v12
	s_delay_alu instid0(VALU_DEP_1) | instskip(NEXT) | instid1(VALU_DEP_1)
	v_mul_f32_e32 v12, s33, v12
	v_fma_mixlo_f16 v12, s30, v14, v12
	flat_store_b16 v[16:17], v12 offset:32
	s_branch .LBB96_2
.LBB96_10:
	s_endpgm
	.section	.rodata,"a",@progbits
	.p2align	6, 0x0
	.amdhsa_kernel _ZN12_GLOBAL__N_127rocblas_gemm_batched_kernelIfLi16ELi16ELi32ELi32ELi8ELi32ELi8ELi8ELi32ELc78ELc84EKPKDF16_S3_KPDF16_EEvlllT_PT11_llS8_llS6_PT12_llPT13_lli
		.amdhsa_group_segment_fixed_size 2048
		.amdhsa_private_segment_fixed_size 0
		.amdhsa_kernarg_size 140
		.amdhsa_user_sgpr_count 2
		.amdhsa_user_sgpr_dispatch_ptr 0
		.amdhsa_user_sgpr_queue_ptr 0
		.amdhsa_user_sgpr_kernarg_segment_ptr 1
		.amdhsa_user_sgpr_dispatch_id 0
		.amdhsa_user_sgpr_kernarg_preload_length 0
		.amdhsa_user_sgpr_kernarg_preload_offset 0
		.amdhsa_user_sgpr_private_segment_size 0
		.amdhsa_wavefront_size32 1
		.amdhsa_uses_dynamic_stack 0
		.amdhsa_enable_private_segment 0
		.amdhsa_system_sgpr_workgroup_id_x 1
		.amdhsa_system_sgpr_workgroup_id_y 1
		.amdhsa_system_sgpr_workgroup_id_z 1
		.amdhsa_system_sgpr_workgroup_info 0
		.amdhsa_system_vgpr_workitem_id 1
		.amdhsa_next_free_vgpr 62
		.amdhsa_next_free_sgpr 38
		.amdhsa_named_barrier_count 0
		.amdhsa_reserve_vcc 1
		.amdhsa_float_round_mode_32 0
		.amdhsa_float_round_mode_16_64 0
		.amdhsa_float_denorm_mode_32 3
		.amdhsa_float_denorm_mode_16_64 3
		.amdhsa_fp16_overflow 0
		.amdhsa_memory_ordered 1
		.amdhsa_forward_progress 1
		.amdhsa_inst_pref_size 12
		.amdhsa_round_robin_scheduling 0
		.amdhsa_exception_fp_ieee_invalid_op 0
		.amdhsa_exception_fp_denorm_src 0
		.amdhsa_exception_fp_ieee_div_zero 0
		.amdhsa_exception_fp_ieee_overflow 0
		.amdhsa_exception_fp_ieee_underflow 0
		.amdhsa_exception_fp_ieee_inexact 0
		.amdhsa_exception_int_div_zero 0
	.end_amdhsa_kernel
	.section	.text._ZN12_GLOBAL__N_127rocblas_gemm_batched_kernelIfLi16ELi16ELi32ELi32ELi8ELi32ELi8ELi8ELi32ELc78ELc84EKPKDF16_S3_KPDF16_EEvlllT_PT11_llS8_llS6_PT12_llPT13_lli,"axG",@progbits,_ZN12_GLOBAL__N_127rocblas_gemm_batched_kernelIfLi16ELi16ELi32ELi32ELi8ELi32ELi8ELi8ELi32ELc78ELc84EKPKDF16_S3_KPDF16_EEvlllT_PT11_llS8_llS6_PT12_llPT13_lli,comdat
.Lfunc_end96:
	.size	_ZN12_GLOBAL__N_127rocblas_gemm_batched_kernelIfLi16ELi16ELi32ELi32ELi8ELi32ELi8ELi8ELi32ELc78ELc84EKPKDF16_S3_KPDF16_EEvlllT_PT11_llS8_llS6_PT12_llPT13_lli, .Lfunc_end96-_ZN12_GLOBAL__N_127rocblas_gemm_batched_kernelIfLi16ELi16ELi32ELi32ELi8ELi32ELi8ELi8ELi32ELc78ELc84EKPKDF16_S3_KPDF16_EEvlllT_PT11_llS8_llS6_PT12_llPT13_lli
                                        ; -- End function
	.set _ZN12_GLOBAL__N_127rocblas_gemm_batched_kernelIfLi16ELi16ELi32ELi32ELi8ELi32ELi8ELi8ELi32ELc78ELc84EKPKDF16_S3_KPDF16_EEvlllT_PT11_llS8_llS6_PT12_llPT13_lli.num_vgpr, 62
	.set _ZN12_GLOBAL__N_127rocblas_gemm_batched_kernelIfLi16ELi16ELi32ELi32ELi8ELi32ELi8ELi8ELi32ELc78ELc84EKPKDF16_S3_KPDF16_EEvlllT_PT11_llS8_llS6_PT12_llPT13_lli.num_agpr, 0
	.set _ZN12_GLOBAL__N_127rocblas_gemm_batched_kernelIfLi16ELi16ELi32ELi32ELi8ELi32ELi8ELi8ELi32ELc78ELc84EKPKDF16_S3_KPDF16_EEvlllT_PT11_llS8_llS6_PT12_llPT13_lli.numbered_sgpr, 38
	.set _ZN12_GLOBAL__N_127rocblas_gemm_batched_kernelIfLi16ELi16ELi32ELi32ELi8ELi32ELi8ELi8ELi32ELc78ELc84EKPKDF16_S3_KPDF16_EEvlllT_PT11_llS8_llS6_PT12_llPT13_lli.num_named_barrier, 0
	.set _ZN12_GLOBAL__N_127rocblas_gemm_batched_kernelIfLi16ELi16ELi32ELi32ELi8ELi32ELi8ELi8ELi32ELc78ELc84EKPKDF16_S3_KPDF16_EEvlllT_PT11_llS8_llS6_PT12_llPT13_lli.private_seg_size, 0
	.set _ZN12_GLOBAL__N_127rocblas_gemm_batched_kernelIfLi16ELi16ELi32ELi32ELi8ELi32ELi8ELi8ELi32ELc78ELc84EKPKDF16_S3_KPDF16_EEvlllT_PT11_llS8_llS6_PT12_llPT13_lli.uses_vcc, 1
	.set _ZN12_GLOBAL__N_127rocblas_gemm_batched_kernelIfLi16ELi16ELi32ELi32ELi8ELi32ELi8ELi8ELi32ELc78ELc84EKPKDF16_S3_KPDF16_EEvlllT_PT11_llS8_llS6_PT12_llPT13_lli.uses_flat_scratch, 1
	.set _ZN12_GLOBAL__N_127rocblas_gemm_batched_kernelIfLi16ELi16ELi32ELi32ELi8ELi32ELi8ELi8ELi32ELc78ELc84EKPKDF16_S3_KPDF16_EEvlllT_PT11_llS8_llS6_PT12_llPT13_lli.has_dyn_sized_stack, 0
	.set _ZN12_GLOBAL__N_127rocblas_gemm_batched_kernelIfLi16ELi16ELi32ELi32ELi8ELi32ELi8ELi8ELi32ELc78ELc84EKPKDF16_S3_KPDF16_EEvlllT_PT11_llS8_llS6_PT12_llPT13_lli.has_recursion, 0
	.set _ZN12_GLOBAL__N_127rocblas_gemm_batched_kernelIfLi16ELi16ELi32ELi32ELi8ELi32ELi8ELi8ELi32ELc78ELc84EKPKDF16_S3_KPDF16_EEvlllT_PT11_llS8_llS6_PT12_llPT13_lli.has_indirect_call, 0
	.section	.AMDGPU.csdata,"",@progbits
; Kernel info:
; codeLenInByte = 1492
; TotalNumSgprs: 40
; NumVgprs: 62
; ScratchSize: 0
; MemoryBound: 0
; FloatMode: 240
; IeeeMode: 1
; LDSByteSize: 2048 bytes/workgroup (compile time only)
; SGPRBlocks: 0
; VGPRBlocks: 3
; NumSGPRsForWavesPerEU: 40
; NumVGPRsForWavesPerEU: 62
; NamedBarCnt: 0
; Occupancy: 16
; WaveLimiterHint : 1
; COMPUTE_PGM_RSRC2:SCRATCH_EN: 0
; COMPUTE_PGM_RSRC2:USER_SGPR: 2
; COMPUTE_PGM_RSRC2:TRAP_HANDLER: 0
; COMPUTE_PGM_RSRC2:TGID_X_EN: 1
; COMPUTE_PGM_RSRC2:TGID_Y_EN: 1
; COMPUTE_PGM_RSRC2:TGID_Z_EN: 1
; COMPUTE_PGM_RSRC2:TIDIG_COMP_CNT: 1
	.section	.text._ZN12_GLOBAL__N_127rocblas_gemm_batched_kernelIfLi16ELi16ELi32ELi32ELi8ELi32ELi8ELi8ELi32ELc84ELc84EKPKDF16_S3_KPDF16_EEvlllT_PT11_llS8_llS6_PT12_llPT13_lli,"axG",@progbits,_ZN12_GLOBAL__N_127rocblas_gemm_batched_kernelIfLi16ELi16ELi32ELi32ELi8ELi32ELi8ELi8ELi32ELc84ELc84EKPKDF16_S3_KPDF16_EEvlllT_PT11_llS8_llS6_PT12_llPT13_lli,comdat
	.globl	_ZN12_GLOBAL__N_127rocblas_gemm_batched_kernelIfLi16ELi16ELi32ELi32ELi8ELi32ELi8ELi8ELi32ELc84ELc84EKPKDF16_S3_KPDF16_EEvlllT_PT11_llS8_llS6_PT12_llPT13_lli ; -- Begin function _ZN12_GLOBAL__N_127rocblas_gemm_batched_kernelIfLi16ELi16ELi32ELi32ELi8ELi32ELi8ELi8ELi32ELc84ELc84EKPKDF16_S3_KPDF16_EEvlllT_PT11_llS8_llS6_PT12_llPT13_lli
	.p2align	8
	.type	_ZN12_GLOBAL__N_127rocblas_gemm_batched_kernelIfLi16ELi16ELi32ELi32ELi8ELi32ELi8ELi8ELi32ELc84ELc84EKPKDF16_S3_KPDF16_EEvlllT_PT11_llS8_llS6_PT12_llPT13_lli,@function
_ZN12_GLOBAL__N_127rocblas_gemm_batched_kernelIfLi16ELi16ELi32ELi32ELi8ELi32ELi8ELi8ELi32ELc84ELc84EKPKDF16_S3_KPDF16_EEvlllT_PT11_llS8_llS6_PT12_llPT13_lli: ; @_ZN12_GLOBAL__N_127rocblas_gemm_batched_kernelIfLi16ELi16ELi32ELi32ELi8ELi32ELi8ELi8ELi32ELc84ELc84EKPKDF16_S3_KPDF16_EEvlllT_PT11_llS8_llS6_PT12_llPT13_lli
; %bb.0:
	s_load_b32 s31, s[0:1], 0x88
	s_bfe_u32 s2, ttmp6, 0x40014
	s_lshr_b32 s3, ttmp7, 16
	s_add_co_i32 s2, s2, 1
	s_bfe_u32 s4, ttmp6, 0x40008
	s_mul_i32 s2, s3, s2
	s_getreg_b32 s28, hwreg(HW_REG_IB_STS2, 6, 4)
	s_add_co_i32 s4, s4, s2
	s_cmp_eq_u32 s28, 0
	s_cselect_b32 s2, s3, s4
	s_mov_b32 s3, 0
	s_wait_kmcnt 0x0
	s_cmp_ge_i32 s2, s31
	s_cbranch_scc1 .LBB97_10
; %bb.1:
	v_bfe_u32 v2, v0, 10, 10
	v_and_b32_e32 v6, 0x3ff, v0
	s_bfe_u32 s29, ttmp6, 0x4000c
	s_bfe_u32 s33, ttmp6, 0x40010
	s_add_co_i32 s29, s29, 1
	s_and_b32 s34, ttmp7, 0xffff
	s_add_co_i32 s33, s33, 1
	s_clause 0x3
	s_load_b256 s[4:11], s[0:1], 0x20
	s_load_b128 s[24:27], s[0:1], 0x40
	s_load_b128 s[20:23], s[0:1], 0x78
	s_load_b256 s[12:19], s[0:1], 0x58
	s_and_b32 s30, ttmp6, 15
	s_mul_i32 s29, ttmp9, s29
	s_mul_i32 s33, s34, s33
	s_bfe_u32 s35, ttmp6, 0x40004
	v_lshl_add_u32 v7, v2, 4, v6
	s_add_co_i32 s30, s30, s29
	s_add_co_i32 s35, s35, s33
	s_cmp_eq_u32 s28, 0
	s_delay_alu instid0(VALU_DEP_1)
	v_dual_mov_b32 v3, 0 :: v_dual_bitop2_b32 v14, 31, v7 bitop3:0x40
	s_cselect_b32 s28, ttmp9, s30
	s_cselect_b32 s30, s34, s35
	s_ashr_i32 s29, s28, 31
	v_lshrrev_b32_e32 v8, 3, v7
	s_lshl_b64 s[34:35], s[28:29], 5
	s_delay_alu instid0(SALU_CYCLE_1)
	v_dual_mov_b32 v1, s35 :: v_dual_bitop2_b32 v15, 7, v0 bitop3:0x40
	v_dual_mov_b32 v9, v3 :: v_dual_bitop2_b32 v0, s34, v14 bitop3:0x54
	v_lshrrev_b32_e32 v16, 5, v7
	s_load_b32 s33, s[0:1], 0x50
	v_lshlrev_b32_e32 v14, 2, v14
	s_wait_kmcnt 0x0
	v_mul_u64_e32 v[10:11], s[6:7], v[0:1]
	s_lshl_b32 s6, s30, 5
	v_mad_nc_u64_u32 v[12:13], s24, v15, v[8:9]
	s_mov_b32 s7, s3
	s_load_b96 s[28:30], s[0:1], 0x10
	v_add_nc_u64_e32 v[4:5], s[6:7], v[2:3]
	v_dual_lshlrev_b32 v9, 2, v15 :: v_dual_mov_b32 v7, v3
	v_lshlrev_b32_e32 v26, 2, v6
	v_lshl_or_b32 v24, v16, 7, v14
	v_lshl_add_u32 v27, v2, 5, 0x400
	v_lshlrev_b32_e32 v2, 1, v16
	v_mul_u64_e32 v[0:1], s[20:21], v[4:5]
	v_mul_u64_e32 v[4:5], s[14:15], v[4:5]
	v_mad_u32 v13, s25, v15, v13
	v_lshl_or_b32 v15, v8, 5, v9
	s_cmp_eq_f32 s33, 0
	s_delay_alu instid0(VALU_DEP_1)
	v_add_nc_u32_e32 v25, 0x400, v15
	s_wait_xcnt 0x0
	s_cselect_b32 s1, -1, 0
	s_lshl_b64 s[16:17], s[16:17], 1
	s_wait_kmcnt 0x0
	v_cmp_gt_i64_e64 s0, s[28:29], 0
	s_delay_alu instid0(VALU_DEP_4)
	v_add_nc_u64_e32 v[8:9], s[6:7], v[12:13]
	v_add_nc_u64_e32 v[12:13], s[34:35], v[6:7]
	s_lshl_b64 s[6:7], s[8:9], 1
	s_lshl_b64 s[8:9], s[14:15], 4
	;; [unrolled: 1-line block ×3, first 2 shown]
	v_cndmask_b32_e64 v16, 0, 1, s0
	s_delay_alu instid0(VALU_DEP_3)
	v_lshlrev_b64_e32 v[14:15], 1, v[8:9]
	v_lshl_add_u64 v[6:7], v[10:11], 1, s[6:7]
	v_lshlrev_b64_e32 v[8:9], 1, v[12:13]
	s_lshl_b64 s[6:7], s[20:21], 4
	v_cmp_ne_u32_e64 s0, 1, v16
	s_lshl_b64 s[20:21], s[22:23], 1
	v_add_nc_u64_e32 v[6:7], v[6:7], v[2:3]
	v_lshl_add_u64 v[10:11], s[26:27], 1, v[14:15]
	s_branch .LBB97_3
.LBB97_2:                               ;   in Loop: Header=BB97_3 Depth=1
	s_add_co_i32 s2, s2, 0x10000
	s_delay_alu instid0(SALU_CYCLE_1)
	s_cmp_lt_i32 s2, s31
	s_cbranch_scc0 .LBB97_10
.LBB97_3:                               ; =>This Loop Header: Depth=1
                                        ;     Child Loop BB97_5 Depth 2
	s_wait_xcnt 0x0
	v_dual_mov_b32 v2, s2 :: v_dual_mov_b32 v19, 0
	v_dual_mov_b32 v18, 0 :: v_dual_mov_b32 v15, 0
	v_mov_b32_e32 v14, 0
	s_clause 0x1
	global_load_b64 v[12:13], v2, s[12:13] scale_offset
	global_load_b64 v[16:17], v2, s[18:19] scale_offset
	s_and_b32 vcc_lo, exec_lo, s0
	s_cbranch_vccnz .LBB97_6
; %bb.4:                                ;   in Loop: Header=BB97_3 Depth=1
	s_lshl_b64 s[22:23], s[2:3], 3
	v_mov_b32_e32 v14, 0
	s_add_nc_u64 s[24:25], s[10:11], s[22:23]
	s_add_nc_u64 s[22:23], s[4:5], s[22:23]
	s_clause 0x1
	global_load_b64 v[18:19], v3, s[24:25]
	global_load_b64 v[22:23], v3, s[22:23]
	s_wait_xcnt 0x0
	s_mov_b64 s[22:23], 0
	v_mov_b32_e32 v15, v14
	s_wait_loadcnt 0x1
	v_add_nc_u64_e32 v[20:21], v[18:19], v[10:11]
	s_wait_loadcnt 0x0
	v_add_nc_u64_e32 v[22:23], v[22:23], v[6:7]
	v_dual_mov_b32 v18, v14 :: v_dual_mov_b32 v19, v14
.LBB97_5:                               ;   Parent Loop BB97_3 Depth=1
                                        ; =>  This Inner Loop Header: Depth=2
	flat_load_u16 v2, v[22:23]
	flat_load_u16 v28, v[20:21]
	s_add_nc_u64 s[22:23], s[22:23], 8
	s_wait_xcnt 0x0
	v_add_nc_u64_e32 v[20:21], s[14:15], v[20:21]
	v_cmp_lt_i64_e64 s24, s[22:23], s[28:29]
	v_add_nc_u64_e32 v[22:23], 16, v[22:23]
	s_and_b32 vcc_lo, exec_lo, s24
	s_wait_loadcnt_dscnt 0x101
	v_cvt_f32_f16_e32 v2, v2
	s_wait_loadcnt_dscnt 0x0
	v_cvt_f32_f16_e32 v28, v28
	ds_store_b32 v24, v2
	ds_store_b32 v25, v28
	s_wait_dscnt 0x0
	s_barrier_signal -1
	s_barrier_wait -1
	ds_load_2addr_b32 v[44:45], v26 offset1:16
	ds_load_2addr_b32 v[46:47], v26 offset0:32 offset1:48
	ds_load_b128 v[28:31], v27
	ds_load_2addr_b32 v[48:49], v26 offset0:64 offset1:80
	ds_load_b128 v[32:35], v27 offset:512
	ds_load_2addr_b32 v[50:51], v26 offset0:96 offset1:112
	ds_load_b128 v[36:39], v27 offset:16
	ds_load_2addr_b32 v[52:53], v26 offset0:128 offset1:144
	ds_load_b128 v[40:43], v27 offset:528
	ds_load_2addr_b32 v[54:55], v26 offset0:160 offset1:176
	ds_load_2addr_b32 v[56:57], v26 offset0:192 offset1:208
	;; [unrolled: 1-line block ×3, first 2 shown]
	s_wait_dscnt 0x0
	s_barrier_signal -1
	s_barrier_wait -1
	v_dual_mov_b32 v60, v45 :: v_dual_mov_b32 v61, v44
	v_dual_mov_b32 v44, v47 :: v_dual_mov_b32 v45, v46
	;; [unrolled: 1-line block ×3, first 2 shown]
	s_delay_alu instid0(VALU_DEP_3) | instskip(SKIP_3) | instid1(VALU_DEP_4)
	v_pk_fma_f32 v[18:19], v[60:61], v[28:29], v[18:19] op_sel_hi:[1,0,1]
	v_pk_fma_f32 v[14:15], v[60:61], v[32:33], v[14:15] op_sel_hi:[1,0,1]
	v_dual_mov_b32 v48, v51 :: v_dual_mov_b32 v49, v50
	v_mov_b32_e32 v2, v31
	v_pk_fma_f32 v[18:19], v[44:45], v[28:29], v[18:19] op_sel:[0,1,0]
	s_delay_alu instid0(VALU_DEP_4) | instskip(SKIP_2) | instid1(VALU_DEP_4)
	v_pk_fma_f32 v[14:15], v[44:45], v[32:33], v[14:15] op_sel:[0,1,0]
	v_dual_mov_b32 v28, v35 :: v_dual_mov_b32 v32, v59
	v_mov_b32_e32 v33, v58
	v_pk_fma_f32 v[18:19], v[46:47], v[30:31], v[18:19] op_sel_hi:[1,0,1]
	s_delay_alu instid0(VALU_DEP_4) | instskip(SKIP_1) | instid1(VALU_DEP_3)
	v_pk_fma_f32 v[14:15], v[46:47], v[34:35], v[14:15] op_sel_hi:[1,0,1]
	v_dual_mov_b32 v30, v53 :: v_dual_mov_b32 v31, v52
	v_pk_fma_f32 v[18:19], v[48:49], v[2:3], v[18:19] op_sel_hi:[1,0,1]
	s_delay_alu instid0(VALU_DEP_3) | instskip(SKIP_2) | instid1(VALU_DEP_4)
	v_pk_fma_f32 v[14:15], v[48:49], v[28:29], v[14:15] op_sel_hi:[1,0,1]
	v_dual_mov_b32 v28, v55 :: v_dual_mov_b32 v29, v54
	v_mov_b32_e32 v2, v39
	v_pk_fma_f32 v[18:19], v[30:31], v[36:37], v[18:19] op_sel_hi:[1,0,1]
	s_delay_alu instid0(VALU_DEP_4) | instskip(SKIP_1) | instid1(VALU_DEP_3)
	v_pk_fma_f32 v[14:15], v[30:31], v[40:41], v[14:15] op_sel_hi:[1,0,1]
	v_dual_mov_b32 v30, v57 :: v_dual_mov_b32 v31, v56
	v_pk_fma_f32 v[18:19], v[28:29], v[36:37], v[18:19] op_sel:[0,1,0]
	s_delay_alu instid0(VALU_DEP_3) | instskip(SKIP_1) | instid1(VALU_DEP_3)
	v_pk_fma_f32 v[14:15], v[28:29], v[40:41], v[14:15] op_sel:[0,1,0]
	v_mov_b32_e32 v28, v43
	v_pk_fma_f32 v[18:19], v[30:31], v[38:39], v[18:19] op_sel_hi:[1,0,1]
	s_delay_alu instid0(VALU_DEP_3) | instskip(NEXT) | instid1(VALU_DEP_2)
	v_pk_fma_f32 v[14:15], v[30:31], v[42:43], v[14:15] op_sel_hi:[1,0,1]
	v_pk_fma_f32 v[18:19], v[32:33], v[2:3], v[18:19] op_sel_hi:[1,0,1]
	s_delay_alu instid0(VALU_DEP_2)
	v_pk_fma_f32 v[14:15], v[32:33], v[28:29], v[14:15] op_sel_hi:[1,0,1]
	s_cbranch_vccnz .LBB97_5
.LBB97_6:                               ;   in Loop: Header=BB97_3 Depth=1
	s_wait_loadcnt 0x0
	v_add_nc_u64_e32 v[16:17], s[20:21], v[16:17]
	s_and_not1_b32 vcc_lo, exec_lo, s1
	s_delay_alu instid0(VALU_DEP_1) | instskip(NEXT) | instid1(VALU_DEP_1)
	v_lshl_add_u64 v[16:17], v[0:1], 1, v[16:17]
	v_add_nc_u64_e32 v[20:21], v[16:17], v[8:9]
	v_lshl_add_u64 v[16:17], s[6:7], 1, v[16:17]
	s_cbranch_vccnz .LBB97_8
; %bb.7:                                ;   in Loop: Header=BB97_3 Depth=1
	s_delay_alu instid0(VALU_DEP_1)
	v_add_nc_u64_e32 v[22:23], v[16:17], v[8:9]
	s_wait_xcnt 0x0
	v_fma_mixlo_f16 v2, s30, v19, 0
	v_fma_mixlo_f16 v29, s30, v15, 0
	;; [unrolled: 1-line block ×4, first 2 shown]
	s_clause 0x3
	flat_store_b16 v[20:21], v2
	flat_store_b16 v[20:21], v28 offset:32
	flat_store_b16 v[22:23], v29
	flat_store_b16 v[22:23], v30 offset:32
	s_cbranch_execnz .LBB97_2
	s_branch .LBB97_9
.LBB97_8:                               ;   in Loop: Header=BB97_3 Depth=1
.LBB97_9:                               ;   in Loop: Header=BB97_3 Depth=1
	v_add_nc_u64_e32 v[12:13], s[16:17], v[12:13]
	s_delay_alu instid0(VALU_DEP_2) | instskip(NEXT) | instid1(VALU_DEP_2)
	v_add_nc_u64_e32 v[16:17], v[16:17], v[8:9]
	v_lshl_add_u64 v[12:13], v[4:5], 1, v[12:13]
	s_wait_xcnt 0x0
	s_delay_alu instid0(VALU_DEP_1) | instskip(SKIP_1) | instid1(VALU_DEP_1)
	v_add_nc_u64_e32 v[22:23], v[12:13], v[8:9]
	v_lshl_add_u64 v[12:13], s[8:9], 1, v[12:13]
	v_add_nc_u64_e32 v[12:13], v[12:13], v[8:9]
	flat_load_u16 v2, v[22:23]
	s_wait_loadcnt_dscnt 0x0
	v_cvt_f32_f16_e32 v2, v2
	s_delay_alu instid0(VALU_DEP_1) | instskip(NEXT) | instid1(VALU_DEP_1)
	v_mul_f32_e32 v2, s33, v2
	v_fma_mixlo_f16 v2, s30, v19, v2
	flat_store_b16 v[20:21], v2
	flat_load_u16 v2, v[22:23] offset:32
	s_wait_loadcnt_dscnt 0x0
	v_cvt_f32_f16_e32 v2, v2
	s_delay_alu instid0(VALU_DEP_1) | instskip(NEXT) | instid1(VALU_DEP_1)
	v_mul_f32_e32 v2, s33, v2
	v_fma_mixlo_f16 v2, s30, v18, v2
	flat_store_b16 v[20:21], v2 offset:32
	flat_load_u16 v2, v[12:13]
	s_wait_loadcnt_dscnt 0x0
	v_cvt_f32_f16_e32 v2, v2
	s_delay_alu instid0(VALU_DEP_1) | instskip(NEXT) | instid1(VALU_DEP_1)
	v_mul_f32_e32 v2, s33, v2
	v_fma_mixlo_f16 v2, s30, v15, v2
	flat_store_b16 v[16:17], v2
	flat_load_u16 v2, v[12:13] offset:32
	s_wait_loadcnt_dscnt 0x0
	v_cvt_f32_f16_e32 v2, v2
	s_delay_alu instid0(VALU_DEP_1) | instskip(NEXT) | instid1(VALU_DEP_1)
	v_mul_f32_e32 v2, s33, v2
	v_fma_mixlo_f16 v2, s30, v14, v2
	flat_store_b16 v[16:17], v2 offset:32
	s_branch .LBB97_2
.LBB97_10:
	s_endpgm
	.section	.rodata,"a",@progbits
	.p2align	6, 0x0
	.amdhsa_kernel _ZN12_GLOBAL__N_127rocblas_gemm_batched_kernelIfLi16ELi16ELi32ELi32ELi8ELi32ELi8ELi8ELi32ELc84ELc84EKPKDF16_S3_KPDF16_EEvlllT_PT11_llS8_llS6_PT12_llPT13_lli
		.amdhsa_group_segment_fixed_size 2048
		.amdhsa_private_segment_fixed_size 0
		.amdhsa_kernarg_size 140
		.amdhsa_user_sgpr_count 2
		.amdhsa_user_sgpr_dispatch_ptr 0
		.amdhsa_user_sgpr_queue_ptr 0
		.amdhsa_user_sgpr_kernarg_segment_ptr 1
		.amdhsa_user_sgpr_dispatch_id 0
		.amdhsa_user_sgpr_kernarg_preload_length 0
		.amdhsa_user_sgpr_kernarg_preload_offset 0
		.amdhsa_user_sgpr_private_segment_size 0
		.amdhsa_wavefront_size32 1
		.amdhsa_uses_dynamic_stack 0
		.amdhsa_enable_private_segment 0
		.amdhsa_system_sgpr_workgroup_id_x 1
		.amdhsa_system_sgpr_workgroup_id_y 1
		.amdhsa_system_sgpr_workgroup_id_z 1
		.amdhsa_system_sgpr_workgroup_info 0
		.amdhsa_system_vgpr_workitem_id 1
		.amdhsa_next_free_vgpr 62
		.amdhsa_next_free_sgpr 36
		.amdhsa_named_barrier_count 0
		.amdhsa_reserve_vcc 1
		.amdhsa_float_round_mode_32 0
		.amdhsa_float_round_mode_16_64 0
		.amdhsa_float_denorm_mode_32 3
		.amdhsa_float_denorm_mode_16_64 3
		.amdhsa_fp16_overflow 0
		.amdhsa_memory_ordered 1
		.amdhsa_forward_progress 1
		.amdhsa_inst_pref_size 12
		.amdhsa_round_robin_scheduling 0
		.amdhsa_exception_fp_ieee_invalid_op 0
		.amdhsa_exception_fp_denorm_src 0
		.amdhsa_exception_fp_ieee_div_zero 0
		.amdhsa_exception_fp_ieee_overflow 0
		.amdhsa_exception_fp_ieee_underflow 0
		.amdhsa_exception_fp_ieee_inexact 0
		.amdhsa_exception_int_div_zero 0
	.end_amdhsa_kernel
	.section	.text._ZN12_GLOBAL__N_127rocblas_gemm_batched_kernelIfLi16ELi16ELi32ELi32ELi8ELi32ELi8ELi8ELi32ELc84ELc84EKPKDF16_S3_KPDF16_EEvlllT_PT11_llS8_llS6_PT12_llPT13_lli,"axG",@progbits,_ZN12_GLOBAL__N_127rocblas_gemm_batched_kernelIfLi16ELi16ELi32ELi32ELi8ELi32ELi8ELi8ELi32ELc84ELc84EKPKDF16_S3_KPDF16_EEvlllT_PT11_llS8_llS6_PT12_llPT13_lli,comdat
.Lfunc_end97:
	.size	_ZN12_GLOBAL__N_127rocblas_gemm_batched_kernelIfLi16ELi16ELi32ELi32ELi8ELi32ELi8ELi8ELi32ELc84ELc84EKPKDF16_S3_KPDF16_EEvlllT_PT11_llS8_llS6_PT12_llPT13_lli, .Lfunc_end97-_ZN12_GLOBAL__N_127rocblas_gemm_batched_kernelIfLi16ELi16ELi32ELi32ELi8ELi32ELi8ELi8ELi32ELc84ELc84EKPKDF16_S3_KPDF16_EEvlllT_PT11_llS8_llS6_PT12_llPT13_lli
                                        ; -- End function
	.set _ZN12_GLOBAL__N_127rocblas_gemm_batched_kernelIfLi16ELi16ELi32ELi32ELi8ELi32ELi8ELi8ELi32ELc84ELc84EKPKDF16_S3_KPDF16_EEvlllT_PT11_llS8_llS6_PT12_llPT13_lli.num_vgpr, 62
	.set _ZN12_GLOBAL__N_127rocblas_gemm_batched_kernelIfLi16ELi16ELi32ELi32ELi8ELi32ELi8ELi8ELi32ELc84ELc84EKPKDF16_S3_KPDF16_EEvlllT_PT11_llS8_llS6_PT12_llPT13_lli.num_agpr, 0
	.set _ZN12_GLOBAL__N_127rocblas_gemm_batched_kernelIfLi16ELi16ELi32ELi32ELi8ELi32ELi8ELi8ELi32ELc84ELc84EKPKDF16_S3_KPDF16_EEvlllT_PT11_llS8_llS6_PT12_llPT13_lli.numbered_sgpr, 36
	.set _ZN12_GLOBAL__N_127rocblas_gemm_batched_kernelIfLi16ELi16ELi32ELi32ELi8ELi32ELi8ELi8ELi32ELc84ELc84EKPKDF16_S3_KPDF16_EEvlllT_PT11_llS8_llS6_PT12_llPT13_lli.num_named_barrier, 0
	.set _ZN12_GLOBAL__N_127rocblas_gemm_batched_kernelIfLi16ELi16ELi32ELi32ELi8ELi32ELi8ELi8ELi32ELc84ELc84EKPKDF16_S3_KPDF16_EEvlllT_PT11_llS8_llS6_PT12_llPT13_lli.private_seg_size, 0
	.set _ZN12_GLOBAL__N_127rocblas_gemm_batched_kernelIfLi16ELi16ELi32ELi32ELi8ELi32ELi8ELi8ELi32ELc84ELc84EKPKDF16_S3_KPDF16_EEvlllT_PT11_llS8_llS6_PT12_llPT13_lli.uses_vcc, 1
	.set _ZN12_GLOBAL__N_127rocblas_gemm_batched_kernelIfLi16ELi16ELi32ELi32ELi8ELi32ELi8ELi8ELi32ELc84ELc84EKPKDF16_S3_KPDF16_EEvlllT_PT11_llS8_llS6_PT12_llPT13_lli.uses_flat_scratch, 1
	.set _ZN12_GLOBAL__N_127rocblas_gemm_batched_kernelIfLi16ELi16ELi32ELi32ELi8ELi32ELi8ELi8ELi32ELc84ELc84EKPKDF16_S3_KPDF16_EEvlllT_PT11_llS8_llS6_PT12_llPT13_lli.has_dyn_sized_stack, 0
	.set _ZN12_GLOBAL__N_127rocblas_gemm_batched_kernelIfLi16ELi16ELi32ELi32ELi8ELi32ELi8ELi8ELi32ELc84ELc84EKPKDF16_S3_KPDF16_EEvlllT_PT11_llS8_llS6_PT12_llPT13_lli.has_recursion, 0
	.set _ZN12_GLOBAL__N_127rocblas_gemm_batched_kernelIfLi16ELi16ELi32ELi32ELi8ELi32ELi8ELi8ELi32ELc84ELc84EKPKDF16_S3_KPDF16_EEvlllT_PT11_llS8_llS6_PT12_llPT13_lli.has_indirect_call, 0
	.section	.AMDGPU.csdata,"",@progbits
; Kernel info:
; codeLenInByte = 1496
; TotalNumSgprs: 38
; NumVgprs: 62
; ScratchSize: 0
; MemoryBound: 0
; FloatMode: 240
; IeeeMode: 1
; LDSByteSize: 2048 bytes/workgroup (compile time only)
; SGPRBlocks: 0
; VGPRBlocks: 3
; NumSGPRsForWavesPerEU: 38
; NumVGPRsForWavesPerEU: 62
; NamedBarCnt: 0
; Occupancy: 16
; WaveLimiterHint : 1
; COMPUTE_PGM_RSRC2:SCRATCH_EN: 0
; COMPUTE_PGM_RSRC2:USER_SGPR: 2
; COMPUTE_PGM_RSRC2:TRAP_HANDLER: 0
; COMPUTE_PGM_RSRC2:TGID_X_EN: 1
; COMPUTE_PGM_RSRC2:TGID_Y_EN: 1
; COMPUTE_PGM_RSRC2:TGID_Z_EN: 1
; COMPUTE_PGM_RSRC2:TIDIG_COMP_CNT: 1
	.section	.text._ZN12_GLOBAL__N_127rocblas_gemm_batched_kernelIfLi16ELi16ELi32ELi32ELi8ELi32ELi8ELi8ELi32ELc67ELc67EKPKDF16_S3_KPDF16_EEvlllT_PT11_llS8_llS6_PT12_llPT13_lli,"axG",@progbits,_ZN12_GLOBAL__N_127rocblas_gemm_batched_kernelIfLi16ELi16ELi32ELi32ELi8ELi32ELi8ELi8ELi32ELc67ELc67EKPKDF16_S3_KPDF16_EEvlllT_PT11_llS8_llS6_PT12_llPT13_lli,comdat
	.globl	_ZN12_GLOBAL__N_127rocblas_gemm_batched_kernelIfLi16ELi16ELi32ELi32ELi8ELi32ELi8ELi8ELi32ELc67ELc67EKPKDF16_S3_KPDF16_EEvlllT_PT11_llS8_llS6_PT12_llPT13_lli ; -- Begin function _ZN12_GLOBAL__N_127rocblas_gemm_batched_kernelIfLi16ELi16ELi32ELi32ELi8ELi32ELi8ELi8ELi32ELc67ELc67EKPKDF16_S3_KPDF16_EEvlllT_PT11_llS8_llS6_PT12_llPT13_lli
	.p2align	8
	.type	_ZN12_GLOBAL__N_127rocblas_gemm_batched_kernelIfLi16ELi16ELi32ELi32ELi8ELi32ELi8ELi8ELi32ELc67ELc67EKPKDF16_S3_KPDF16_EEvlllT_PT11_llS8_llS6_PT12_llPT13_lli,@function
_ZN12_GLOBAL__N_127rocblas_gemm_batched_kernelIfLi16ELi16ELi32ELi32ELi8ELi32ELi8ELi8ELi32ELc67ELc67EKPKDF16_S3_KPDF16_EEvlllT_PT11_llS8_llS6_PT12_llPT13_lli: ; @_ZN12_GLOBAL__N_127rocblas_gemm_batched_kernelIfLi16ELi16ELi32ELi32ELi8ELi32ELi8ELi8ELi32ELc67ELc67EKPKDF16_S3_KPDF16_EEvlllT_PT11_llS8_llS6_PT12_llPT13_lli
; %bb.0:
	s_load_b32 s31, s[0:1], 0x88
	s_bfe_u32 s2, ttmp6, 0x40014
	s_lshr_b32 s3, ttmp7, 16
	s_add_co_i32 s2, s2, 1
	s_bfe_u32 s4, ttmp6, 0x40008
	s_mul_i32 s2, s3, s2
	s_getreg_b32 s28, hwreg(HW_REG_IB_STS2, 6, 4)
	s_add_co_i32 s4, s4, s2
	s_cmp_eq_u32 s28, 0
	s_cselect_b32 s2, s3, s4
	s_mov_b32 s3, 0
	s_wait_kmcnt 0x0
	s_cmp_ge_i32 s2, s31
	s_cbranch_scc1 .LBB98_10
; %bb.1:
	v_bfe_u32 v2, v0, 10, 10
	v_and_b32_e32 v6, 0x3ff, v0
	s_bfe_u32 s29, ttmp6, 0x4000c
	s_bfe_u32 s33, ttmp6, 0x40010
	s_add_co_i32 s29, s29, 1
	s_and_b32 s34, ttmp7, 0xffff
	s_add_co_i32 s33, s33, 1
	s_clause 0x3
	s_load_b256 s[4:11], s[0:1], 0x20
	s_load_b128 s[24:27], s[0:1], 0x40
	s_load_b128 s[20:23], s[0:1], 0x78
	s_load_b256 s[12:19], s[0:1], 0x58
	s_and_b32 s30, ttmp6, 15
	s_mul_i32 s29, ttmp9, s29
	s_mul_i32 s33, s34, s33
	s_bfe_u32 s35, ttmp6, 0x40004
	v_lshl_add_u32 v7, v2, 4, v6
	s_add_co_i32 s30, s30, s29
	s_add_co_i32 s35, s35, s33
	s_cmp_eq_u32 s28, 0
	s_delay_alu instid0(VALU_DEP_1)
	v_dual_mov_b32 v3, 0 :: v_dual_bitop2_b32 v14, 31, v7 bitop3:0x40
	s_cselect_b32 s28, ttmp9, s30
	s_cselect_b32 s30, s34, s35
	s_ashr_i32 s29, s28, 31
	v_lshrrev_b32_e32 v8, 3, v7
	s_lshl_b64 s[34:35], s[28:29], 5
	s_delay_alu instid0(SALU_CYCLE_1)
	v_dual_mov_b32 v1, s35 :: v_dual_bitop2_b32 v15, 7, v0 bitop3:0x40
	v_dual_mov_b32 v9, v3 :: v_dual_bitop2_b32 v0, s34, v14 bitop3:0x54
	v_lshrrev_b32_e32 v16, 5, v7
	s_load_b32 s33, s[0:1], 0x50
	v_lshlrev_b32_e32 v14, 2, v14
	s_wait_kmcnt 0x0
	v_mul_u64_e32 v[10:11], s[6:7], v[0:1]
	s_lshl_b32 s6, s30, 5
	v_mad_nc_u64_u32 v[12:13], s24, v15, v[8:9]
	s_mov_b32 s7, s3
	s_load_b96 s[28:30], s[0:1], 0x10
	v_add_nc_u64_e32 v[4:5], s[6:7], v[2:3]
	v_dual_lshlrev_b32 v9, 2, v15 :: v_dual_mov_b32 v7, v3
	v_lshlrev_b32_e32 v26, 2, v6
	v_lshl_or_b32 v24, v16, 7, v14
	v_lshl_add_u32 v27, v2, 5, 0x400
	v_lshlrev_b32_e32 v2, 1, v16
	v_mul_u64_e32 v[0:1], s[20:21], v[4:5]
	v_mul_u64_e32 v[4:5], s[14:15], v[4:5]
	v_mad_u32 v13, s25, v15, v13
	v_lshl_or_b32 v15, v8, 5, v9
	s_cmp_eq_f32 s33, 0
	s_delay_alu instid0(VALU_DEP_1)
	v_add_nc_u32_e32 v25, 0x400, v15
	s_wait_xcnt 0x0
	s_cselect_b32 s1, -1, 0
	s_lshl_b64 s[16:17], s[16:17], 1
	s_wait_kmcnt 0x0
	v_cmp_gt_i64_e64 s0, s[28:29], 0
	s_delay_alu instid0(VALU_DEP_4)
	v_add_nc_u64_e32 v[8:9], s[6:7], v[12:13]
	v_add_nc_u64_e32 v[12:13], s[34:35], v[6:7]
	s_lshl_b64 s[6:7], s[8:9], 1
	s_lshl_b64 s[8:9], s[14:15], 4
	;; [unrolled: 1-line block ×3, first 2 shown]
	v_cndmask_b32_e64 v16, 0, 1, s0
	s_delay_alu instid0(VALU_DEP_3)
	v_lshlrev_b64_e32 v[14:15], 1, v[8:9]
	v_lshl_add_u64 v[6:7], v[10:11], 1, s[6:7]
	v_lshlrev_b64_e32 v[8:9], 1, v[12:13]
	s_lshl_b64 s[6:7], s[20:21], 4
	v_cmp_ne_u32_e64 s0, 1, v16
	s_lshl_b64 s[20:21], s[22:23], 1
	v_add_nc_u64_e32 v[6:7], v[6:7], v[2:3]
	v_lshl_add_u64 v[10:11], s[26:27], 1, v[14:15]
	s_branch .LBB98_3
.LBB98_2:                               ;   in Loop: Header=BB98_3 Depth=1
	s_add_co_i32 s2, s2, 0x10000
	s_delay_alu instid0(SALU_CYCLE_1)
	s_cmp_lt_i32 s2, s31
	s_cbranch_scc0 .LBB98_10
.LBB98_3:                               ; =>This Loop Header: Depth=1
                                        ;     Child Loop BB98_5 Depth 2
	s_wait_xcnt 0x0
	v_dual_mov_b32 v2, s2 :: v_dual_mov_b32 v19, 0
	v_dual_mov_b32 v18, 0 :: v_dual_mov_b32 v15, 0
	v_mov_b32_e32 v14, 0
	s_clause 0x1
	global_load_b64 v[12:13], v2, s[12:13] scale_offset
	global_load_b64 v[16:17], v2, s[18:19] scale_offset
	s_and_b32 vcc_lo, exec_lo, s0
	s_cbranch_vccnz .LBB98_6
; %bb.4:                                ;   in Loop: Header=BB98_3 Depth=1
	s_lshl_b64 s[22:23], s[2:3], 3
	v_mov_b32_e32 v14, 0
	s_add_nc_u64 s[24:25], s[10:11], s[22:23]
	s_add_nc_u64 s[22:23], s[4:5], s[22:23]
	s_clause 0x1
	global_load_b64 v[18:19], v3, s[24:25]
	global_load_b64 v[22:23], v3, s[22:23]
	s_wait_xcnt 0x0
	s_mov_b64 s[22:23], 0
	v_mov_b32_e32 v15, v14
	s_wait_loadcnt 0x1
	v_add_nc_u64_e32 v[20:21], v[18:19], v[10:11]
	s_wait_loadcnt 0x0
	v_add_nc_u64_e32 v[22:23], v[22:23], v[6:7]
	v_dual_mov_b32 v18, v14 :: v_dual_mov_b32 v19, v14
.LBB98_5:                               ;   Parent Loop BB98_3 Depth=1
                                        ; =>  This Inner Loop Header: Depth=2
	flat_load_u16 v2, v[22:23]
	flat_load_u16 v28, v[20:21]
	s_add_nc_u64 s[22:23], s[22:23], 8
	s_wait_xcnt 0x0
	v_add_nc_u64_e32 v[20:21], s[14:15], v[20:21]
	v_cmp_lt_i64_e64 s24, s[22:23], s[28:29]
	v_add_nc_u64_e32 v[22:23], 16, v[22:23]
	s_and_b32 vcc_lo, exec_lo, s24
	s_wait_loadcnt_dscnt 0x101
	v_cvt_f32_f16_e32 v2, v2
	s_wait_loadcnt_dscnt 0x0
	v_cvt_f32_f16_e32 v28, v28
	ds_store_b32 v24, v2
	ds_store_b32 v25, v28
	s_wait_dscnt 0x0
	s_barrier_signal -1
	s_barrier_wait -1
	ds_load_2addr_b32 v[44:45], v26 offset1:16
	ds_load_2addr_b32 v[46:47], v26 offset0:32 offset1:48
	ds_load_b128 v[28:31], v27
	ds_load_2addr_b32 v[48:49], v26 offset0:64 offset1:80
	ds_load_b128 v[32:35], v27 offset:512
	ds_load_2addr_b32 v[50:51], v26 offset0:96 offset1:112
	ds_load_b128 v[36:39], v27 offset:16
	;; [unrolled: 2-line block ×3, first 2 shown]
	ds_load_2addr_b32 v[54:55], v26 offset0:160 offset1:176
	ds_load_2addr_b32 v[56:57], v26 offset0:192 offset1:208
	;; [unrolled: 1-line block ×3, first 2 shown]
	s_wait_dscnt 0x0
	s_barrier_signal -1
	s_barrier_wait -1
	v_dual_mov_b32 v60, v45 :: v_dual_mov_b32 v61, v44
	v_dual_mov_b32 v44, v47 :: v_dual_mov_b32 v45, v46
	;; [unrolled: 1-line block ×3, first 2 shown]
	s_delay_alu instid0(VALU_DEP_3) | instskip(SKIP_3) | instid1(VALU_DEP_4)
	v_pk_fma_f32 v[18:19], v[60:61], v[28:29], v[18:19] op_sel_hi:[1,0,1]
	v_pk_fma_f32 v[14:15], v[60:61], v[32:33], v[14:15] op_sel_hi:[1,0,1]
	v_dual_mov_b32 v48, v51 :: v_dual_mov_b32 v49, v50
	v_mov_b32_e32 v2, v31
	v_pk_fma_f32 v[18:19], v[44:45], v[28:29], v[18:19] op_sel:[0,1,0]
	s_delay_alu instid0(VALU_DEP_4) | instskip(SKIP_2) | instid1(VALU_DEP_4)
	v_pk_fma_f32 v[14:15], v[44:45], v[32:33], v[14:15] op_sel:[0,1,0]
	v_dual_mov_b32 v28, v35 :: v_dual_mov_b32 v32, v59
	v_mov_b32_e32 v33, v58
	v_pk_fma_f32 v[18:19], v[46:47], v[30:31], v[18:19] op_sel_hi:[1,0,1]
	s_delay_alu instid0(VALU_DEP_4) | instskip(SKIP_1) | instid1(VALU_DEP_3)
	v_pk_fma_f32 v[14:15], v[46:47], v[34:35], v[14:15] op_sel_hi:[1,0,1]
	v_dual_mov_b32 v30, v53 :: v_dual_mov_b32 v31, v52
	v_pk_fma_f32 v[18:19], v[48:49], v[2:3], v[18:19] op_sel_hi:[1,0,1]
	s_delay_alu instid0(VALU_DEP_3) | instskip(SKIP_2) | instid1(VALU_DEP_4)
	v_pk_fma_f32 v[14:15], v[48:49], v[28:29], v[14:15] op_sel_hi:[1,0,1]
	v_dual_mov_b32 v28, v55 :: v_dual_mov_b32 v29, v54
	v_mov_b32_e32 v2, v39
	v_pk_fma_f32 v[18:19], v[30:31], v[36:37], v[18:19] op_sel_hi:[1,0,1]
	s_delay_alu instid0(VALU_DEP_4) | instskip(SKIP_1) | instid1(VALU_DEP_3)
	v_pk_fma_f32 v[14:15], v[30:31], v[40:41], v[14:15] op_sel_hi:[1,0,1]
	v_dual_mov_b32 v30, v57 :: v_dual_mov_b32 v31, v56
	v_pk_fma_f32 v[18:19], v[28:29], v[36:37], v[18:19] op_sel:[0,1,0]
	s_delay_alu instid0(VALU_DEP_3) | instskip(SKIP_1) | instid1(VALU_DEP_3)
	v_pk_fma_f32 v[14:15], v[28:29], v[40:41], v[14:15] op_sel:[0,1,0]
	v_mov_b32_e32 v28, v43
	v_pk_fma_f32 v[18:19], v[30:31], v[38:39], v[18:19] op_sel_hi:[1,0,1]
	s_delay_alu instid0(VALU_DEP_3) | instskip(NEXT) | instid1(VALU_DEP_2)
	v_pk_fma_f32 v[14:15], v[30:31], v[42:43], v[14:15] op_sel_hi:[1,0,1]
	v_pk_fma_f32 v[18:19], v[32:33], v[2:3], v[18:19] op_sel_hi:[1,0,1]
	s_delay_alu instid0(VALU_DEP_2)
	v_pk_fma_f32 v[14:15], v[32:33], v[28:29], v[14:15] op_sel_hi:[1,0,1]
	s_cbranch_vccnz .LBB98_5
.LBB98_6:                               ;   in Loop: Header=BB98_3 Depth=1
	s_wait_loadcnt 0x0
	v_add_nc_u64_e32 v[16:17], s[20:21], v[16:17]
	s_and_not1_b32 vcc_lo, exec_lo, s1
	s_delay_alu instid0(VALU_DEP_1) | instskip(NEXT) | instid1(VALU_DEP_1)
	v_lshl_add_u64 v[16:17], v[0:1], 1, v[16:17]
	v_add_nc_u64_e32 v[20:21], v[16:17], v[8:9]
	v_lshl_add_u64 v[16:17], s[6:7], 1, v[16:17]
	s_cbranch_vccnz .LBB98_8
; %bb.7:                                ;   in Loop: Header=BB98_3 Depth=1
	s_delay_alu instid0(VALU_DEP_1)
	v_add_nc_u64_e32 v[22:23], v[16:17], v[8:9]
	s_wait_xcnt 0x0
	v_fma_mixlo_f16 v2, s30, v19, 0
	v_fma_mixlo_f16 v29, s30, v15, 0
	;; [unrolled: 1-line block ×4, first 2 shown]
	s_clause 0x3
	flat_store_b16 v[20:21], v2
	flat_store_b16 v[20:21], v28 offset:32
	flat_store_b16 v[22:23], v29
	flat_store_b16 v[22:23], v30 offset:32
	s_cbranch_execnz .LBB98_2
	s_branch .LBB98_9
.LBB98_8:                               ;   in Loop: Header=BB98_3 Depth=1
.LBB98_9:                               ;   in Loop: Header=BB98_3 Depth=1
	v_add_nc_u64_e32 v[12:13], s[16:17], v[12:13]
	s_delay_alu instid0(VALU_DEP_2) | instskip(NEXT) | instid1(VALU_DEP_2)
	v_add_nc_u64_e32 v[16:17], v[16:17], v[8:9]
	v_lshl_add_u64 v[12:13], v[4:5], 1, v[12:13]
	s_wait_xcnt 0x0
	s_delay_alu instid0(VALU_DEP_1) | instskip(SKIP_1) | instid1(VALU_DEP_1)
	v_add_nc_u64_e32 v[22:23], v[12:13], v[8:9]
	v_lshl_add_u64 v[12:13], s[8:9], 1, v[12:13]
	v_add_nc_u64_e32 v[12:13], v[12:13], v[8:9]
	flat_load_u16 v2, v[22:23]
	s_wait_loadcnt_dscnt 0x0
	v_cvt_f32_f16_e32 v2, v2
	s_delay_alu instid0(VALU_DEP_1) | instskip(NEXT) | instid1(VALU_DEP_1)
	v_mul_f32_e32 v2, s33, v2
	v_fma_mixlo_f16 v2, s30, v19, v2
	flat_store_b16 v[20:21], v2
	flat_load_u16 v2, v[22:23] offset:32
	s_wait_loadcnt_dscnt 0x0
	v_cvt_f32_f16_e32 v2, v2
	s_delay_alu instid0(VALU_DEP_1) | instskip(NEXT) | instid1(VALU_DEP_1)
	v_mul_f32_e32 v2, s33, v2
	v_fma_mixlo_f16 v2, s30, v18, v2
	flat_store_b16 v[20:21], v2 offset:32
	flat_load_u16 v2, v[12:13]
	s_wait_loadcnt_dscnt 0x0
	v_cvt_f32_f16_e32 v2, v2
	s_delay_alu instid0(VALU_DEP_1) | instskip(NEXT) | instid1(VALU_DEP_1)
	v_mul_f32_e32 v2, s33, v2
	v_fma_mixlo_f16 v2, s30, v15, v2
	flat_store_b16 v[16:17], v2
	flat_load_u16 v2, v[12:13] offset:32
	s_wait_loadcnt_dscnt 0x0
	v_cvt_f32_f16_e32 v2, v2
	s_delay_alu instid0(VALU_DEP_1) | instskip(NEXT) | instid1(VALU_DEP_1)
	v_mul_f32_e32 v2, s33, v2
	v_fma_mixlo_f16 v2, s30, v14, v2
	flat_store_b16 v[16:17], v2 offset:32
	s_branch .LBB98_2
.LBB98_10:
	s_endpgm
	.section	.rodata,"a",@progbits
	.p2align	6, 0x0
	.amdhsa_kernel _ZN12_GLOBAL__N_127rocblas_gemm_batched_kernelIfLi16ELi16ELi32ELi32ELi8ELi32ELi8ELi8ELi32ELc67ELc67EKPKDF16_S3_KPDF16_EEvlllT_PT11_llS8_llS6_PT12_llPT13_lli
		.amdhsa_group_segment_fixed_size 2048
		.amdhsa_private_segment_fixed_size 0
		.amdhsa_kernarg_size 140
		.amdhsa_user_sgpr_count 2
		.amdhsa_user_sgpr_dispatch_ptr 0
		.amdhsa_user_sgpr_queue_ptr 0
		.amdhsa_user_sgpr_kernarg_segment_ptr 1
		.amdhsa_user_sgpr_dispatch_id 0
		.amdhsa_user_sgpr_kernarg_preload_length 0
		.amdhsa_user_sgpr_kernarg_preload_offset 0
		.amdhsa_user_sgpr_private_segment_size 0
		.amdhsa_wavefront_size32 1
		.amdhsa_uses_dynamic_stack 0
		.amdhsa_enable_private_segment 0
		.amdhsa_system_sgpr_workgroup_id_x 1
		.amdhsa_system_sgpr_workgroup_id_y 1
		.amdhsa_system_sgpr_workgroup_id_z 1
		.amdhsa_system_sgpr_workgroup_info 0
		.amdhsa_system_vgpr_workitem_id 1
		.amdhsa_next_free_vgpr 62
		.amdhsa_next_free_sgpr 36
		.amdhsa_named_barrier_count 0
		.amdhsa_reserve_vcc 1
		.amdhsa_float_round_mode_32 0
		.amdhsa_float_round_mode_16_64 0
		.amdhsa_float_denorm_mode_32 3
		.amdhsa_float_denorm_mode_16_64 3
		.amdhsa_fp16_overflow 0
		.amdhsa_memory_ordered 1
		.amdhsa_forward_progress 1
		.amdhsa_inst_pref_size 12
		.amdhsa_round_robin_scheduling 0
		.amdhsa_exception_fp_ieee_invalid_op 0
		.amdhsa_exception_fp_denorm_src 0
		.amdhsa_exception_fp_ieee_div_zero 0
		.amdhsa_exception_fp_ieee_overflow 0
		.amdhsa_exception_fp_ieee_underflow 0
		.amdhsa_exception_fp_ieee_inexact 0
		.amdhsa_exception_int_div_zero 0
	.end_amdhsa_kernel
	.section	.text._ZN12_GLOBAL__N_127rocblas_gemm_batched_kernelIfLi16ELi16ELi32ELi32ELi8ELi32ELi8ELi8ELi32ELc67ELc67EKPKDF16_S3_KPDF16_EEvlllT_PT11_llS8_llS6_PT12_llPT13_lli,"axG",@progbits,_ZN12_GLOBAL__N_127rocblas_gemm_batched_kernelIfLi16ELi16ELi32ELi32ELi8ELi32ELi8ELi8ELi32ELc67ELc67EKPKDF16_S3_KPDF16_EEvlllT_PT11_llS8_llS6_PT12_llPT13_lli,comdat
.Lfunc_end98:
	.size	_ZN12_GLOBAL__N_127rocblas_gemm_batched_kernelIfLi16ELi16ELi32ELi32ELi8ELi32ELi8ELi8ELi32ELc67ELc67EKPKDF16_S3_KPDF16_EEvlllT_PT11_llS8_llS6_PT12_llPT13_lli, .Lfunc_end98-_ZN12_GLOBAL__N_127rocblas_gemm_batched_kernelIfLi16ELi16ELi32ELi32ELi8ELi32ELi8ELi8ELi32ELc67ELc67EKPKDF16_S3_KPDF16_EEvlllT_PT11_llS8_llS6_PT12_llPT13_lli
                                        ; -- End function
	.set _ZN12_GLOBAL__N_127rocblas_gemm_batched_kernelIfLi16ELi16ELi32ELi32ELi8ELi32ELi8ELi8ELi32ELc67ELc67EKPKDF16_S3_KPDF16_EEvlllT_PT11_llS8_llS6_PT12_llPT13_lli.num_vgpr, 62
	.set _ZN12_GLOBAL__N_127rocblas_gemm_batched_kernelIfLi16ELi16ELi32ELi32ELi8ELi32ELi8ELi8ELi32ELc67ELc67EKPKDF16_S3_KPDF16_EEvlllT_PT11_llS8_llS6_PT12_llPT13_lli.num_agpr, 0
	.set _ZN12_GLOBAL__N_127rocblas_gemm_batched_kernelIfLi16ELi16ELi32ELi32ELi8ELi32ELi8ELi8ELi32ELc67ELc67EKPKDF16_S3_KPDF16_EEvlllT_PT11_llS8_llS6_PT12_llPT13_lli.numbered_sgpr, 36
	.set _ZN12_GLOBAL__N_127rocblas_gemm_batched_kernelIfLi16ELi16ELi32ELi32ELi8ELi32ELi8ELi8ELi32ELc67ELc67EKPKDF16_S3_KPDF16_EEvlllT_PT11_llS8_llS6_PT12_llPT13_lli.num_named_barrier, 0
	.set _ZN12_GLOBAL__N_127rocblas_gemm_batched_kernelIfLi16ELi16ELi32ELi32ELi8ELi32ELi8ELi8ELi32ELc67ELc67EKPKDF16_S3_KPDF16_EEvlllT_PT11_llS8_llS6_PT12_llPT13_lli.private_seg_size, 0
	.set _ZN12_GLOBAL__N_127rocblas_gemm_batched_kernelIfLi16ELi16ELi32ELi32ELi8ELi32ELi8ELi8ELi32ELc67ELc67EKPKDF16_S3_KPDF16_EEvlllT_PT11_llS8_llS6_PT12_llPT13_lli.uses_vcc, 1
	.set _ZN12_GLOBAL__N_127rocblas_gemm_batched_kernelIfLi16ELi16ELi32ELi32ELi8ELi32ELi8ELi8ELi32ELc67ELc67EKPKDF16_S3_KPDF16_EEvlllT_PT11_llS8_llS6_PT12_llPT13_lli.uses_flat_scratch, 1
	.set _ZN12_GLOBAL__N_127rocblas_gemm_batched_kernelIfLi16ELi16ELi32ELi32ELi8ELi32ELi8ELi8ELi32ELc67ELc67EKPKDF16_S3_KPDF16_EEvlllT_PT11_llS8_llS6_PT12_llPT13_lli.has_dyn_sized_stack, 0
	.set _ZN12_GLOBAL__N_127rocblas_gemm_batched_kernelIfLi16ELi16ELi32ELi32ELi8ELi32ELi8ELi8ELi32ELc67ELc67EKPKDF16_S3_KPDF16_EEvlllT_PT11_llS8_llS6_PT12_llPT13_lli.has_recursion, 0
	.set _ZN12_GLOBAL__N_127rocblas_gemm_batched_kernelIfLi16ELi16ELi32ELi32ELi8ELi32ELi8ELi8ELi32ELc67ELc67EKPKDF16_S3_KPDF16_EEvlllT_PT11_llS8_llS6_PT12_llPT13_lli.has_indirect_call, 0
	.section	.AMDGPU.csdata,"",@progbits
; Kernel info:
; codeLenInByte = 1496
; TotalNumSgprs: 38
; NumVgprs: 62
; ScratchSize: 0
; MemoryBound: 0
; FloatMode: 240
; IeeeMode: 1
; LDSByteSize: 2048 bytes/workgroup (compile time only)
; SGPRBlocks: 0
; VGPRBlocks: 3
; NumSGPRsForWavesPerEU: 38
; NumVGPRsForWavesPerEU: 62
; NamedBarCnt: 0
; Occupancy: 16
; WaveLimiterHint : 1
; COMPUTE_PGM_RSRC2:SCRATCH_EN: 0
; COMPUTE_PGM_RSRC2:USER_SGPR: 2
; COMPUTE_PGM_RSRC2:TRAP_HANDLER: 0
; COMPUTE_PGM_RSRC2:TGID_X_EN: 1
; COMPUTE_PGM_RSRC2:TGID_Y_EN: 1
; COMPUTE_PGM_RSRC2:TGID_Z_EN: 1
; COMPUTE_PGM_RSRC2:TIDIG_COMP_CNT: 1
	.section	.text._ZN12_GLOBAL__N_127rocblas_gemm_batched_kernelIfLi16ELi16ELi32ELi32ELi8ELi32ELi8ELi8ELi32ELc67ELc78EKPKDF16_S3_KPDF16_EEvlllT_PT11_llS8_llS6_PT12_llPT13_lli,"axG",@progbits,_ZN12_GLOBAL__N_127rocblas_gemm_batched_kernelIfLi16ELi16ELi32ELi32ELi8ELi32ELi8ELi8ELi32ELc67ELc78EKPKDF16_S3_KPDF16_EEvlllT_PT11_llS8_llS6_PT12_llPT13_lli,comdat
	.globl	_ZN12_GLOBAL__N_127rocblas_gemm_batched_kernelIfLi16ELi16ELi32ELi32ELi8ELi32ELi8ELi8ELi32ELc67ELc78EKPKDF16_S3_KPDF16_EEvlllT_PT11_llS8_llS6_PT12_llPT13_lli ; -- Begin function _ZN12_GLOBAL__N_127rocblas_gemm_batched_kernelIfLi16ELi16ELi32ELi32ELi8ELi32ELi8ELi8ELi32ELc67ELc78EKPKDF16_S3_KPDF16_EEvlllT_PT11_llS8_llS6_PT12_llPT13_lli
	.p2align	8
	.type	_ZN12_GLOBAL__N_127rocblas_gemm_batched_kernelIfLi16ELi16ELi32ELi32ELi8ELi32ELi8ELi8ELi32ELc67ELc78EKPKDF16_S3_KPDF16_EEvlllT_PT11_llS8_llS6_PT12_llPT13_lli,@function
_ZN12_GLOBAL__N_127rocblas_gemm_batched_kernelIfLi16ELi16ELi32ELi32ELi8ELi32ELi8ELi8ELi32ELc67ELc78EKPKDF16_S3_KPDF16_EEvlllT_PT11_llS8_llS6_PT12_llPT13_lli: ; @_ZN12_GLOBAL__N_127rocblas_gemm_batched_kernelIfLi16ELi16ELi32ELi32ELi8ELi32ELi8ELi8ELi32ELc67ELc78EKPKDF16_S3_KPDF16_EEvlllT_PT11_llS8_llS6_PT12_llPT13_lli
; %bb.0:
	s_load_b32 s31, s[0:1], 0x88
	s_bfe_u32 s2, ttmp6, 0x40014
	s_lshr_b32 s3, ttmp7, 16
	s_add_co_i32 s2, s2, 1
	s_bfe_u32 s4, ttmp6, 0x40008
	s_mul_i32 s2, s3, s2
	s_getreg_b32 s12, hwreg(HW_REG_IB_STS2, 6, 4)
	s_add_co_i32 s4, s4, s2
	s_cmp_eq_u32 s12, 0
	s_cselect_b32 s2, s3, s4
	s_mov_b32 s3, 0
	s_wait_kmcnt 0x0
	s_cmp_ge_i32 s2, s31
	s_cbranch_scc1 .LBB99_10
; %bb.1:
	v_bfe_u32 v2, v0, 10, 10
	v_and_b32_e32 v6, 0x3ff, v0
	s_bfe_u32 s13, ttmp6, 0x4000c
	s_bfe_u32 s15, ttmp6, 0x40010
	s_clause 0x2
	s_load_b256 s[4:11], s[0:1], 0x20
	s_load_b128 s[20:23], s[0:1], 0x40
	s_load_b32 s33, s[0:1], 0x50
	s_add_co_i32 s13, s13, 1
	s_and_b32 s16, ttmp7, 0xffff
	s_add_co_i32 s15, s15, 1
	v_lshl_add_u32 v14, v2, 4, v6
	v_mov_b32_e32 v3, 0
	s_and_b32 s14, ttmp6, 15
	s_mul_i32 s13, ttmp9, s13
	s_mul_i32 s15, s16, s15
	s_bfe_u32 s17, ttmp6, 0x40004
	s_add_co_i32 s14, s14, s13
	s_add_co_i32 s17, s17, s15
	s_cmp_eq_u32 s12, 0
	v_dual_mov_b32 v9, v3 :: v_dual_lshrrev_b32 v8, 3, v14
	v_and_b32_e32 v15, 31, v14
	s_cselect_b32 s13, s16, s17
	s_cselect_b32 s12, ttmp9, s14
	s_lshl_b32 s28, s13, 5
	s_mov_b32 s29, s3
	s_ashr_i32 s13, s12, 31
	v_add_nc_u64_e32 v[4:5], s[28:29], v[8:9]
	s_load_b128 s[24:27], s[0:1], 0x78
	s_lshl_b64 s[34:35], s[12:13], 5
	s_load_b256 s[12:19], s[0:1], 0x58
	v_dual_mov_b32 v11, s35 :: v_dual_bitop2_b32 v10, s34, v15 bitop3:0x54
	v_dual_mov_b32 v7, v3 :: v_dual_bitop2_b32 v9, 7, v0 bitop3:0x40
	s_wait_kmcnt 0x0
	v_mul_u64_e32 v[12:13], s[20:21], v[4:5]
	v_add_nc_u64_e32 v[4:5], s[28:29], v[2:3]
	v_mul_u64_e32 v[10:11], s[6:7], v[10:11]
	s_load_b96 s[28:30], s[0:1], 0x10
	s_cmp_eq_f32 s33, 0
	v_dual_lshlrev_b32 v16, 2, v9 :: v_dual_lshlrev_b32 v24, 2, v6
	v_lshl_add_u32 v25, v2, 5, 0x400
	s_wait_xcnt 0x0
	s_cselect_b32 s1, -1, 0
	s_lshl_b64 s[6:7], s[22:23], 1
	v_dual_lshrrev_b32 v17, 5, v14 :: v_dual_lshlrev_b32 v2, 1, v9
	v_lshlrev_b32_e32 v18, 2, v15
	v_mul_u64_e32 v[0:1], s[24:25], v[4:5]
	v_add_nc_u64_e32 v[14:15], s[34:35], v[6:7]
	v_mul_u64_e32 v[4:5], s[14:15], v[4:5]
	v_lshl_or_b32 v16, v8, 5, v16
	s_lshl_b64 s[16:17], s[16:17], 1
	s_delay_alu instid0(VALU_DEP_1)
	v_add_nc_u32_e32 v27, 0x400, v16
	s_wait_kmcnt 0x0
	v_cmp_gt_i64_e64 s0, s[28:29], 0
	v_lshl_add_u64 v[12:13], v[12:13], 1, s[6:7]
	s_lshl_b64 s[6:7], s[8:9], 1
	s_lshl_b64 s[8:9], s[14:15], 4
	v_lshl_add_u64 v[8:9], v[10:11], 1, s[6:7]
	v_lshlrev_b64_e32 v[10:11], 1, v[14:15]
	v_add_nc_u64_e32 v[6:7], v[12:13], v[2:3]
	v_lshlrev_b32_e32 v2, 1, v17
	v_cndmask_b32_e64 v12, 0, 1, s0
	v_lshl_or_b32 v26, v17, 7, v18
	s_lshl_b64 s[6:7], s[24:25], 4
	s_lshl_b64 s[14:15], s[26:27], 1
	v_add_nc_u64_e32 v[8:9], v[8:9], v[2:3]
	v_cmp_ne_u32_e64 s0, 1, v12
	s_branch .LBB99_3
.LBB99_2:                               ;   in Loop: Header=BB99_3 Depth=1
	s_add_co_i32 s2, s2, 0x10000
	s_delay_alu instid0(SALU_CYCLE_1)
	s_cmp_lt_i32 s2, s31
	s_cbranch_scc0 .LBB99_10
.LBB99_3:                               ; =>This Loop Header: Depth=1
                                        ;     Child Loop BB99_5 Depth 2
	s_wait_xcnt 0x0
	v_dual_mov_b32 v2, s2 :: v_dual_mov_b32 v19, 0
	v_dual_mov_b32 v18, 0 :: v_dual_mov_b32 v15, 0
	v_mov_b32_e32 v14, 0
	s_clause 0x1
	global_load_b64 v[12:13], v2, s[12:13] scale_offset
	global_load_b64 v[16:17], v2, s[18:19] scale_offset
	s_and_b32 vcc_lo, exec_lo, s0
	s_cbranch_vccnz .LBB99_6
; %bb.4:                                ;   in Loop: Header=BB99_3 Depth=1
	s_lshl_b64 s[20:21], s[2:3], 3
	v_mov_b32_e32 v14, 0
	s_add_nc_u64 s[22:23], s[10:11], s[20:21]
	s_add_nc_u64 s[20:21], s[4:5], s[20:21]
	s_clause 0x1
	global_load_b64 v[18:19], v3, s[22:23]
	global_load_b64 v[22:23], v3, s[20:21]
	s_wait_xcnt 0x0
	s_mov_b64 s[20:21], 0
	v_mov_b32_e32 v15, v14
	s_wait_loadcnt 0x1
	v_add_nc_u64_e32 v[20:21], v[18:19], v[6:7]
	s_wait_loadcnt 0x0
	v_add_nc_u64_e32 v[22:23], v[22:23], v[8:9]
	v_dual_mov_b32 v18, v14 :: v_dual_mov_b32 v19, v14
.LBB99_5:                               ;   Parent Loop BB99_3 Depth=1
                                        ; =>  This Inner Loop Header: Depth=2
	flat_load_u16 v2, v[22:23]
	flat_load_u16 v28, v[20:21]
	s_add_nc_u64 s[20:21], s[20:21], 8
	s_wait_xcnt 0x0
	v_add_nc_u64_e32 v[20:21], 16, v[20:21]
	v_cmp_lt_i64_e64 s22, s[20:21], s[28:29]
	v_add_nc_u64_e32 v[22:23], 16, v[22:23]
	s_and_b32 vcc_lo, exec_lo, s22
	s_wait_loadcnt_dscnt 0x101
	v_cvt_f32_f16_e32 v2, v2
	s_wait_loadcnt_dscnt 0x0
	v_cvt_f32_f16_e32 v28, v28
	ds_store_b32 v26, v2
	ds_store_b32 v27, v28
	s_wait_dscnt 0x0
	s_barrier_signal -1
	s_barrier_wait -1
	ds_load_2addr_b32 v[44:45], v24 offset1:16
	ds_load_2addr_b32 v[46:47], v24 offset0:32 offset1:48
	ds_load_b128 v[28:31], v25
	ds_load_2addr_b32 v[48:49], v24 offset0:64 offset1:80
	ds_load_b128 v[32:35], v25 offset:512
	ds_load_2addr_b32 v[50:51], v24 offset0:96 offset1:112
	ds_load_b128 v[36:39], v25 offset:16
	;; [unrolled: 2-line block ×3, first 2 shown]
	ds_load_2addr_b32 v[54:55], v24 offset0:160 offset1:176
	ds_load_2addr_b32 v[56:57], v24 offset0:192 offset1:208
	ds_load_2addr_b32 v[58:59], v24 offset0:224 offset1:240
	s_wait_dscnt 0x0
	s_barrier_signal -1
	s_barrier_wait -1
	v_dual_mov_b32 v60, v45 :: v_dual_mov_b32 v61, v44
	v_dual_mov_b32 v44, v47 :: v_dual_mov_b32 v45, v46
	;; [unrolled: 1-line block ×3, first 2 shown]
	s_delay_alu instid0(VALU_DEP_3) | instskip(SKIP_3) | instid1(VALU_DEP_4)
	v_pk_fma_f32 v[18:19], v[60:61], v[28:29], v[18:19] op_sel_hi:[1,0,1]
	v_pk_fma_f32 v[14:15], v[60:61], v[32:33], v[14:15] op_sel_hi:[1,0,1]
	v_dual_mov_b32 v48, v51 :: v_dual_mov_b32 v49, v50
	v_mov_b32_e32 v2, v31
	v_pk_fma_f32 v[18:19], v[44:45], v[28:29], v[18:19] op_sel:[0,1,0]
	s_delay_alu instid0(VALU_DEP_4) | instskip(SKIP_2) | instid1(VALU_DEP_4)
	v_pk_fma_f32 v[14:15], v[44:45], v[32:33], v[14:15] op_sel:[0,1,0]
	v_dual_mov_b32 v28, v35 :: v_dual_mov_b32 v32, v59
	v_mov_b32_e32 v33, v58
	v_pk_fma_f32 v[18:19], v[46:47], v[30:31], v[18:19] op_sel_hi:[1,0,1]
	s_delay_alu instid0(VALU_DEP_4) | instskip(SKIP_1) | instid1(VALU_DEP_3)
	v_pk_fma_f32 v[14:15], v[46:47], v[34:35], v[14:15] op_sel_hi:[1,0,1]
	v_dual_mov_b32 v30, v53 :: v_dual_mov_b32 v31, v52
	v_pk_fma_f32 v[18:19], v[48:49], v[2:3], v[18:19] op_sel_hi:[1,0,1]
	s_delay_alu instid0(VALU_DEP_3) | instskip(SKIP_2) | instid1(VALU_DEP_4)
	v_pk_fma_f32 v[14:15], v[48:49], v[28:29], v[14:15] op_sel_hi:[1,0,1]
	v_dual_mov_b32 v28, v55 :: v_dual_mov_b32 v29, v54
	v_mov_b32_e32 v2, v39
	v_pk_fma_f32 v[18:19], v[30:31], v[36:37], v[18:19] op_sel_hi:[1,0,1]
	s_delay_alu instid0(VALU_DEP_4) | instskip(SKIP_1) | instid1(VALU_DEP_3)
	v_pk_fma_f32 v[14:15], v[30:31], v[40:41], v[14:15] op_sel_hi:[1,0,1]
	v_dual_mov_b32 v30, v57 :: v_dual_mov_b32 v31, v56
	v_pk_fma_f32 v[18:19], v[28:29], v[36:37], v[18:19] op_sel:[0,1,0]
	s_delay_alu instid0(VALU_DEP_3) | instskip(SKIP_1) | instid1(VALU_DEP_3)
	v_pk_fma_f32 v[14:15], v[28:29], v[40:41], v[14:15] op_sel:[0,1,0]
	v_mov_b32_e32 v28, v43
	v_pk_fma_f32 v[18:19], v[30:31], v[38:39], v[18:19] op_sel_hi:[1,0,1]
	s_delay_alu instid0(VALU_DEP_3) | instskip(NEXT) | instid1(VALU_DEP_2)
	v_pk_fma_f32 v[14:15], v[30:31], v[42:43], v[14:15] op_sel_hi:[1,0,1]
	v_pk_fma_f32 v[18:19], v[32:33], v[2:3], v[18:19] op_sel_hi:[1,0,1]
	s_delay_alu instid0(VALU_DEP_2)
	v_pk_fma_f32 v[14:15], v[32:33], v[28:29], v[14:15] op_sel_hi:[1,0,1]
	s_cbranch_vccnz .LBB99_5
.LBB99_6:                               ;   in Loop: Header=BB99_3 Depth=1
	s_wait_loadcnt 0x0
	v_add_nc_u64_e32 v[16:17], s[14:15], v[16:17]
	s_and_not1_b32 vcc_lo, exec_lo, s1
	s_delay_alu instid0(VALU_DEP_1) | instskip(NEXT) | instid1(VALU_DEP_1)
	v_lshl_add_u64 v[16:17], v[0:1], 1, v[16:17]
	v_add_nc_u64_e32 v[20:21], v[16:17], v[10:11]
	v_lshl_add_u64 v[16:17], s[6:7], 1, v[16:17]
	s_cbranch_vccnz .LBB99_8
; %bb.7:                                ;   in Loop: Header=BB99_3 Depth=1
	s_delay_alu instid0(VALU_DEP_1)
	v_add_nc_u64_e32 v[22:23], v[16:17], v[10:11]
	s_wait_xcnt 0x0
	v_fma_mixlo_f16 v2, s30, v19, 0
	v_fma_mixlo_f16 v29, s30, v15, 0
	;; [unrolled: 1-line block ×4, first 2 shown]
	s_clause 0x3
	flat_store_b16 v[20:21], v2
	flat_store_b16 v[20:21], v28 offset:32
	flat_store_b16 v[22:23], v29
	flat_store_b16 v[22:23], v30 offset:32
	s_cbranch_execnz .LBB99_2
	s_branch .LBB99_9
.LBB99_8:                               ;   in Loop: Header=BB99_3 Depth=1
.LBB99_9:                               ;   in Loop: Header=BB99_3 Depth=1
	v_add_nc_u64_e32 v[12:13], s[16:17], v[12:13]
	s_delay_alu instid0(VALU_DEP_2) | instskip(NEXT) | instid1(VALU_DEP_2)
	v_add_nc_u64_e32 v[16:17], v[16:17], v[10:11]
	v_lshl_add_u64 v[12:13], v[4:5], 1, v[12:13]
	s_wait_xcnt 0x0
	s_delay_alu instid0(VALU_DEP_1) | instskip(SKIP_1) | instid1(VALU_DEP_1)
	v_add_nc_u64_e32 v[22:23], v[12:13], v[10:11]
	v_lshl_add_u64 v[12:13], s[8:9], 1, v[12:13]
	v_add_nc_u64_e32 v[12:13], v[12:13], v[10:11]
	flat_load_u16 v2, v[22:23]
	s_wait_loadcnt_dscnt 0x0
	v_cvt_f32_f16_e32 v2, v2
	s_delay_alu instid0(VALU_DEP_1) | instskip(NEXT) | instid1(VALU_DEP_1)
	v_mul_f32_e32 v2, s33, v2
	v_fma_mixlo_f16 v2, s30, v19, v2
	flat_store_b16 v[20:21], v2
	flat_load_u16 v2, v[22:23] offset:32
	s_wait_loadcnt_dscnt 0x0
	v_cvt_f32_f16_e32 v2, v2
	s_delay_alu instid0(VALU_DEP_1) | instskip(NEXT) | instid1(VALU_DEP_1)
	v_mul_f32_e32 v2, s33, v2
	v_fma_mixlo_f16 v2, s30, v18, v2
	flat_store_b16 v[20:21], v2 offset:32
	flat_load_u16 v2, v[12:13]
	s_wait_loadcnt_dscnt 0x0
	v_cvt_f32_f16_e32 v2, v2
	s_delay_alu instid0(VALU_DEP_1) | instskip(NEXT) | instid1(VALU_DEP_1)
	v_mul_f32_e32 v2, s33, v2
	v_fma_mixlo_f16 v2, s30, v15, v2
	flat_store_b16 v[16:17], v2
	flat_load_u16 v2, v[12:13] offset:32
	s_wait_loadcnt_dscnt 0x0
	v_cvt_f32_f16_e32 v2, v2
	s_delay_alu instid0(VALU_DEP_1) | instskip(NEXT) | instid1(VALU_DEP_1)
	v_mul_f32_e32 v2, s33, v2
	v_fma_mixlo_f16 v2, s30, v14, v2
	flat_store_b16 v[16:17], v2 offset:32
	s_branch .LBB99_2
.LBB99_10:
	s_endpgm
	.section	.rodata,"a",@progbits
	.p2align	6, 0x0
	.amdhsa_kernel _ZN12_GLOBAL__N_127rocblas_gemm_batched_kernelIfLi16ELi16ELi32ELi32ELi8ELi32ELi8ELi8ELi32ELc67ELc78EKPKDF16_S3_KPDF16_EEvlllT_PT11_llS8_llS6_PT12_llPT13_lli
		.amdhsa_group_segment_fixed_size 2048
		.amdhsa_private_segment_fixed_size 0
		.amdhsa_kernarg_size 140
		.amdhsa_user_sgpr_count 2
		.amdhsa_user_sgpr_dispatch_ptr 0
		.amdhsa_user_sgpr_queue_ptr 0
		.amdhsa_user_sgpr_kernarg_segment_ptr 1
		.amdhsa_user_sgpr_dispatch_id 0
		.amdhsa_user_sgpr_kernarg_preload_length 0
		.amdhsa_user_sgpr_kernarg_preload_offset 0
		.amdhsa_user_sgpr_private_segment_size 0
		.amdhsa_wavefront_size32 1
		.amdhsa_uses_dynamic_stack 0
		.amdhsa_enable_private_segment 0
		.amdhsa_system_sgpr_workgroup_id_x 1
		.amdhsa_system_sgpr_workgroup_id_y 1
		.amdhsa_system_sgpr_workgroup_id_z 1
		.amdhsa_system_sgpr_workgroup_info 0
		.amdhsa_system_vgpr_workitem_id 1
		.amdhsa_next_free_vgpr 62
		.amdhsa_next_free_sgpr 36
		.amdhsa_named_barrier_count 0
		.amdhsa_reserve_vcc 1
		.amdhsa_float_round_mode_32 0
		.amdhsa_float_round_mode_16_64 0
		.amdhsa_float_denorm_mode_32 3
		.amdhsa_float_denorm_mode_16_64 3
		.amdhsa_fp16_overflow 0
		.amdhsa_memory_ordered 1
		.amdhsa_forward_progress 1
		.amdhsa_inst_pref_size 12
		.amdhsa_round_robin_scheduling 0
		.amdhsa_exception_fp_ieee_invalid_op 0
		.amdhsa_exception_fp_denorm_src 0
		.amdhsa_exception_fp_ieee_div_zero 0
		.amdhsa_exception_fp_ieee_overflow 0
		.amdhsa_exception_fp_ieee_underflow 0
		.amdhsa_exception_fp_ieee_inexact 0
		.amdhsa_exception_int_div_zero 0
	.end_amdhsa_kernel
	.section	.text._ZN12_GLOBAL__N_127rocblas_gemm_batched_kernelIfLi16ELi16ELi32ELi32ELi8ELi32ELi8ELi8ELi32ELc67ELc78EKPKDF16_S3_KPDF16_EEvlllT_PT11_llS8_llS6_PT12_llPT13_lli,"axG",@progbits,_ZN12_GLOBAL__N_127rocblas_gemm_batched_kernelIfLi16ELi16ELi32ELi32ELi8ELi32ELi8ELi8ELi32ELc67ELc78EKPKDF16_S3_KPDF16_EEvlllT_PT11_llS8_llS6_PT12_llPT13_lli,comdat
.Lfunc_end99:
	.size	_ZN12_GLOBAL__N_127rocblas_gemm_batched_kernelIfLi16ELi16ELi32ELi32ELi8ELi32ELi8ELi8ELi32ELc67ELc78EKPKDF16_S3_KPDF16_EEvlllT_PT11_llS8_llS6_PT12_llPT13_lli, .Lfunc_end99-_ZN12_GLOBAL__N_127rocblas_gemm_batched_kernelIfLi16ELi16ELi32ELi32ELi8ELi32ELi8ELi8ELi32ELc67ELc78EKPKDF16_S3_KPDF16_EEvlllT_PT11_llS8_llS6_PT12_llPT13_lli
                                        ; -- End function
	.set _ZN12_GLOBAL__N_127rocblas_gemm_batched_kernelIfLi16ELi16ELi32ELi32ELi8ELi32ELi8ELi8ELi32ELc67ELc78EKPKDF16_S3_KPDF16_EEvlllT_PT11_llS8_llS6_PT12_llPT13_lli.num_vgpr, 62
	.set _ZN12_GLOBAL__N_127rocblas_gemm_batched_kernelIfLi16ELi16ELi32ELi32ELi8ELi32ELi8ELi8ELi32ELc67ELc78EKPKDF16_S3_KPDF16_EEvlllT_PT11_llS8_llS6_PT12_llPT13_lli.num_agpr, 0
	.set _ZN12_GLOBAL__N_127rocblas_gemm_batched_kernelIfLi16ELi16ELi32ELi32ELi8ELi32ELi8ELi8ELi32ELc67ELc78EKPKDF16_S3_KPDF16_EEvlllT_PT11_llS8_llS6_PT12_llPT13_lli.numbered_sgpr, 36
	.set _ZN12_GLOBAL__N_127rocblas_gemm_batched_kernelIfLi16ELi16ELi32ELi32ELi8ELi32ELi8ELi8ELi32ELc67ELc78EKPKDF16_S3_KPDF16_EEvlllT_PT11_llS8_llS6_PT12_llPT13_lli.num_named_barrier, 0
	.set _ZN12_GLOBAL__N_127rocblas_gemm_batched_kernelIfLi16ELi16ELi32ELi32ELi8ELi32ELi8ELi8ELi32ELc67ELc78EKPKDF16_S3_KPDF16_EEvlllT_PT11_llS8_llS6_PT12_llPT13_lli.private_seg_size, 0
	.set _ZN12_GLOBAL__N_127rocblas_gemm_batched_kernelIfLi16ELi16ELi32ELi32ELi8ELi32ELi8ELi8ELi32ELc67ELc78EKPKDF16_S3_KPDF16_EEvlllT_PT11_llS8_llS6_PT12_llPT13_lli.uses_vcc, 1
	.set _ZN12_GLOBAL__N_127rocblas_gemm_batched_kernelIfLi16ELi16ELi32ELi32ELi8ELi32ELi8ELi8ELi32ELc67ELc78EKPKDF16_S3_KPDF16_EEvlllT_PT11_llS8_llS6_PT12_llPT13_lli.uses_flat_scratch, 1
	.set _ZN12_GLOBAL__N_127rocblas_gemm_batched_kernelIfLi16ELi16ELi32ELi32ELi8ELi32ELi8ELi8ELi32ELc67ELc78EKPKDF16_S3_KPDF16_EEvlllT_PT11_llS8_llS6_PT12_llPT13_lli.has_dyn_sized_stack, 0
	.set _ZN12_GLOBAL__N_127rocblas_gemm_batched_kernelIfLi16ELi16ELi32ELi32ELi8ELi32ELi8ELi8ELi32ELc67ELc78EKPKDF16_S3_KPDF16_EEvlllT_PT11_llS8_llS6_PT12_llPT13_lli.has_recursion, 0
	.set _ZN12_GLOBAL__N_127rocblas_gemm_batched_kernelIfLi16ELi16ELi32ELi32ELi8ELi32ELi8ELi8ELi32ELc67ELc78EKPKDF16_S3_KPDF16_EEvlllT_PT11_llS8_llS6_PT12_llPT13_lli.has_indirect_call, 0
	.section	.AMDGPU.csdata,"",@progbits
; Kernel info:
; codeLenInByte = 1472
; TotalNumSgprs: 38
; NumVgprs: 62
; ScratchSize: 0
; MemoryBound: 0
; FloatMode: 240
; IeeeMode: 1
; LDSByteSize: 2048 bytes/workgroup (compile time only)
; SGPRBlocks: 0
; VGPRBlocks: 3
; NumSGPRsForWavesPerEU: 38
; NumVGPRsForWavesPerEU: 62
; NamedBarCnt: 0
; Occupancy: 16
; WaveLimiterHint : 1
; COMPUTE_PGM_RSRC2:SCRATCH_EN: 0
; COMPUTE_PGM_RSRC2:USER_SGPR: 2
; COMPUTE_PGM_RSRC2:TRAP_HANDLER: 0
; COMPUTE_PGM_RSRC2:TGID_X_EN: 1
; COMPUTE_PGM_RSRC2:TGID_Y_EN: 1
; COMPUTE_PGM_RSRC2:TGID_Z_EN: 1
; COMPUTE_PGM_RSRC2:TIDIG_COMP_CNT: 1
	.section	.text._ZN12_GLOBAL__N_127rocblas_gemm_batched_kernelIfLi16ELi16ELi32ELi32ELi8ELi32ELi8ELi8ELi32ELc67ELc84EKPKDF16_S3_KPDF16_EEvlllT_PT11_llS8_llS6_PT12_llPT13_lli,"axG",@progbits,_ZN12_GLOBAL__N_127rocblas_gemm_batched_kernelIfLi16ELi16ELi32ELi32ELi8ELi32ELi8ELi8ELi32ELc67ELc84EKPKDF16_S3_KPDF16_EEvlllT_PT11_llS8_llS6_PT12_llPT13_lli,comdat
	.globl	_ZN12_GLOBAL__N_127rocblas_gemm_batched_kernelIfLi16ELi16ELi32ELi32ELi8ELi32ELi8ELi8ELi32ELc67ELc84EKPKDF16_S3_KPDF16_EEvlllT_PT11_llS8_llS6_PT12_llPT13_lli ; -- Begin function _ZN12_GLOBAL__N_127rocblas_gemm_batched_kernelIfLi16ELi16ELi32ELi32ELi8ELi32ELi8ELi8ELi32ELc67ELc84EKPKDF16_S3_KPDF16_EEvlllT_PT11_llS8_llS6_PT12_llPT13_lli
	.p2align	8
	.type	_ZN12_GLOBAL__N_127rocblas_gemm_batched_kernelIfLi16ELi16ELi32ELi32ELi8ELi32ELi8ELi8ELi32ELc67ELc84EKPKDF16_S3_KPDF16_EEvlllT_PT11_llS8_llS6_PT12_llPT13_lli,@function
_ZN12_GLOBAL__N_127rocblas_gemm_batched_kernelIfLi16ELi16ELi32ELi32ELi8ELi32ELi8ELi8ELi32ELc67ELc84EKPKDF16_S3_KPDF16_EEvlllT_PT11_llS8_llS6_PT12_llPT13_lli: ; @_ZN12_GLOBAL__N_127rocblas_gemm_batched_kernelIfLi16ELi16ELi32ELi32ELi8ELi32ELi8ELi8ELi32ELc67ELc84EKPKDF16_S3_KPDF16_EEvlllT_PT11_llS8_llS6_PT12_llPT13_lli
; %bb.0:
	s_load_b32 s31, s[0:1], 0x88
	s_bfe_u32 s2, ttmp6, 0x40014
	s_lshr_b32 s3, ttmp7, 16
	s_add_co_i32 s2, s2, 1
	s_bfe_u32 s4, ttmp6, 0x40008
	s_mul_i32 s2, s3, s2
	s_getreg_b32 s28, hwreg(HW_REG_IB_STS2, 6, 4)
	s_add_co_i32 s4, s4, s2
	s_cmp_eq_u32 s28, 0
	s_cselect_b32 s2, s3, s4
	s_mov_b32 s3, 0
	s_wait_kmcnt 0x0
	s_cmp_ge_i32 s2, s31
	s_cbranch_scc1 .LBB100_10
; %bb.1:
	v_bfe_u32 v2, v0, 10, 10
	v_and_b32_e32 v6, 0x3ff, v0
	s_bfe_u32 s29, ttmp6, 0x4000c
	s_bfe_u32 s33, ttmp6, 0x40010
	s_add_co_i32 s29, s29, 1
	s_and_b32 s34, ttmp7, 0xffff
	s_add_co_i32 s33, s33, 1
	s_clause 0x3
	s_load_b256 s[4:11], s[0:1], 0x20
	s_load_b128 s[24:27], s[0:1], 0x40
	s_load_b128 s[20:23], s[0:1], 0x78
	s_load_b256 s[12:19], s[0:1], 0x58
	s_and_b32 s30, ttmp6, 15
	s_mul_i32 s29, ttmp9, s29
	s_mul_i32 s33, s34, s33
	s_bfe_u32 s35, ttmp6, 0x40004
	v_lshl_add_u32 v7, v2, 4, v6
	s_add_co_i32 s30, s30, s29
	s_add_co_i32 s35, s35, s33
	s_cmp_eq_u32 s28, 0
	s_delay_alu instid0(VALU_DEP_1)
	v_dual_mov_b32 v3, 0 :: v_dual_bitop2_b32 v14, 31, v7 bitop3:0x40
	s_cselect_b32 s28, ttmp9, s30
	s_cselect_b32 s30, s34, s35
	s_ashr_i32 s29, s28, 31
	v_lshrrev_b32_e32 v8, 3, v7
	s_lshl_b64 s[34:35], s[28:29], 5
	s_delay_alu instid0(SALU_CYCLE_1)
	v_dual_mov_b32 v1, s35 :: v_dual_bitop2_b32 v15, 7, v0 bitop3:0x40
	v_dual_mov_b32 v9, v3 :: v_dual_bitop2_b32 v0, s34, v14 bitop3:0x54
	v_lshrrev_b32_e32 v16, 5, v7
	s_load_b32 s33, s[0:1], 0x50
	v_lshlrev_b32_e32 v14, 2, v14
	s_wait_kmcnt 0x0
	v_mul_u64_e32 v[10:11], s[6:7], v[0:1]
	s_lshl_b32 s6, s30, 5
	v_mad_nc_u64_u32 v[12:13], s24, v15, v[8:9]
	s_mov_b32 s7, s3
	s_load_b96 s[28:30], s[0:1], 0x10
	v_add_nc_u64_e32 v[4:5], s[6:7], v[2:3]
	v_dual_lshlrev_b32 v9, 2, v15 :: v_dual_mov_b32 v7, v3
	v_lshlrev_b32_e32 v26, 2, v6
	v_lshl_or_b32 v24, v16, 7, v14
	v_lshl_add_u32 v27, v2, 5, 0x400
	v_lshlrev_b32_e32 v2, 1, v16
	v_mul_u64_e32 v[0:1], s[20:21], v[4:5]
	v_mul_u64_e32 v[4:5], s[14:15], v[4:5]
	v_mad_u32 v13, s25, v15, v13
	v_lshl_or_b32 v15, v8, 5, v9
	s_cmp_eq_f32 s33, 0
	s_delay_alu instid0(VALU_DEP_1)
	v_add_nc_u32_e32 v25, 0x400, v15
	s_wait_xcnt 0x0
	s_cselect_b32 s1, -1, 0
	s_lshl_b64 s[16:17], s[16:17], 1
	s_wait_kmcnt 0x0
	v_cmp_gt_i64_e64 s0, s[28:29], 0
	s_delay_alu instid0(VALU_DEP_4)
	v_add_nc_u64_e32 v[8:9], s[6:7], v[12:13]
	v_add_nc_u64_e32 v[12:13], s[34:35], v[6:7]
	s_lshl_b64 s[6:7], s[8:9], 1
	s_lshl_b64 s[8:9], s[14:15], 4
	;; [unrolled: 1-line block ×3, first 2 shown]
	v_cndmask_b32_e64 v16, 0, 1, s0
	s_delay_alu instid0(VALU_DEP_3)
	v_lshlrev_b64_e32 v[14:15], 1, v[8:9]
	v_lshl_add_u64 v[6:7], v[10:11], 1, s[6:7]
	v_lshlrev_b64_e32 v[8:9], 1, v[12:13]
	s_lshl_b64 s[6:7], s[20:21], 4
	v_cmp_ne_u32_e64 s0, 1, v16
	s_lshl_b64 s[20:21], s[22:23], 1
	v_add_nc_u64_e32 v[6:7], v[6:7], v[2:3]
	v_lshl_add_u64 v[10:11], s[26:27], 1, v[14:15]
	s_branch .LBB100_3
.LBB100_2:                              ;   in Loop: Header=BB100_3 Depth=1
	s_add_co_i32 s2, s2, 0x10000
	s_delay_alu instid0(SALU_CYCLE_1)
	s_cmp_lt_i32 s2, s31
	s_cbranch_scc0 .LBB100_10
.LBB100_3:                              ; =>This Loop Header: Depth=1
                                        ;     Child Loop BB100_5 Depth 2
	s_wait_xcnt 0x0
	v_dual_mov_b32 v2, s2 :: v_dual_mov_b32 v19, 0
	v_dual_mov_b32 v18, 0 :: v_dual_mov_b32 v15, 0
	v_mov_b32_e32 v14, 0
	s_clause 0x1
	global_load_b64 v[12:13], v2, s[12:13] scale_offset
	global_load_b64 v[16:17], v2, s[18:19] scale_offset
	s_and_b32 vcc_lo, exec_lo, s0
	s_cbranch_vccnz .LBB100_6
; %bb.4:                                ;   in Loop: Header=BB100_3 Depth=1
	s_lshl_b64 s[22:23], s[2:3], 3
	v_mov_b32_e32 v14, 0
	s_add_nc_u64 s[24:25], s[10:11], s[22:23]
	s_add_nc_u64 s[22:23], s[4:5], s[22:23]
	s_clause 0x1
	global_load_b64 v[18:19], v3, s[24:25]
	global_load_b64 v[22:23], v3, s[22:23]
	s_wait_xcnt 0x0
	s_mov_b64 s[22:23], 0
	v_mov_b32_e32 v15, v14
	s_wait_loadcnt 0x1
	v_add_nc_u64_e32 v[20:21], v[18:19], v[10:11]
	s_wait_loadcnt 0x0
	v_add_nc_u64_e32 v[22:23], v[22:23], v[6:7]
	v_dual_mov_b32 v18, v14 :: v_dual_mov_b32 v19, v14
.LBB100_5:                              ;   Parent Loop BB100_3 Depth=1
                                        ; =>  This Inner Loop Header: Depth=2
	flat_load_u16 v2, v[22:23]
	flat_load_u16 v28, v[20:21]
	s_add_nc_u64 s[22:23], s[22:23], 8
	s_wait_xcnt 0x0
	v_add_nc_u64_e32 v[20:21], s[14:15], v[20:21]
	v_cmp_lt_i64_e64 s24, s[22:23], s[28:29]
	v_add_nc_u64_e32 v[22:23], 16, v[22:23]
	s_and_b32 vcc_lo, exec_lo, s24
	s_wait_loadcnt_dscnt 0x101
	v_cvt_f32_f16_e32 v2, v2
	s_wait_loadcnt_dscnt 0x0
	v_cvt_f32_f16_e32 v28, v28
	ds_store_b32 v24, v2
	ds_store_b32 v25, v28
	s_wait_dscnt 0x0
	s_barrier_signal -1
	s_barrier_wait -1
	ds_load_2addr_b32 v[44:45], v26 offset1:16
	ds_load_2addr_b32 v[46:47], v26 offset0:32 offset1:48
	ds_load_b128 v[28:31], v27
	ds_load_2addr_b32 v[48:49], v26 offset0:64 offset1:80
	ds_load_b128 v[32:35], v27 offset:512
	ds_load_2addr_b32 v[50:51], v26 offset0:96 offset1:112
	ds_load_b128 v[36:39], v27 offset:16
	ds_load_2addr_b32 v[52:53], v26 offset0:128 offset1:144
	ds_load_b128 v[40:43], v27 offset:528
	ds_load_2addr_b32 v[54:55], v26 offset0:160 offset1:176
	ds_load_2addr_b32 v[56:57], v26 offset0:192 offset1:208
	;; [unrolled: 1-line block ×3, first 2 shown]
	s_wait_dscnt 0x0
	s_barrier_signal -1
	s_barrier_wait -1
	v_dual_mov_b32 v60, v45 :: v_dual_mov_b32 v61, v44
	v_dual_mov_b32 v44, v47 :: v_dual_mov_b32 v45, v46
	;; [unrolled: 1-line block ×3, first 2 shown]
	s_delay_alu instid0(VALU_DEP_3) | instskip(SKIP_3) | instid1(VALU_DEP_4)
	v_pk_fma_f32 v[18:19], v[60:61], v[28:29], v[18:19] op_sel_hi:[1,0,1]
	v_pk_fma_f32 v[14:15], v[60:61], v[32:33], v[14:15] op_sel_hi:[1,0,1]
	v_dual_mov_b32 v48, v51 :: v_dual_mov_b32 v49, v50
	v_mov_b32_e32 v2, v31
	v_pk_fma_f32 v[18:19], v[44:45], v[28:29], v[18:19] op_sel:[0,1,0]
	s_delay_alu instid0(VALU_DEP_4) | instskip(SKIP_2) | instid1(VALU_DEP_4)
	v_pk_fma_f32 v[14:15], v[44:45], v[32:33], v[14:15] op_sel:[0,1,0]
	v_dual_mov_b32 v28, v35 :: v_dual_mov_b32 v32, v59
	v_mov_b32_e32 v33, v58
	v_pk_fma_f32 v[18:19], v[46:47], v[30:31], v[18:19] op_sel_hi:[1,0,1]
	s_delay_alu instid0(VALU_DEP_4) | instskip(SKIP_1) | instid1(VALU_DEP_3)
	v_pk_fma_f32 v[14:15], v[46:47], v[34:35], v[14:15] op_sel_hi:[1,0,1]
	v_dual_mov_b32 v30, v53 :: v_dual_mov_b32 v31, v52
	v_pk_fma_f32 v[18:19], v[48:49], v[2:3], v[18:19] op_sel_hi:[1,0,1]
	s_delay_alu instid0(VALU_DEP_3) | instskip(SKIP_2) | instid1(VALU_DEP_4)
	v_pk_fma_f32 v[14:15], v[48:49], v[28:29], v[14:15] op_sel_hi:[1,0,1]
	v_dual_mov_b32 v28, v55 :: v_dual_mov_b32 v29, v54
	v_mov_b32_e32 v2, v39
	v_pk_fma_f32 v[18:19], v[30:31], v[36:37], v[18:19] op_sel_hi:[1,0,1]
	s_delay_alu instid0(VALU_DEP_4) | instskip(SKIP_1) | instid1(VALU_DEP_3)
	v_pk_fma_f32 v[14:15], v[30:31], v[40:41], v[14:15] op_sel_hi:[1,0,1]
	v_dual_mov_b32 v30, v57 :: v_dual_mov_b32 v31, v56
	v_pk_fma_f32 v[18:19], v[28:29], v[36:37], v[18:19] op_sel:[0,1,0]
	s_delay_alu instid0(VALU_DEP_3) | instskip(SKIP_1) | instid1(VALU_DEP_3)
	v_pk_fma_f32 v[14:15], v[28:29], v[40:41], v[14:15] op_sel:[0,1,0]
	v_mov_b32_e32 v28, v43
	v_pk_fma_f32 v[18:19], v[30:31], v[38:39], v[18:19] op_sel_hi:[1,0,1]
	s_delay_alu instid0(VALU_DEP_3) | instskip(NEXT) | instid1(VALU_DEP_2)
	v_pk_fma_f32 v[14:15], v[30:31], v[42:43], v[14:15] op_sel_hi:[1,0,1]
	v_pk_fma_f32 v[18:19], v[32:33], v[2:3], v[18:19] op_sel_hi:[1,0,1]
	s_delay_alu instid0(VALU_DEP_2)
	v_pk_fma_f32 v[14:15], v[32:33], v[28:29], v[14:15] op_sel_hi:[1,0,1]
	s_cbranch_vccnz .LBB100_5
.LBB100_6:                              ;   in Loop: Header=BB100_3 Depth=1
	s_wait_loadcnt 0x0
	v_add_nc_u64_e32 v[16:17], s[20:21], v[16:17]
	s_and_not1_b32 vcc_lo, exec_lo, s1
	s_delay_alu instid0(VALU_DEP_1) | instskip(NEXT) | instid1(VALU_DEP_1)
	v_lshl_add_u64 v[16:17], v[0:1], 1, v[16:17]
	v_add_nc_u64_e32 v[20:21], v[16:17], v[8:9]
	v_lshl_add_u64 v[16:17], s[6:7], 1, v[16:17]
	s_cbranch_vccnz .LBB100_8
; %bb.7:                                ;   in Loop: Header=BB100_3 Depth=1
	s_delay_alu instid0(VALU_DEP_1)
	v_add_nc_u64_e32 v[22:23], v[16:17], v[8:9]
	s_wait_xcnt 0x0
	v_fma_mixlo_f16 v2, s30, v19, 0
	v_fma_mixlo_f16 v29, s30, v15, 0
	;; [unrolled: 1-line block ×4, first 2 shown]
	s_clause 0x3
	flat_store_b16 v[20:21], v2
	flat_store_b16 v[20:21], v28 offset:32
	flat_store_b16 v[22:23], v29
	flat_store_b16 v[22:23], v30 offset:32
	s_cbranch_execnz .LBB100_2
	s_branch .LBB100_9
.LBB100_8:                              ;   in Loop: Header=BB100_3 Depth=1
.LBB100_9:                              ;   in Loop: Header=BB100_3 Depth=1
	v_add_nc_u64_e32 v[12:13], s[16:17], v[12:13]
	s_delay_alu instid0(VALU_DEP_2) | instskip(NEXT) | instid1(VALU_DEP_2)
	v_add_nc_u64_e32 v[16:17], v[16:17], v[8:9]
	v_lshl_add_u64 v[12:13], v[4:5], 1, v[12:13]
	s_wait_xcnt 0x0
	s_delay_alu instid0(VALU_DEP_1) | instskip(SKIP_1) | instid1(VALU_DEP_1)
	v_add_nc_u64_e32 v[22:23], v[12:13], v[8:9]
	v_lshl_add_u64 v[12:13], s[8:9], 1, v[12:13]
	v_add_nc_u64_e32 v[12:13], v[12:13], v[8:9]
	flat_load_u16 v2, v[22:23]
	s_wait_loadcnt_dscnt 0x0
	v_cvt_f32_f16_e32 v2, v2
	s_delay_alu instid0(VALU_DEP_1) | instskip(NEXT) | instid1(VALU_DEP_1)
	v_mul_f32_e32 v2, s33, v2
	v_fma_mixlo_f16 v2, s30, v19, v2
	flat_store_b16 v[20:21], v2
	flat_load_u16 v2, v[22:23] offset:32
	s_wait_loadcnt_dscnt 0x0
	v_cvt_f32_f16_e32 v2, v2
	s_delay_alu instid0(VALU_DEP_1) | instskip(NEXT) | instid1(VALU_DEP_1)
	v_mul_f32_e32 v2, s33, v2
	v_fma_mixlo_f16 v2, s30, v18, v2
	flat_store_b16 v[20:21], v2 offset:32
	flat_load_u16 v2, v[12:13]
	s_wait_loadcnt_dscnt 0x0
	v_cvt_f32_f16_e32 v2, v2
	s_delay_alu instid0(VALU_DEP_1) | instskip(NEXT) | instid1(VALU_DEP_1)
	v_mul_f32_e32 v2, s33, v2
	v_fma_mixlo_f16 v2, s30, v15, v2
	flat_store_b16 v[16:17], v2
	flat_load_u16 v2, v[12:13] offset:32
	s_wait_loadcnt_dscnt 0x0
	v_cvt_f32_f16_e32 v2, v2
	s_delay_alu instid0(VALU_DEP_1) | instskip(NEXT) | instid1(VALU_DEP_1)
	v_mul_f32_e32 v2, s33, v2
	v_fma_mixlo_f16 v2, s30, v14, v2
	flat_store_b16 v[16:17], v2 offset:32
	s_branch .LBB100_2
.LBB100_10:
	s_endpgm
	.section	.rodata,"a",@progbits
	.p2align	6, 0x0
	.amdhsa_kernel _ZN12_GLOBAL__N_127rocblas_gemm_batched_kernelIfLi16ELi16ELi32ELi32ELi8ELi32ELi8ELi8ELi32ELc67ELc84EKPKDF16_S3_KPDF16_EEvlllT_PT11_llS8_llS6_PT12_llPT13_lli
		.amdhsa_group_segment_fixed_size 2048
		.amdhsa_private_segment_fixed_size 0
		.amdhsa_kernarg_size 140
		.amdhsa_user_sgpr_count 2
		.amdhsa_user_sgpr_dispatch_ptr 0
		.amdhsa_user_sgpr_queue_ptr 0
		.amdhsa_user_sgpr_kernarg_segment_ptr 1
		.amdhsa_user_sgpr_dispatch_id 0
		.amdhsa_user_sgpr_kernarg_preload_length 0
		.amdhsa_user_sgpr_kernarg_preload_offset 0
		.amdhsa_user_sgpr_private_segment_size 0
		.amdhsa_wavefront_size32 1
		.amdhsa_uses_dynamic_stack 0
		.amdhsa_enable_private_segment 0
		.amdhsa_system_sgpr_workgroup_id_x 1
		.amdhsa_system_sgpr_workgroup_id_y 1
		.amdhsa_system_sgpr_workgroup_id_z 1
		.amdhsa_system_sgpr_workgroup_info 0
		.amdhsa_system_vgpr_workitem_id 1
		.amdhsa_next_free_vgpr 62
		.amdhsa_next_free_sgpr 36
		.amdhsa_named_barrier_count 0
		.amdhsa_reserve_vcc 1
		.amdhsa_float_round_mode_32 0
		.amdhsa_float_round_mode_16_64 0
		.amdhsa_float_denorm_mode_32 3
		.amdhsa_float_denorm_mode_16_64 3
		.amdhsa_fp16_overflow 0
		.amdhsa_memory_ordered 1
		.amdhsa_forward_progress 1
		.amdhsa_inst_pref_size 12
		.amdhsa_round_robin_scheduling 0
		.amdhsa_exception_fp_ieee_invalid_op 0
		.amdhsa_exception_fp_denorm_src 0
		.amdhsa_exception_fp_ieee_div_zero 0
		.amdhsa_exception_fp_ieee_overflow 0
		.amdhsa_exception_fp_ieee_underflow 0
		.amdhsa_exception_fp_ieee_inexact 0
		.amdhsa_exception_int_div_zero 0
	.end_amdhsa_kernel
	.section	.text._ZN12_GLOBAL__N_127rocblas_gemm_batched_kernelIfLi16ELi16ELi32ELi32ELi8ELi32ELi8ELi8ELi32ELc67ELc84EKPKDF16_S3_KPDF16_EEvlllT_PT11_llS8_llS6_PT12_llPT13_lli,"axG",@progbits,_ZN12_GLOBAL__N_127rocblas_gemm_batched_kernelIfLi16ELi16ELi32ELi32ELi8ELi32ELi8ELi8ELi32ELc67ELc84EKPKDF16_S3_KPDF16_EEvlllT_PT11_llS8_llS6_PT12_llPT13_lli,comdat
.Lfunc_end100:
	.size	_ZN12_GLOBAL__N_127rocblas_gemm_batched_kernelIfLi16ELi16ELi32ELi32ELi8ELi32ELi8ELi8ELi32ELc67ELc84EKPKDF16_S3_KPDF16_EEvlllT_PT11_llS8_llS6_PT12_llPT13_lli, .Lfunc_end100-_ZN12_GLOBAL__N_127rocblas_gemm_batched_kernelIfLi16ELi16ELi32ELi32ELi8ELi32ELi8ELi8ELi32ELc67ELc84EKPKDF16_S3_KPDF16_EEvlllT_PT11_llS8_llS6_PT12_llPT13_lli
                                        ; -- End function
	.set _ZN12_GLOBAL__N_127rocblas_gemm_batched_kernelIfLi16ELi16ELi32ELi32ELi8ELi32ELi8ELi8ELi32ELc67ELc84EKPKDF16_S3_KPDF16_EEvlllT_PT11_llS8_llS6_PT12_llPT13_lli.num_vgpr, 62
	.set _ZN12_GLOBAL__N_127rocblas_gemm_batched_kernelIfLi16ELi16ELi32ELi32ELi8ELi32ELi8ELi8ELi32ELc67ELc84EKPKDF16_S3_KPDF16_EEvlllT_PT11_llS8_llS6_PT12_llPT13_lli.num_agpr, 0
	.set _ZN12_GLOBAL__N_127rocblas_gemm_batched_kernelIfLi16ELi16ELi32ELi32ELi8ELi32ELi8ELi8ELi32ELc67ELc84EKPKDF16_S3_KPDF16_EEvlllT_PT11_llS8_llS6_PT12_llPT13_lli.numbered_sgpr, 36
	.set _ZN12_GLOBAL__N_127rocblas_gemm_batched_kernelIfLi16ELi16ELi32ELi32ELi8ELi32ELi8ELi8ELi32ELc67ELc84EKPKDF16_S3_KPDF16_EEvlllT_PT11_llS8_llS6_PT12_llPT13_lli.num_named_barrier, 0
	.set _ZN12_GLOBAL__N_127rocblas_gemm_batched_kernelIfLi16ELi16ELi32ELi32ELi8ELi32ELi8ELi8ELi32ELc67ELc84EKPKDF16_S3_KPDF16_EEvlllT_PT11_llS8_llS6_PT12_llPT13_lli.private_seg_size, 0
	.set _ZN12_GLOBAL__N_127rocblas_gemm_batched_kernelIfLi16ELi16ELi32ELi32ELi8ELi32ELi8ELi8ELi32ELc67ELc84EKPKDF16_S3_KPDF16_EEvlllT_PT11_llS8_llS6_PT12_llPT13_lli.uses_vcc, 1
	.set _ZN12_GLOBAL__N_127rocblas_gemm_batched_kernelIfLi16ELi16ELi32ELi32ELi8ELi32ELi8ELi8ELi32ELc67ELc84EKPKDF16_S3_KPDF16_EEvlllT_PT11_llS8_llS6_PT12_llPT13_lli.uses_flat_scratch, 1
	.set _ZN12_GLOBAL__N_127rocblas_gemm_batched_kernelIfLi16ELi16ELi32ELi32ELi8ELi32ELi8ELi8ELi32ELc67ELc84EKPKDF16_S3_KPDF16_EEvlllT_PT11_llS8_llS6_PT12_llPT13_lli.has_dyn_sized_stack, 0
	.set _ZN12_GLOBAL__N_127rocblas_gemm_batched_kernelIfLi16ELi16ELi32ELi32ELi8ELi32ELi8ELi8ELi32ELc67ELc84EKPKDF16_S3_KPDF16_EEvlllT_PT11_llS8_llS6_PT12_llPT13_lli.has_recursion, 0
	.set _ZN12_GLOBAL__N_127rocblas_gemm_batched_kernelIfLi16ELi16ELi32ELi32ELi8ELi32ELi8ELi8ELi32ELc67ELc84EKPKDF16_S3_KPDF16_EEvlllT_PT11_llS8_llS6_PT12_llPT13_lli.has_indirect_call, 0
	.section	.AMDGPU.csdata,"",@progbits
; Kernel info:
; codeLenInByte = 1496
; TotalNumSgprs: 38
; NumVgprs: 62
; ScratchSize: 0
; MemoryBound: 0
; FloatMode: 240
; IeeeMode: 1
; LDSByteSize: 2048 bytes/workgroup (compile time only)
; SGPRBlocks: 0
; VGPRBlocks: 3
; NumSGPRsForWavesPerEU: 38
; NumVGPRsForWavesPerEU: 62
; NamedBarCnt: 0
; Occupancy: 16
; WaveLimiterHint : 1
; COMPUTE_PGM_RSRC2:SCRATCH_EN: 0
; COMPUTE_PGM_RSRC2:USER_SGPR: 2
; COMPUTE_PGM_RSRC2:TRAP_HANDLER: 0
; COMPUTE_PGM_RSRC2:TGID_X_EN: 1
; COMPUTE_PGM_RSRC2:TGID_Y_EN: 1
; COMPUTE_PGM_RSRC2:TGID_Z_EN: 1
; COMPUTE_PGM_RSRC2:TIDIG_COMP_CNT: 1
	.section	.text._ZN12_GLOBAL__N_127rocblas_gemm_batched_kernelIfLi16ELi16ELi32ELi32ELi8ELi32ELi8ELi8ELi32ELc78ELc67EKPKDF16_S3_KPDF16_EEvlllT_PT11_llS8_llS6_PT12_llPT13_lli,"axG",@progbits,_ZN12_GLOBAL__N_127rocblas_gemm_batched_kernelIfLi16ELi16ELi32ELi32ELi8ELi32ELi8ELi8ELi32ELc78ELc67EKPKDF16_S3_KPDF16_EEvlllT_PT11_llS8_llS6_PT12_llPT13_lli,comdat
	.globl	_ZN12_GLOBAL__N_127rocblas_gemm_batched_kernelIfLi16ELi16ELi32ELi32ELi8ELi32ELi8ELi8ELi32ELc78ELc67EKPKDF16_S3_KPDF16_EEvlllT_PT11_llS8_llS6_PT12_llPT13_lli ; -- Begin function _ZN12_GLOBAL__N_127rocblas_gemm_batched_kernelIfLi16ELi16ELi32ELi32ELi8ELi32ELi8ELi8ELi32ELc78ELc67EKPKDF16_S3_KPDF16_EEvlllT_PT11_llS8_llS6_PT12_llPT13_lli
	.p2align	8
	.type	_ZN12_GLOBAL__N_127rocblas_gemm_batched_kernelIfLi16ELi16ELi32ELi32ELi8ELi32ELi8ELi8ELi32ELc78ELc67EKPKDF16_S3_KPDF16_EEvlllT_PT11_llS8_llS6_PT12_llPT13_lli,@function
_ZN12_GLOBAL__N_127rocblas_gemm_batched_kernelIfLi16ELi16ELi32ELi32ELi8ELi32ELi8ELi8ELi32ELc78ELc67EKPKDF16_S3_KPDF16_EEvlllT_PT11_llS8_llS6_PT12_llPT13_lli: ; @_ZN12_GLOBAL__N_127rocblas_gemm_batched_kernelIfLi16ELi16ELi32ELi32ELi8ELi32ELi8ELi8ELi32ELc78ELc67EKPKDF16_S3_KPDF16_EEvlllT_PT11_llS8_llS6_PT12_llPT13_lli
; %bb.0:
	s_load_b32 s31, s[0:1], 0x88
	s_bfe_u32 s2, ttmp6, 0x40014
	s_lshr_b32 s3, ttmp7, 16
	s_add_co_i32 s2, s2, 1
	s_bfe_u32 s4, ttmp6, 0x40008
	s_mul_i32 s2, s3, s2
	s_getreg_b32 s28, hwreg(HW_REG_IB_STS2, 6, 4)
	s_add_co_i32 s4, s4, s2
	s_cmp_eq_u32 s28, 0
	s_cselect_b32 s2, s3, s4
	s_mov_b32 s3, 0
	s_wait_kmcnt 0x0
	s_cmp_ge_i32 s2, s31
	s_cbranch_scc1 .LBB101_10
; %bb.1:
	s_clause 0x2
	s_load_b256 s[4:11], s[0:1], 0x20
	s_load_b128 s[24:27], s[0:1], 0x40
	s_load_b32 s33, s[0:1], 0x50
	v_bfe_u32 v2, v0, 10, 10
	v_and_b32_e32 v6, 0x3ff, v0
	s_bfe_u32 s29, ttmp6, 0x4000c
	s_bfe_u32 s34, ttmp6, 0x40010
	s_add_co_i32 s29, s29, 1
	s_and_b32 s35, ttmp7, 0xffff
	s_add_co_i32 s34, s34, 1
	v_lshl_add_u32 v1, v2, 4, v6
	v_dual_mov_b32 v3, 0 :: v_dual_bitop2_b32 v0, 7, v0 bitop3:0x40
	s_clause 0x1
	s_load_b128 s[20:23], s[0:1], 0x78
	s_load_b256 s[12:19], s[0:1], 0x58
	s_and_b32 s30, ttmp6, 15
	s_mul_i32 s29, ttmp9, s29
	s_mul_i32 s34, s35, s34
	s_bfe_u32 s36, ttmp6, 0x40004
	s_add_co_i32 s30, s30, s29
	s_add_co_i32 s36, s36, s34
	s_cmp_eq_u32 s28, 0
	v_dual_mov_b32 v9, v3 :: v_dual_lshrrev_b32 v8, 3, v1
	s_cselect_b32 s28, ttmp9, s30
	v_dual_lshrrev_b32 v16, 5, v1 :: v_dual_bitop2_b32 v14, 31, v1 bitop3:0x40
	s_cselect_b32 s30, s35, s36
	s_ashr_i32 s29, s28, 31
	s_wait_kmcnt 0x0
	v_mad_nc_u64_u32 v[10:11], s24, v0, v[8:9]
	s_lshl_b64 s[34:35], s[28:29], 5
	s_lshl_b32 s36, s30, 5
	s_mov_b32 s37, s3
	v_mad_nc_u64_u32 v[12:13], s6, v16, s[34:35]
	v_add_nc_u64_e32 v[4:5], s[36:37], v[2:3]
	s_load_b96 s[28:30], s[0:1], 0x10
	v_dual_lshlrev_b32 v7, 2, v0 :: v_dual_lshlrev_b32 v9, 2, v14
	v_dual_mov_b32 v15, v3 :: v_dual_lshlrev_b32 v26, 2, v6
	v_mad_u32 v11, s25, v0, v11
	s_delay_alu instid0(VALU_DEP_4)
	v_mul_u64_e32 v[0:1], s[20:21], v[4:5]
	v_mul_u64_e32 v[4:5], s[14:15], v[4:5]
	v_lshl_or_b32 v17, v8, 5, v7
	v_mad_u32 v13, s7, v16, v13
	v_mov_b32_e32 v7, v3
	v_lshl_or_b32 v24, v16, 7, v9
	s_cmp_eq_f32 s33, 0
	v_add_nc_u32_e32 v25, 0x400, v17
	v_lshl_add_u32 v2, v2, 5, 0x400
	v_add_nc_u64_e32 v[8:9], s[36:37], v[10:11]
	s_wait_xcnt 0x0
	s_cselect_b32 s1, -1, 0
	s_lshl_b64 s[20:21], s[20:21], 4
	s_lshl_b64 s[14:15], s[14:15], 4
	v_add_nc_u64_e32 v[10:11], v[12:13], v[14:15]
	s_wait_kmcnt 0x0
	v_cmp_gt_i64_e64 s0, s[28:29], 0
	v_add_nc_u64_e32 v[12:13], s[34:35], v[6:7]
	v_lshlrev_b64_e32 v[8:9], 1, v[8:9]
	s_lshl_b64 s[24:25], s[24:25], 4
	s_lshl_b64 s[6:7], s[6:7], 4
	;; [unrolled: 1-line block ×3, first 2 shown]
	v_lshlrev_b64_e32 v[10:11], 1, v[10:11]
	v_cndmask_b32_e64 v14, 0, 1, s0
	s_delay_alu instid0(VALU_DEP_3) | instskip(SKIP_1) | instid1(VALU_DEP_3)
	v_lshl_add_u64 v[6:7], s[26:27], 1, v[8:9]
	v_lshlrev_b64_e32 v[8:9], 1, v[12:13]
	v_cmp_ne_u32_e64 s0, 1, v14
	v_lshl_add_u64 v[10:11], s[8:9], 1, v[10:11]
	s_lshl_b64 s[8:9], s[22:23], 1
	s_branch .LBB101_3
.LBB101_2:                              ;   in Loop: Header=BB101_3 Depth=1
	s_add_co_i32 s2, s2, 0x10000
	s_delay_alu instid0(SALU_CYCLE_1)
	s_cmp_lt_i32 s2, s31
	s_cbranch_scc0 .LBB101_10
.LBB101_3:                              ; =>This Loop Header: Depth=1
                                        ;     Child Loop BB101_5 Depth 2
	v_dual_mov_b32 v14, s2 :: v_dual_mov_b32 v19, 0
	v_dual_mov_b32 v18, 0 :: v_dual_mov_b32 v15, 0
	s_and_b32 vcc_lo, exec_lo, s0
	s_clause 0x1
	global_load_b64 v[12:13], v14, s[12:13] scale_offset
	global_load_b64 v[16:17], v14, s[18:19] scale_offset
	s_wait_xcnt 0x0
	v_mov_b32_e32 v14, 0
	s_cbranch_vccnz .LBB101_6
; %bb.4:                                ;   in Loop: Header=BB101_3 Depth=1
	s_lshl_b64 s[22:23], s[2:3], 3
	v_mov_b32_e32 v14, 0
	s_add_nc_u64 s[26:27], s[10:11], s[22:23]
	s_add_nc_u64 s[22:23], s[4:5], s[22:23]
	s_clause 0x1
	global_load_b64 v[18:19], v3, s[26:27]
	global_load_b64 v[22:23], v3, s[22:23]
	s_wait_xcnt 0x0
	s_mov_b64 s[22:23], 0
	v_mov_b32_e32 v15, v14
	s_wait_loadcnt 0x1
	v_add_nc_u64_e32 v[20:21], v[18:19], v[6:7]
	s_wait_loadcnt 0x0
	v_add_nc_u64_e32 v[22:23], v[22:23], v[10:11]
	v_dual_mov_b32 v18, v14 :: v_dual_mov_b32 v19, v14
.LBB101_5:                              ;   Parent Loop BB101_3 Depth=1
                                        ; =>  This Inner Loop Header: Depth=2
	flat_load_u16 v27, v[22:23]
	flat_load_u16 v28, v[20:21]
	s_add_nc_u64 s[22:23], s[22:23], 8
	s_wait_xcnt 0x0
	v_add_nc_u64_e32 v[20:21], s[24:25], v[20:21]
	v_cmp_lt_i64_e64 s26, s[22:23], s[28:29]
	v_add_nc_u64_e32 v[22:23], s[6:7], v[22:23]
	s_and_b32 vcc_lo, exec_lo, s26
	s_wait_loadcnt_dscnt 0x101
	v_cvt_f32_f16_e32 v27, v27
	s_wait_loadcnt_dscnt 0x0
	v_cvt_f32_f16_e32 v28, v28
	ds_store_b32 v24, v27
	ds_store_b32 v25, v28
	s_wait_dscnt 0x0
	s_barrier_signal -1
	s_barrier_wait -1
	ds_load_2addr_b32 v[44:45], v26 offset1:16
	ds_load_2addr_b32 v[46:47], v26 offset0:32 offset1:48
	ds_load_b128 v[28:31], v2
	ds_load_2addr_b32 v[48:49], v26 offset0:64 offset1:80
	ds_load_b128 v[32:35], v2 offset:512
	ds_load_2addr_b32 v[50:51], v26 offset0:96 offset1:112
	ds_load_b128 v[36:39], v2 offset:16
	;; [unrolled: 2-line block ×3, first 2 shown]
	ds_load_2addr_b32 v[54:55], v26 offset0:160 offset1:176
	ds_load_2addr_b32 v[56:57], v26 offset0:192 offset1:208
	;; [unrolled: 1-line block ×3, first 2 shown]
	s_wait_dscnt 0x0
	s_barrier_signal -1
	s_barrier_wait -1
	v_dual_mov_b32 v60, v45 :: v_dual_mov_b32 v61, v44
	v_dual_mov_b32 v44, v47 :: v_dual_mov_b32 v45, v46
	;; [unrolled: 1-line block ×3, first 2 shown]
	s_delay_alu instid0(VALU_DEP_3) | instskip(SKIP_3) | instid1(VALU_DEP_4)
	v_pk_fma_f32 v[18:19], v[60:61], v[28:29], v[18:19] op_sel_hi:[1,0,1]
	v_pk_fma_f32 v[14:15], v[60:61], v[32:33], v[14:15] op_sel_hi:[1,0,1]
	v_dual_mov_b32 v48, v51 :: v_dual_mov_b32 v49, v50
	v_mov_b32_e32 v50, v31
	v_pk_fma_f32 v[18:19], v[44:45], v[28:29], v[18:19] op_sel:[0,1,0]
	s_delay_alu instid0(VALU_DEP_4) | instskip(SKIP_2) | instid1(VALU_DEP_4)
	v_pk_fma_f32 v[14:15], v[44:45], v[32:33], v[14:15] op_sel:[0,1,0]
	v_dual_mov_b32 v28, v35 :: v_dual_mov_b32 v32, v59
	v_mov_b32_e32 v33, v58
	v_pk_fma_f32 v[18:19], v[46:47], v[30:31], v[18:19] op_sel_hi:[1,0,1]
	s_delay_alu instid0(VALU_DEP_4) | instskip(SKIP_2) | instid1(VALU_DEP_4)
	v_pk_fma_f32 v[14:15], v[46:47], v[34:35], v[14:15] op_sel_hi:[1,0,1]
	v_dual_mov_b32 v30, v53 :: v_dual_mov_b32 v31, v52
	v_mov_b32_e32 v34, v43
	v_pk_fma_f32 v[18:19], v[48:49], v[50:51], v[18:19] op_sel_hi:[1,0,1]
	s_delay_alu instid0(VALU_DEP_4) | instskip(SKIP_1) | instid1(VALU_DEP_3)
	v_pk_fma_f32 v[14:15], v[48:49], v[28:29], v[14:15] op_sel_hi:[1,0,1]
	v_dual_mov_b32 v28, v55 :: v_dual_mov_b32 v29, v54
	v_pk_fma_f32 v[18:19], v[30:31], v[36:37], v[18:19] op_sel_hi:[1,0,1]
	s_delay_alu instid0(VALU_DEP_3) | instskip(SKIP_1) | instid1(VALU_DEP_3)
	v_pk_fma_f32 v[14:15], v[30:31], v[40:41], v[14:15] op_sel_hi:[1,0,1]
	v_dual_mov_b32 v30, v57 :: v_dual_mov_b32 v31, v56
	v_pk_fma_f32 v[18:19], v[28:29], v[36:37], v[18:19] op_sel:[0,1,0]
	s_delay_alu instid0(VALU_DEP_3) | instskip(SKIP_1) | instid1(VALU_DEP_3)
	v_pk_fma_f32 v[14:15], v[28:29], v[40:41], v[14:15] op_sel:[0,1,0]
	v_mov_b32_e32 v28, v39
	v_pk_fma_f32 v[18:19], v[30:31], v[38:39], v[18:19] op_sel_hi:[1,0,1]
	s_delay_alu instid0(VALU_DEP_3) | instskip(NEXT) | instid1(VALU_DEP_2)
	v_pk_fma_f32 v[14:15], v[30:31], v[42:43], v[14:15] op_sel_hi:[1,0,1]
	v_pk_fma_f32 v[18:19], v[32:33], v[28:29], v[18:19] op_sel_hi:[1,0,1]
	s_delay_alu instid0(VALU_DEP_2)
	v_pk_fma_f32 v[14:15], v[32:33], v[34:35], v[14:15] op_sel_hi:[1,0,1]
	s_cbranch_vccnz .LBB101_5
.LBB101_6:                              ;   in Loop: Header=BB101_3 Depth=1
	s_wait_loadcnt 0x0
	v_add_nc_u64_e32 v[16:17], s[8:9], v[16:17]
	s_and_not1_b32 vcc_lo, exec_lo, s1
	s_delay_alu instid0(VALU_DEP_1) | instskip(NEXT) | instid1(VALU_DEP_1)
	v_lshl_add_u64 v[16:17], v[0:1], 1, v[16:17]
	v_add_nc_u64_e32 v[20:21], v[16:17], v[8:9]
	v_lshl_add_u64 v[16:17], s[20:21], 1, v[16:17]
	s_cbranch_vccnz .LBB101_8
; %bb.7:                                ;   in Loop: Header=BB101_3 Depth=1
	s_delay_alu instid0(VALU_DEP_1)
	v_add_nc_u64_e32 v[22:23], v[16:17], v[8:9]
	v_fma_mixlo_f16 v27, s30, v19, 0
	v_fma_mixlo_f16 v29, s30, v15, 0
	;; [unrolled: 1-line block ×4, first 2 shown]
	s_clause 0x3
	flat_store_b16 v[20:21], v27
	flat_store_b16 v[20:21], v28 offset:32
	flat_store_b16 v[22:23], v29
	flat_store_b16 v[22:23], v30 offset:32
	s_cbranch_execnz .LBB101_2
	s_branch .LBB101_9
.LBB101_8:                              ;   in Loop: Header=BB101_3 Depth=1
.LBB101_9:                              ;   in Loop: Header=BB101_3 Depth=1
	v_add_nc_u64_e32 v[12:13], s[16:17], v[12:13]
	s_delay_alu instid0(VALU_DEP_2) | instskip(NEXT) | instid1(VALU_DEP_2)
	v_add_nc_u64_e32 v[16:17], v[16:17], v[8:9]
	v_lshl_add_u64 v[12:13], v[4:5], 1, v[12:13]
	s_wait_xcnt 0x0
	s_delay_alu instid0(VALU_DEP_1) | instskip(SKIP_1) | instid1(VALU_DEP_1)
	v_add_nc_u64_e32 v[22:23], v[12:13], v[8:9]
	v_lshl_add_u64 v[12:13], s[14:15], 1, v[12:13]
	v_add_nc_u64_e32 v[12:13], v[12:13], v[8:9]
	flat_load_u16 v27, v[22:23]
	s_wait_loadcnt_dscnt 0x0
	v_cvt_f32_f16_e32 v27, v27
	s_delay_alu instid0(VALU_DEP_1) | instskip(NEXT) | instid1(VALU_DEP_1)
	v_mul_f32_e32 v27, s33, v27
	v_fma_mixlo_f16 v19, s30, v19, v27
	flat_store_b16 v[20:21], v19
	flat_load_u16 v19, v[22:23] offset:32
	s_wait_loadcnt_dscnt 0x0
	v_cvt_f32_f16_e32 v19, v19
	s_delay_alu instid0(VALU_DEP_1) | instskip(NEXT) | instid1(VALU_DEP_1)
	v_mul_f32_e32 v19, s33, v19
	v_fma_mixlo_f16 v18, s30, v18, v19
	flat_store_b16 v[20:21], v18 offset:32
	flat_load_u16 v18, v[12:13]
	s_wait_loadcnt_dscnt 0x0
	v_cvt_f32_f16_e32 v18, v18
	s_delay_alu instid0(VALU_DEP_1) | instskip(NEXT) | instid1(VALU_DEP_1)
	v_mul_f32_e32 v18, s33, v18
	v_fma_mixlo_f16 v15, s30, v15, v18
	flat_store_b16 v[16:17], v15
	flat_load_u16 v12, v[12:13] offset:32
	s_wait_loadcnt_dscnt 0x0
	s_wait_xcnt 0x0
	v_cvt_f32_f16_e32 v12, v12
	s_delay_alu instid0(VALU_DEP_1) | instskip(NEXT) | instid1(VALU_DEP_1)
	v_mul_f32_e32 v12, s33, v12
	v_fma_mixlo_f16 v12, s30, v14, v12
	flat_store_b16 v[16:17], v12 offset:32
	s_branch .LBB101_2
.LBB101_10:
	s_endpgm
	.section	.rodata,"a",@progbits
	.p2align	6, 0x0
	.amdhsa_kernel _ZN12_GLOBAL__N_127rocblas_gemm_batched_kernelIfLi16ELi16ELi32ELi32ELi8ELi32ELi8ELi8ELi32ELc78ELc67EKPKDF16_S3_KPDF16_EEvlllT_PT11_llS8_llS6_PT12_llPT13_lli
		.amdhsa_group_segment_fixed_size 2048
		.amdhsa_private_segment_fixed_size 0
		.amdhsa_kernarg_size 140
		.amdhsa_user_sgpr_count 2
		.amdhsa_user_sgpr_dispatch_ptr 0
		.amdhsa_user_sgpr_queue_ptr 0
		.amdhsa_user_sgpr_kernarg_segment_ptr 1
		.amdhsa_user_sgpr_dispatch_id 0
		.amdhsa_user_sgpr_kernarg_preload_length 0
		.amdhsa_user_sgpr_kernarg_preload_offset 0
		.amdhsa_user_sgpr_private_segment_size 0
		.amdhsa_wavefront_size32 1
		.amdhsa_uses_dynamic_stack 0
		.amdhsa_enable_private_segment 0
		.amdhsa_system_sgpr_workgroup_id_x 1
		.amdhsa_system_sgpr_workgroup_id_y 1
		.amdhsa_system_sgpr_workgroup_id_z 1
		.amdhsa_system_sgpr_workgroup_info 0
		.amdhsa_system_vgpr_workitem_id 1
		.amdhsa_next_free_vgpr 62
		.amdhsa_next_free_sgpr 38
		.amdhsa_named_barrier_count 0
		.amdhsa_reserve_vcc 1
		.amdhsa_float_round_mode_32 0
		.amdhsa_float_round_mode_16_64 0
		.amdhsa_float_denorm_mode_32 3
		.amdhsa_float_denorm_mode_16_64 3
		.amdhsa_fp16_overflow 0
		.amdhsa_memory_ordered 1
		.amdhsa_forward_progress 1
		.amdhsa_inst_pref_size 12
		.amdhsa_round_robin_scheduling 0
		.amdhsa_exception_fp_ieee_invalid_op 0
		.amdhsa_exception_fp_denorm_src 0
		.amdhsa_exception_fp_ieee_div_zero 0
		.amdhsa_exception_fp_ieee_overflow 0
		.amdhsa_exception_fp_ieee_underflow 0
		.amdhsa_exception_fp_ieee_inexact 0
		.amdhsa_exception_int_div_zero 0
	.end_amdhsa_kernel
	.section	.text._ZN12_GLOBAL__N_127rocblas_gemm_batched_kernelIfLi16ELi16ELi32ELi32ELi8ELi32ELi8ELi8ELi32ELc78ELc67EKPKDF16_S3_KPDF16_EEvlllT_PT11_llS8_llS6_PT12_llPT13_lli,"axG",@progbits,_ZN12_GLOBAL__N_127rocblas_gemm_batched_kernelIfLi16ELi16ELi32ELi32ELi8ELi32ELi8ELi8ELi32ELc78ELc67EKPKDF16_S3_KPDF16_EEvlllT_PT11_llS8_llS6_PT12_llPT13_lli,comdat
.Lfunc_end101:
	.size	_ZN12_GLOBAL__N_127rocblas_gemm_batched_kernelIfLi16ELi16ELi32ELi32ELi8ELi32ELi8ELi8ELi32ELc78ELc67EKPKDF16_S3_KPDF16_EEvlllT_PT11_llS8_llS6_PT12_llPT13_lli, .Lfunc_end101-_ZN12_GLOBAL__N_127rocblas_gemm_batched_kernelIfLi16ELi16ELi32ELi32ELi8ELi32ELi8ELi8ELi32ELc78ELc67EKPKDF16_S3_KPDF16_EEvlllT_PT11_llS8_llS6_PT12_llPT13_lli
                                        ; -- End function
	.set _ZN12_GLOBAL__N_127rocblas_gemm_batched_kernelIfLi16ELi16ELi32ELi32ELi8ELi32ELi8ELi8ELi32ELc78ELc67EKPKDF16_S3_KPDF16_EEvlllT_PT11_llS8_llS6_PT12_llPT13_lli.num_vgpr, 62
	.set _ZN12_GLOBAL__N_127rocblas_gemm_batched_kernelIfLi16ELi16ELi32ELi32ELi8ELi32ELi8ELi8ELi32ELc78ELc67EKPKDF16_S3_KPDF16_EEvlllT_PT11_llS8_llS6_PT12_llPT13_lli.num_agpr, 0
	.set _ZN12_GLOBAL__N_127rocblas_gemm_batched_kernelIfLi16ELi16ELi32ELi32ELi8ELi32ELi8ELi8ELi32ELc78ELc67EKPKDF16_S3_KPDF16_EEvlllT_PT11_llS8_llS6_PT12_llPT13_lli.numbered_sgpr, 38
	.set _ZN12_GLOBAL__N_127rocblas_gemm_batched_kernelIfLi16ELi16ELi32ELi32ELi8ELi32ELi8ELi8ELi32ELc78ELc67EKPKDF16_S3_KPDF16_EEvlllT_PT11_llS8_llS6_PT12_llPT13_lli.num_named_barrier, 0
	.set _ZN12_GLOBAL__N_127rocblas_gemm_batched_kernelIfLi16ELi16ELi32ELi32ELi8ELi32ELi8ELi8ELi32ELc78ELc67EKPKDF16_S3_KPDF16_EEvlllT_PT11_llS8_llS6_PT12_llPT13_lli.private_seg_size, 0
	.set _ZN12_GLOBAL__N_127rocblas_gemm_batched_kernelIfLi16ELi16ELi32ELi32ELi8ELi32ELi8ELi8ELi32ELc78ELc67EKPKDF16_S3_KPDF16_EEvlllT_PT11_llS8_llS6_PT12_llPT13_lli.uses_vcc, 1
	.set _ZN12_GLOBAL__N_127rocblas_gemm_batched_kernelIfLi16ELi16ELi32ELi32ELi8ELi32ELi8ELi8ELi32ELc78ELc67EKPKDF16_S3_KPDF16_EEvlllT_PT11_llS8_llS6_PT12_llPT13_lli.uses_flat_scratch, 1
	.set _ZN12_GLOBAL__N_127rocblas_gemm_batched_kernelIfLi16ELi16ELi32ELi32ELi8ELi32ELi8ELi8ELi32ELc78ELc67EKPKDF16_S3_KPDF16_EEvlllT_PT11_llS8_llS6_PT12_llPT13_lli.has_dyn_sized_stack, 0
	.set _ZN12_GLOBAL__N_127rocblas_gemm_batched_kernelIfLi16ELi16ELi32ELi32ELi8ELi32ELi8ELi8ELi32ELc78ELc67EKPKDF16_S3_KPDF16_EEvlllT_PT11_llS8_llS6_PT12_llPT13_lli.has_recursion, 0
	.set _ZN12_GLOBAL__N_127rocblas_gemm_batched_kernelIfLi16ELi16ELi32ELi32ELi8ELi32ELi8ELi8ELi32ELc78ELc67EKPKDF16_S3_KPDF16_EEvlllT_PT11_llS8_llS6_PT12_llPT13_lli.has_indirect_call, 0
	.section	.AMDGPU.csdata,"",@progbits
; Kernel info:
; codeLenInByte = 1492
; TotalNumSgprs: 40
; NumVgprs: 62
; ScratchSize: 0
; MemoryBound: 0
; FloatMode: 240
; IeeeMode: 1
; LDSByteSize: 2048 bytes/workgroup (compile time only)
; SGPRBlocks: 0
; VGPRBlocks: 3
; NumSGPRsForWavesPerEU: 40
; NumVGPRsForWavesPerEU: 62
; NamedBarCnt: 0
; Occupancy: 16
; WaveLimiterHint : 1
; COMPUTE_PGM_RSRC2:SCRATCH_EN: 0
; COMPUTE_PGM_RSRC2:USER_SGPR: 2
; COMPUTE_PGM_RSRC2:TRAP_HANDLER: 0
; COMPUTE_PGM_RSRC2:TGID_X_EN: 1
; COMPUTE_PGM_RSRC2:TGID_Y_EN: 1
; COMPUTE_PGM_RSRC2:TGID_Z_EN: 1
; COMPUTE_PGM_RSRC2:TIDIG_COMP_CNT: 1
	.section	.text._ZN12_GLOBAL__N_127rocblas_gemm_batched_kernelIfLi16ELi16ELi32ELi32ELi8ELi32ELi8ELi8ELi32ELc84ELc67EKPKDF16_S3_KPDF16_EEvlllT_PT11_llS8_llS6_PT12_llPT13_lli,"axG",@progbits,_ZN12_GLOBAL__N_127rocblas_gemm_batched_kernelIfLi16ELi16ELi32ELi32ELi8ELi32ELi8ELi8ELi32ELc84ELc67EKPKDF16_S3_KPDF16_EEvlllT_PT11_llS8_llS6_PT12_llPT13_lli,comdat
	.globl	_ZN12_GLOBAL__N_127rocblas_gemm_batched_kernelIfLi16ELi16ELi32ELi32ELi8ELi32ELi8ELi8ELi32ELc84ELc67EKPKDF16_S3_KPDF16_EEvlllT_PT11_llS8_llS6_PT12_llPT13_lli ; -- Begin function _ZN12_GLOBAL__N_127rocblas_gemm_batched_kernelIfLi16ELi16ELi32ELi32ELi8ELi32ELi8ELi8ELi32ELc84ELc67EKPKDF16_S3_KPDF16_EEvlllT_PT11_llS8_llS6_PT12_llPT13_lli
	.p2align	8
	.type	_ZN12_GLOBAL__N_127rocblas_gemm_batched_kernelIfLi16ELi16ELi32ELi32ELi8ELi32ELi8ELi8ELi32ELc84ELc67EKPKDF16_S3_KPDF16_EEvlllT_PT11_llS8_llS6_PT12_llPT13_lli,@function
_ZN12_GLOBAL__N_127rocblas_gemm_batched_kernelIfLi16ELi16ELi32ELi32ELi8ELi32ELi8ELi8ELi32ELc84ELc67EKPKDF16_S3_KPDF16_EEvlllT_PT11_llS8_llS6_PT12_llPT13_lli: ; @_ZN12_GLOBAL__N_127rocblas_gemm_batched_kernelIfLi16ELi16ELi32ELi32ELi8ELi32ELi8ELi8ELi32ELc84ELc67EKPKDF16_S3_KPDF16_EEvlllT_PT11_llS8_llS6_PT12_llPT13_lli
; %bb.0:
	s_load_b32 s31, s[0:1], 0x88
	s_bfe_u32 s2, ttmp6, 0x40014
	s_lshr_b32 s3, ttmp7, 16
	s_add_co_i32 s2, s2, 1
	s_bfe_u32 s4, ttmp6, 0x40008
	s_mul_i32 s2, s3, s2
	s_getreg_b32 s28, hwreg(HW_REG_IB_STS2, 6, 4)
	s_add_co_i32 s4, s4, s2
	s_cmp_eq_u32 s28, 0
	s_cselect_b32 s2, s3, s4
	s_mov_b32 s3, 0
	s_wait_kmcnt 0x0
	s_cmp_ge_i32 s2, s31
	s_cbranch_scc1 .LBB102_10
; %bb.1:
	v_bfe_u32 v2, v0, 10, 10
	v_and_b32_e32 v6, 0x3ff, v0
	s_bfe_u32 s29, ttmp6, 0x4000c
	s_bfe_u32 s33, ttmp6, 0x40010
	s_add_co_i32 s29, s29, 1
	s_and_b32 s34, ttmp7, 0xffff
	s_add_co_i32 s33, s33, 1
	s_clause 0x3
	s_load_b256 s[4:11], s[0:1], 0x20
	s_load_b128 s[24:27], s[0:1], 0x40
	s_load_b128 s[20:23], s[0:1], 0x78
	s_load_b256 s[12:19], s[0:1], 0x58
	s_and_b32 s30, ttmp6, 15
	s_mul_i32 s29, ttmp9, s29
	s_mul_i32 s33, s34, s33
	s_bfe_u32 s35, ttmp6, 0x40004
	v_lshl_add_u32 v7, v2, 4, v6
	s_add_co_i32 s30, s30, s29
	s_add_co_i32 s35, s35, s33
	s_cmp_eq_u32 s28, 0
	s_delay_alu instid0(VALU_DEP_1)
	v_dual_mov_b32 v3, 0 :: v_dual_bitop2_b32 v14, 31, v7 bitop3:0x40
	s_cselect_b32 s28, ttmp9, s30
	s_cselect_b32 s30, s34, s35
	s_ashr_i32 s29, s28, 31
	v_lshrrev_b32_e32 v8, 3, v7
	s_lshl_b64 s[34:35], s[28:29], 5
	s_delay_alu instid0(SALU_CYCLE_1)
	v_dual_mov_b32 v1, s35 :: v_dual_bitop2_b32 v15, 7, v0 bitop3:0x40
	v_dual_mov_b32 v9, v3 :: v_dual_bitop2_b32 v0, s34, v14 bitop3:0x54
	v_lshrrev_b32_e32 v16, 5, v7
	s_load_b32 s33, s[0:1], 0x50
	v_lshlrev_b32_e32 v14, 2, v14
	s_wait_kmcnt 0x0
	v_mul_u64_e32 v[10:11], s[6:7], v[0:1]
	s_lshl_b32 s6, s30, 5
	v_mad_nc_u64_u32 v[12:13], s24, v15, v[8:9]
	s_mov_b32 s7, s3
	s_load_b96 s[28:30], s[0:1], 0x10
	v_add_nc_u64_e32 v[4:5], s[6:7], v[2:3]
	v_dual_lshlrev_b32 v9, 2, v15 :: v_dual_mov_b32 v7, v3
	v_lshlrev_b32_e32 v26, 2, v6
	v_lshl_or_b32 v24, v16, 7, v14
	v_lshl_add_u32 v27, v2, 5, 0x400
	v_lshlrev_b32_e32 v2, 1, v16
	v_mul_u64_e32 v[0:1], s[20:21], v[4:5]
	v_mul_u64_e32 v[4:5], s[14:15], v[4:5]
	v_mad_u32 v13, s25, v15, v13
	v_lshl_or_b32 v15, v8, 5, v9
	s_cmp_eq_f32 s33, 0
	s_delay_alu instid0(VALU_DEP_1)
	v_add_nc_u32_e32 v25, 0x400, v15
	s_wait_xcnt 0x0
	s_cselect_b32 s1, -1, 0
	s_lshl_b64 s[16:17], s[16:17], 1
	s_wait_kmcnt 0x0
	v_cmp_gt_i64_e64 s0, s[28:29], 0
	s_delay_alu instid0(VALU_DEP_4)
	v_add_nc_u64_e32 v[8:9], s[6:7], v[12:13]
	v_add_nc_u64_e32 v[12:13], s[34:35], v[6:7]
	s_lshl_b64 s[6:7], s[8:9], 1
	s_lshl_b64 s[8:9], s[14:15], 4
	;; [unrolled: 1-line block ×3, first 2 shown]
	v_cndmask_b32_e64 v16, 0, 1, s0
	s_delay_alu instid0(VALU_DEP_3)
	v_lshlrev_b64_e32 v[14:15], 1, v[8:9]
	v_lshl_add_u64 v[6:7], v[10:11], 1, s[6:7]
	v_lshlrev_b64_e32 v[8:9], 1, v[12:13]
	s_lshl_b64 s[6:7], s[20:21], 4
	v_cmp_ne_u32_e64 s0, 1, v16
	s_lshl_b64 s[20:21], s[22:23], 1
	v_add_nc_u64_e32 v[6:7], v[6:7], v[2:3]
	v_lshl_add_u64 v[10:11], s[26:27], 1, v[14:15]
	s_branch .LBB102_3
.LBB102_2:                              ;   in Loop: Header=BB102_3 Depth=1
	s_add_co_i32 s2, s2, 0x10000
	s_delay_alu instid0(SALU_CYCLE_1)
	s_cmp_lt_i32 s2, s31
	s_cbranch_scc0 .LBB102_10
.LBB102_3:                              ; =>This Loop Header: Depth=1
                                        ;     Child Loop BB102_5 Depth 2
	s_wait_xcnt 0x0
	v_dual_mov_b32 v2, s2 :: v_dual_mov_b32 v19, 0
	v_dual_mov_b32 v18, 0 :: v_dual_mov_b32 v15, 0
	v_mov_b32_e32 v14, 0
	s_clause 0x1
	global_load_b64 v[12:13], v2, s[12:13] scale_offset
	global_load_b64 v[16:17], v2, s[18:19] scale_offset
	s_and_b32 vcc_lo, exec_lo, s0
	s_cbranch_vccnz .LBB102_6
; %bb.4:                                ;   in Loop: Header=BB102_3 Depth=1
	s_lshl_b64 s[22:23], s[2:3], 3
	v_mov_b32_e32 v14, 0
	s_add_nc_u64 s[24:25], s[10:11], s[22:23]
	s_add_nc_u64 s[22:23], s[4:5], s[22:23]
	s_clause 0x1
	global_load_b64 v[18:19], v3, s[24:25]
	global_load_b64 v[22:23], v3, s[22:23]
	s_wait_xcnt 0x0
	s_mov_b64 s[22:23], 0
	v_mov_b32_e32 v15, v14
	s_wait_loadcnt 0x1
	v_add_nc_u64_e32 v[20:21], v[18:19], v[10:11]
	s_wait_loadcnt 0x0
	v_add_nc_u64_e32 v[22:23], v[22:23], v[6:7]
	v_dual_mov_b32 v18, v14 :: v_dual_mov_b32 v19, v14
.LBB102_5:                              ;   Parent Loop BB102_3 Depth=1
                                        ; =>  This Inner Loop Header: Depth=2
	flat_load_u16 v2, v[22:23]
	flat_load_u16 v28, v[20:21]
	s_add_nc_u64 s[22:23], s[22:23], 8
	s_wait_xcnt 0x0
	v_add_nc_u64_e32 v[20:21], s[14:15], v[20:21]
	v_cmp_lt_i64_e64 s24, s[22:23], s[28:29]
	v_add_nc_u64_e32 v[22:23], 16, v[22:23]
	s_and_b32 vcc_lo, exec_lo, s24
	s_wait_loadcnt_dscnt 0x101
	v_cvt_f32_f16_e32 v2, v2
	s_wait_loadcnt_dscnt 0x0
	v_cvt_f32_f16_e32 v28, v28
	ds_store_b32 v24, v2
	ds_store_b32 v25, v28
	s_wait_dscnt 0x0
	s_barrier_signal -1
	s_barrier_wait -1
	ds_load_2addr_b32 v[44:45], v26 offset1:16
	ds_load_2addr_b32 v[46:47], v26 offset0:32 offset1:48
	ds_load_b128 v[28:31], v27
	ds_load_2addr_b32 v[48:49], v26 offset0:64 offset1:80
	ds_load_b128 v[32:35], v27 offset:512
	ds_load_2addr_b32 v[50:51], v26 offset0:96 offset1:112
	ds_load_b128 v[36:39], v27 offset:16
	;; [unrolled: 2-line block ×3, first 2 shown]
	ds_load_2addr_b32 v[54:55], v26 offset0:160 offset1:176
	ds_load_2addr_b32 v[56:57], v26 offset0:192 offset1:208
	;; [unrolled: 1-line block ×3, first 2 shown]
	s_wait_dscnt 0x0
	s_barrier_signal -1
	s_barrier_wait -1
	v_dual_mov_b32 v60, v45 :: v_dual_mov_b32 v61, v44
	v_dual_mov_b32 v44, v47 :: v_dual_mov_b32 v45, v46
	;; [unrolled: 1-line block ×3, first 2 shown]
	s_delay_alu instid0(VALU_DEP_3) | instskip(SKIP_3) | instid1(VALU_DEP_4)
	v_pk_fma_f32 v[18:19], v[60:61], v[28:29], v[18:19] op_sel_hi:[1,0,1]
	v_pk_fma_f32 v[14:15], v[60:61], v[32:33], v[14:15] op_sel_hi:[1,0,1]
	v_dual_mov_b32 v48, v51 :: v_dual_mov_b32 v49, v50
	v_mov_b32_e32 v2, v31
	v_pk_fma_f32 v[18:19], v[44:45], v[28:29], v[18:19] op_sel:[0,1,0]
	s_delay_alu instid0(VALU_DEP_4) | instskip(SKIP_2) | instid1(VALU_DEP_4)
	v_pk_fma_f32 v[14:15], v[44:45], v[32:33], v[14:15] op_sel:[0,1,0]
	v_dual_mov_b32 v28, v35 :: v_dual_mov_b32 v32, v59
	v_mov_b32_e32 v33, v58
	v_pk_fma_f32 v[18:19], v[46:47], v[30:31], v[18:19] op_sel_hi:[1,0,1]
	s_delay_alu instid0(VALU_DEP_4) | instskip(SKIP_1) | instid1(VALU_DEP_3)
	v_pk_fma_f32 v[14:15], v[46:47], v[34:35], v[14:15] op_sel_hi:[1,0,1]
	v_dual_mov_b32 v30, v53 :: v_dual_mov_b32 v31, v52
	v_pk_fma_f32 v[18:19], v[48:49], v[2:3], v[18:19] op_sel_hi:[1,0,1]
	s_delay_alu instid0(VALU_DEP_3) | instskip(SKIP_2) | instid1(VALU_DEP_4)
	v_pk_fma_f32 v[14:15], v[48:49], v[28:29], v[14:15] op_sel_hi:[1,0,1]
	v_dual_mov_b32 v28, v55 :: v_dual_mov_b32 v29, v54
	v_mov_b32_e32 v2, v39
	v_pk_fma_f32 v[18:19], v[30:31], v[36:37], v[18:19] op_sel_hi:[1,0,1]
	s_delay_alu instid0(VALU_DEP_4) | instskip(SKIP_1) | instid1(VALU_DEP_3)
	v_pk_fma_f32 v[14:15], v[30:31], v[40:41], v[14:15] op_sel_hi:[1,0,1]
	v_dual_mov_b32 v30, v57 :: v_dual_mov_b32 v31, v56
	v_pk_fma_f32 v[18:19], v[28:29], v[36:37], v[18:19] op_sel:[0,1,0]
	s_delay_alu instid0(VALU_DEP_3) | instskip(SKIP_1) | instid1(VALU_DEP_3)
	v_pk_fma_f32 v[14:15], v[28:29], v[40:41], v[14:15] op_sel:[0,1,0]
	v_mov_b32_e32 v28, v43
	v_pk_fma_f32 v[18:19], v[30:31], v[38:39], v[18:19] op_sel_hi:[1,0,1]
	s_delay_alu instid0(VALU_DEP_3) | instskip(NEXT) | instid1(VALU_DEP_2)
	v_pk_fma_f32 v[14:15], v[30:31], v[42:43], v[14:15] op_sel_hi:[1,0,1]
	v_pk_fma_f32 v[18:19], v[32:33], v[2:3], v[18:19] op_sel_hi:[1,0,1]
	s_delay_alu instid0(VALU_DEP_2)
	v_pk_fma_f32 v[14:15], v[32:33], v[28:29], v[14:15] op_sel_hi:[1,0,1]
	s_cbranch_vccnz .LBB102_5
.LBB102_6:                              ;   in Loop: Header=BB102_3 Depth=1
	s_wait_loadcnt 0x0
	v_add_nc_u64_e32 v[16:17], s[20:21], v[16:17]
	s_and_not1_b32 vcc_lo, exec_lo, s1
	s_delay_alu instid0(VALU_DEP_1) | instskip(NEXT) | instid1(VALU_DEP_1)
	v_lshl_add_u64 v[16:17], v[0:1], 1, v[16:17]
	v_add_nc_u64_e32 v[20:21], v[16:17], v[8:9]
	v_lshl_add_u64 v[16:17], s[6:7], 1, v[16:17]
	s_cbranch_vccnz .LBB102_8
; %bb.7:                                ;   in Loop: Header=BB102_3 Depth=1
	s_delay_alu instid0(VALU_DEP_1)
	v_add_nc_u64_e32 v[22:23], v[16:17], v[8:9]
	s_wait_xcnt 0x0
	v_fma_mixlo_f16 v2, s30, v19, 0
	v_fma_mixlo_f16 v29, s30, v15, 0
	;; [unrolled: 1-line block ×4, first 2 shown]
	s_clause 0x3
	flat_store_b16 v[20:21], v2
	flat_store_b16 v[20:21], v28 offset:32
	flat_store_b16 v[22:23], v29
	flat_store_b16 v[22:23], v30 offset:32
	s_cbranch_execnz .LBB102_2
	s_branch .LBB102_9
.LBB102_8:                              ;   in Loop: Header=BB102_3 Depth=1
.LBB102_9:                              ;   in Loop: Header=BB102_3 Depth=1
	v_add_nc_u64_e32 v[12:13], s[16:17], v[12:13]
	s_delay_alu instid0(VALU_DEP_2) | instskip(NEXT) | instid1(VALU_DEP_2)
	v_add_nc_u64_e32 v[16:17], v[16:17], v[8:9]
	v_lshl_add_u64 v[12:13], v[4:5], 1, v[12:13]
	s_wait_xcnt 0x0
	s_delay_alu instid0(VALU_DEP_1) | instskip(SKIP_1) | instid1(VALU_DEP_1)
	v_add_nc_u64_e32 v[22:23], v[12:13], v[8:9]
	v_lshl_add_u64 v[12:13], s[8:9], 1, v[12:13]
	v_add_nc_u64_e32 v[12:13], v[12:13], v[8:9]
	flat_load_u16 v2, v[22:23]
	s_wait_loadcnt_dscnt 0x0
	v_cvt_f32_f16_e32 v2, v2
	s_delay_alu instid0(VALU_DEP_1) | instskip(NEXT) | instid1(VALU_DEP_1)
	v_mul_f32_e32 v2, s33, v2
	v_fma_mixlo_f16 v2, s30, v19, v2
	flat_store_b16 v[20:21], v2
	flat_load_u16 v2, v[22:23] offset:32
	s_wait_loadcnt_dscnt 0x0
	v_cvt_f32_f16_e32 v2, v2
	s_delay_alu instid0(VALU_DEP_1) | instskip(NEXT) | instid1(VALU_DEP_1)
	v_mul_f32_e32 v2, s33, v2
	v_fma_mixlo_f16 v2, s30, v18, v2
	flat_store_b16 v[20:21], v2 offset:32
	flat_load_u16 v2, v[12:13]
	s_wait_loadcnt_dscnt 0x0
	v_cvt_f32_f16_e32 v2, v2
	s_delay_alu instid0(VALU_DEP_1) | instskip(NEXT) | instid1(VALU_DEP_1)
	v_mul_f32_e32 v2, s33, v2
	v_fma_mixlo_f16 v2, s30, v15, v2
	flat_store_b16 v[16:17], v2
	flat_load_u16 v2, v[12:13] offset:32
	s_wait_loadcnt_dscnt 0x0
	v_cvt_f32_f16_e32 v2, v2
	s_delay_alu instid0(VALU_DEP_1) | instskip(NEXT) | instid1(VALU_DEP_1)
	v_mul_f32_e32 v2, s33, v2
	v_fma_mixlo_f16 v2, s30, v14, v2
	flat_store_b16 v[16:17], v2 offset:32
	s_branch .LBB102_2
.LBB102_10:
	s_endpgm
	.section	.rodata,"a",@progbits
	.p2align	6, 0x0
	.amdhsa_kernel _ZN12_GLOBAL__N_127rocblas_gemm_batched_kernelIfLi16ELi16ELi32ELi32ELi8ELi32ELi8ELi8ELi32ELc84ELc67EKPKDF16_S3_KPDF16_EEvlllT_PT11_llS8_llS6_PT12_llPT13_lli
		.amdhsa_group_segment_fixed_size 2048
		.amdhsa_private_segment_fixed_size 0
		.amdhsa_kernarg_size 140
		.amdhsa_user_sgpr_count 2
		.amdhsa_user_sgpr_dispatch_ptr 0
		.amdhsa_user_sgpr_queue_ptr 0
		.amdhsa_user_sgpr_kernarg_segment_ptr 1
		.amdhsa_user_sgpr_dispatch_id 0
		.amdhsa_user_sgpr_kernarg_preload_length 0
		.amdhsa_user_sgpr_kernarg_preload_offset 0
		.amdhsa_user_sgpr_private_segment_size 0
		.amdhsa_wavefront_size32 1
		.amdhsa_uses_dynamic_stack 0
		.amdhsa_enable_private_segment 0
		.amdhsa_system_sgpr_workgroup_id_x 1
		.amdhsa_system_sgpr_workgroup_id_y 1
		.amdhsa_system_sgpr_workgroup_id_z 1
		.amdhsa_system_sgpr_workgroup_info 0
		.amdhsa_system_vgpr_workitem_id 1
		.amdhsa_next_free_vgpr 62
		.amdhsa_next_free_sgpr 36
		.amdhsa_named_barrier_count 0
		.amdhsa_reserve_vcc 1
		.amdhsa_float_round_mode_32 0
		.amdhsa_float_round_mode_16_64 0
		.amdhsa_float_denorm_mode_32 3
		.amdhsa_float_denorm_mode_16_64 3
		.amdhsa_fp16_overflow 0
		.amdhsa_memory_ordered 1
		.amdhsa_forward_progress 1
		.amdhsa_inst_pref_size 12
		.amdhsa_round_robin_scheduling 0
		.amdhsa_exception_fp_ieee_invalid_op 0
		.amdhsa_exception_fp_denorm_src 0
		.amdhsa_exception_fp_ieee_div_zero 0
		.amdhsa_exception_fp_ieee_overflow 0
		.amdhsa_exception_fp_ieee_underflow 0
		.amdhsa_exception_fp_ieee_inexact 0
		.amdhsa_exception_int_div_zero 0
	.end_amdhsa_kernel
	.section	.text._ZN12_GLOBAL__N_127rocblas_gemm_batched_kernelIfLi16ELi16ELi32ELi32ELi8ELi32ELi8ELi8ELi32ELc84ELc67EKPKDF16_S3_KPDF16_EEvlllT_PT11_llS8_llS6_PT12_llPT13_lli,"axG",@progbits,_ZN12_GLOBAL__N_127rocblas_gemm_batched_kernelIfLi16ELi16ELi32ELi32ELi8ELi32ELi8ELi8ELi32ELc84ELc67EKPKDF16_S3_KPDF16_EEvlllT_PT11_llS8_llS6_PT12_llPT13_lli,comdat
.Lfunc_end102:
	.size	_ZN12_GLOBAL__N_127rocblas_gemm_batched_kernelIfLi16ELi16ELi32ELi32ELi8ELi32ELi8ELi8ELi32ELc84ELc67EKPKDF16_S3_KPDF16_EEvlllT_PT11_llS8_llS6_PT12_llPT13_lli, .Lfunc_end102-_ZN12_GLOBAL__N_127rocblas_gemm_batched_kernelIfLi16ELi16ELi32ELi32ELi8ELi32ELi8ELi8ELi32ELc84ELc67EKPKDF16_S3_KPDF16_EEvlllT_PT11_llS8_llS6_PT12_llPT13_lli
                                        ; -- End function
	.set _ZN12_GLOBAL__N_127rocblas_gemm_batched_kernelIfLi16ELi16ELi32ELi32ELi8ELi32ELi8ELi8ELi32ELc84ELc67EKPKDF16_S3_KPDF16_EEvlllT_PT11_llS8_llS6_PT12_llPT13_lli.num_vgpr, 62
	.set _ZN12_GLOBAL__N_127rocblas_gemm_batched_kernelIfLi16ELi16ELi32ELi32ELi8ELi32ELi8ELi8ELi32ELc84ELc67EKPKDF16_S3_KPDF16_EEvlllT_PT11_llS8_llS6_PT12_llPT13_lli.num_agpr, 0
	.set _ZN12_GLOBAL__N_127rocblas_gemm_batched_kernelIfLi16ELi16ELi32ELi32ELi8ELi32ELi8ELi8ELi32ELc84ELc67EKPKDF16_S3_KPDF16_EEvlllT_PT11_llS8_llS6_PT12_llPT13_lli.numbered_sgpr, 36
	.set _ZN12_GLOBAL__N_127rocblas_gemm_batched_kernelIfLi16ELi16ELi32ELi32ELi8ELi32ELi8ELi8ELi32ELc84ELc67EKPKDF16_S3_KPDF16_EEvlllT_PT11_llS8_llS6_PT12_llPT13_lli.num_named_barrier, 0
	.set _ZN12_GLOBAL__N_127rocblas_gemm_batched_kernelIfLi16ELi16ELi32ELi32ELi8ELi32ELi8ELi8ELi32ELc84ELc67EKPKDF16_S3_KPDF16_EEvlllT_PT11_llS8_llS6_PT12_llPT13_lli.private_seg_size, 0
	.set _ZN12_GLOBAL__N_127rocblas_gemm_batched_kernelIfLi16ELi16ELi32ELi32ELi8ELi32ELi8ELi8ELi32ELc84ELc67EKPKDF16_S3_KPDF16_EEvlllT_PT11_llS8_llS6_PT12_llPT13_lli.uses_vcc, 1
	.set _ZN12_GLOBAL__N_127rocblas_gemm_batched_kernelIfLi16ELi16ELi32ELi32ELi8ELi32ELi8ELi8ELi32ELc84ELc67EKPKDF16_S3_KPDF16_EEvlllT_PT11_llS8_llS6_PT12_llPT13_lli.uses_flat_scratch, 1
	.set _ZN12_GLOBAL__N_127rocblas_gemm_batched_kernelIfLi16ELi16ELi32ELi32ELi8ELi32ELi8ELi8ELi32ELc84ELc67EKPKDF16_S3_KPDF16_EEvlllT_PT11_llS8_llS6_PT12_llPT13_lli.has_dyn_sized_stack, 0
	.set _ZN12_GLOBAL__N_127rocblas_gemm_batched_kernelIfLi16ELi16ELi32ELi32ELi8ELi32ELi8ELi8ELi32ELc84ELc67EKPKDF16_S3_KPDF16_EEvlllT_PT11_llS8_llS6_PT12_llPT13_lli.has_recursion, 0
	.set _ZN12_GLOBAL__N_127rocblas_gemm_batched_kernelIfLi16ELi16ELi32ELi32ELi8ELi32ELi8ELi8ELi32ELc84ELc67EKPKDF16_S3_KPDF16_EEvlllT_PT11_llS8_llS6_PT12_llPT13_lli.has_indirect_call, 0
	.section	.AMDGPU.csdata,"",@progbits
; Kernel info:
; codeLenInByte = 1496
; TotalNumSgprs: 38
; NumVgprs: 62
; ScratchSize: 0
; MemoryBound: 0
; FloatMode: 240
; IeeeMode: 1
; LDSByteSize: 2048 bytes/workgroup (compile time only)
; SGPRBlocks: 0
; VGPRBlocks: 3
; NumSGPRsForWavesPerEU: 38
; NumVGPRsForWavesPerEU: 62
; NamedBarCnt: 0
; Occupancy: 16
; WaveLimiterHint : 1
; COMPUTE_PGM_RSRC2:SCRATCH_EN: 0
; COMPUTE_PGM_RSRC2:USER_SGPR: 2
; COMPUTE_PGM_RSRC2:TRAP_HANDLER: 0
; COMPUTE_PGM_RSRC2:TGID_X_EN: 1
; COMPUTE_PGM_RSRC2:TGID_Y_EN: 1
; COMPUTE_PGM_RSRC2:TGID_Z_EN: 1
; COMPUTE_PGM_RSRC2:TIDIG_COMP_CNT: 1
	.section	.text._ZN12_GLOBAL__N_135rocblas_gemm_batched_general_kernelIfLi16ELi16ELi32ELi32ELi8ELi32ELi8ELi8ELi32ELc78ELc78EKPKDF16_S3_KPDF16_EEvlllT_PT11_llS8_llS6_PT12_llPT13_lli,"axG",@progbits,_ZN12_GLOBAL__N_135rocblas_gemm_batched_general_kernelIfLi16ELi16ELi32ELi32ELi8ELi32ELi8ELi8ELi32ELc78ELc78EKPKDF16_S3_KPDF16_EEvlllT_PT11_llS8_llS6_PT12_llPT13_lli,comdat
	.globl	_ZN12_GLOBAL__N_135rocblas_gemm_batched_general_kernelIfLi16ELi16ELi32ELi32ELi8ELi32ELi8ELi8ELi32ELc78ELc78EKPKDF16_S3_KPDF16_EEvlllT_PT11_llS8_llS6_PT12_llPT13_lli ; -- Begin function _ZN12_GLOBAL__N_135rocblas_gemm_batched_general_kernelIfLi16ELi16ELi32ELi32ELi8ELi32ELi8ELi8ELi32ELc78ELc78EKPKDF16_S3_KPDF16_EEvlllT_PT11_llS8_llS6_PT12_llPT13_lli
	.p2align	8
	.type	_ZN12_GLOBAL__N_135rocblas_gemm_batched_general_kernelIfLi16ELi16ELi32ELi32ELi8ELi32ELi8ELi8ELi32ELc78ELc78EKPKDF16_S3_KPDF16_EEvlllT_PT11_llS8_llS6_PT12_llPT13_lli,@function
_ZN12_GLOBAL__N_135rocblas_gemm_batched_general_kernelIfLi16ELi16ELi32ELi32ELi8ELi32ELi8ELi8ELi32ELc78ELc78EKPKDF16_S3_KPDF16_EEvlllT_PT11_llS8_llS6_PT12_llPT13_lli: ; @_ZN12_GLOBAL__N_135rocblas_gemm_batched_general_kernelIfLi16ELi16ELi32ELi32ELi8ELi32ELi8ELi8ELi32ELc78ELc78EKPKDF16_S3_KPDF16_EEvlllT_PT11_llS8_llS6_PT12_llPT13_lli
; %bb.0:
	s_load_b32 s33, s[0:1], 0x88
	s_bfe_u32 s2, ttmp6, 0x40014
	s_lshr_b32 s3, ttmp7, 16
	s_add_co_i32 s2, s2, 1
	s_bfe_u32 s5, ttmp6, 0x40008
	s_mul_i32 s4, s3, s2
	s_getreg_b32 s2, hwreg(HW_REG_IB_STS2, 6, 4)
	s_add_co_i32 s5, s5, s4
	s_cmp_eq_u32 s2, 0
	s_mov_b32 s35, 0
	s_cselect_b32 s34, s3, s5
	s_wait_kmcnt 0x0
	s_cmp_ge_i32 s34, s33
	s_cbranch_scc1 .LBB103_34
; %bb.1:
	v_bfe_u32 v10, v0, 10, 10
	v_and_b32_e32 v12, 0x3ff, v0
	s_clause 0x1
	s_load_b256 s[8:15], s[0:1], 0x20
	s_load_b128 s[4:7], s[0:1], 0x40
	s_bfe_u32 s16, ttmp6, 0x4000c
	s_bfe_u32 s17, ttmp6, 0x40010
	s_add_co_i32 s16, s16, 1
	s_and_b32 s18, ttmp7, 0xffff
	s_add_co_i32 s17, s17, 1
	v_lshl_add_u32 v1, v10, 4, v12
	v_mov_b32_e32 v3, 0
	s_and_b32 s3, ttmp6, 15
	s_mul_i32 s16, ttmp9, s16
	s_mul_i32 s17, s18, s17
	s_bfe_u32 s19, ttmp6, 0x40004
	s_add_co_i32 s3, s3, s16
	s_add_co_i32 s19, s19, s17
	s_cmp_eq_u32 s2, 0
	v_dual_mov_b32 v5, v3 :: v_dual_lshrrev_b32 v4, 3, v1
	v_mov_b32_e32 v11, v3
	s_cselect_b32 s2, s18, s19
	s_cselect_b32 s42, ttmp9, s3
	s_lshl_b32 s2, s2, 5
	s_mov_b32 s3, s35
	s_clause 0x4
	s_load_b128 s[28:31], s[0:1], 0x0
	s_load_b96 s[36:38], s[0:1], 0x10
	s_load_b32 s41, s[0:1], 0x50
	s_load_b128 s[24:27], s[0:1], 0x78
	s_load_b256 s[16:23], s[0:1], 0x58
	v_add_nc_u64_e32 v[6:7], s[2:3], v[4:5]
	v_dual_lshrrev_b32 v2, 5, v1 :: v_dual_bitop2_b32 v22, 31, v1 bitop3:0x40
	s_ashr_i32 s43, s42, 31
	v_add_nc_u64_e32 v[18:19], s[2:3], v[10:11]
	v_dual_mov_b32 v13, v3 :: v_dual_bitop2_b32 v0, 7, v0 bitop3:0x40
	s_wait_kmcnt 0x0
	s_delay_alu instid0(VALU_DEP_4) | instskip(SKIP_2) | instid1(SALU_CYCLE_1)
	v_mul_u64_e32 v[14:15], s[4:5], v[6:7]
	v_mul_u64_e32 v[16:17], s[10:11], v[2:3]
	s_lshl_b64 s[4:5], s[42:43], 5
	v_dual_lshlrev_b32 v5, 2, v0 :: v_dual_bitop2_b32 v8, s4, v22 bitop3:0x54
	v_dual_mov_b32 v9, s5 :: v_dual_mov_b32 v1, v3
	v_dual_lshlrev_b32 v20, 2, v22 :: v_dual_lshlrev_b32 v30, 2, v12
	v_cmp_gt_i64_e64 s1, s[30:31], v[6:7]
	s_delay_alu instid0(VALU_DEP_3)
	v_cmp_gt_i64_e64 s0, s[28:29], v[8:9]
	v_mul_u64_e32 v[6:7], s[24:25], v[18:19]
	v_mul_u64_e32 v[8:9], s[18:19], v[18:19]
	s_cmp_eq_f32 s41, 0
	v_lshl_or_b32 v11, v4, 5, v5
	v_add_nc_u64_e32 v[4:5], s[4:5], v[12:13]
	v_add_nc_u64_e32 v[12:13], 16, v[18:19]
	s_cselect_b32 s39, -1, 0
	s_lshl_b64 s[6:7], s[6:7], 1
	v_add_nc_u32_e32 v29, 0x400, v11
	v_lshl_add_u32 v31, v10, 5, 0x400
	s_lshl_b64 s[12:13], s[12:13], 1
	v_lshl_or_b32 v28, v2, 7, v20
	v_add_nc_u64_e32 v[20:21], 16, v[4:5]
	v_cmp_gt_i64_e64 s5, s[30:31], v[12:13]
	v_dual_mov_b32 v13, v3 :: v_dual_lshlrev_b32 v12, 1, v0
	v_cmp_gt_i64_e64 s2, s[30:31], v[18:19]
	v_cmp_gt_i64_e64 s3, s[28:29], v[4:5]
	s_mov_b32 s40, s38
	v_cmp_gt_i64_e64 s4, s[28:29], v[20:21]
	v_cmp_gt_i64_e64 s28, s[36:37], 0
	v_lshl_add_u64 v[10:11], v[14:15], 1, s[6:7]
	s_lshl_b64 s[6:7], s[42:43], 6
	s_lshl_b64 s[10:11], s[10:11], 4
	s_add_nc_u64 s[6:7], s[12:13], s[6:7]
	s_lshl_b64 s[12:13], s[18:19], 4
	v_lshl_add_u64 v[14:15], v[16:17], 1, s[6:7]
	v_dual_mov_b32 v17, v3 :: v_dual_lshlrev_b32 v16, 1, v22
	v_add_nc_u64_e32 v[10:11], v[10:11], v[12:13]
	s_lshl_b64 s[6:7], s[24:25], 4
	s_lshl_b64 s[18:19], s[26:27], 1
	;; [unrolled: 1-line block ×3, first 2 shown]
	v_add_nc_u64_e32 v[12:13], v[14:15], v[16:17]
	s_branch .LBB103_4
.LBB103_2:                              ;   in Loop: Header=BB103_4 Depth=1
	s_wait_xcnt 0x0
	s_or_b32 exec_lo, exec_lo, s24
.LBB103_3:                              ;   in Loop: Header=BB103_4 Depth=1
	s_add_co_i32 s34, s34, 0x10000
	s_delay_alu instid0(SALU_CYCLE_1)
	s_cmp_lt_i32 s34, s33
	s_cbranch_scc0 .LBB103_34
.LBB103_4:                              ; =>This Loop Header: Depth=1
                                        ;     Child Loop BB103_7 Depth 2
	v_dual_mov_b32 v14, s34 :: v_dual_mov_b32 v19, 0
	v_dual_mov_b32 v18, 0 :: v_dual_mov_b32 v15, 0
	s_and_not1_b32 vcc_lo, exec_lo, s28
	s_clause 0x1
	global_load_b64 v[16:17], v14, s[16:17] scale_offset
	global_load_b64 v[20:21], v14, s[22:23] scale_offset
	s_wait_xcnt 0x0
	v_mov_b32_e32 v14, 0
	s_cbranch_vccnz .LBB103_11
; %bb.5:                                ;   in Loop: Header=BB103_4 Depth=1
	s_lshl_b64 s[24:25], s[34:35], 3
	v_mov_b32_e32 v18, 0
	s_add_nc_u64 s[26:27], s[14:15], s[24:25]
	s_add_nc_u64 s[24:25], s[8:9], s[24:25]
	s_clause 0x1
	global_load_b64 v[14:15], v3, s[26:27]
	global_load_b64 v[24:25], v3, s[24:25]
	s_wait_xcnt 0x0
	s_mov_b64 s[24:25], 0
	v_mov_b32_e32 v19, v18
	s_wait_loadcnt 0x1
	v_add_nc_u64_e32 v[22:23], v[14:15], v[10:11]
	s_wait_loadcnt 0x0
	v_add_nc_u64_e32 v[24:25], v[24:25], v[12:13]
	v_dual_mov_b32 v14, v18 :: v_dual_mov_b32 v15, v18
	s_branch .LBB103_7
.LBB103_6:                              ;   in Loop: Header=BB103_7 Depth=2
	s_wait_xcnt 0x0
	s_or_b32 exec_lo, exec_lo, s26
	ds_store_b32 v29, v27
	s_wait_dscnt 0x0
	s_barrier_signal -1
	s_barrier_wait -1
	ds_load_b128 v[32:35], v31
	ds_load_2addr_b32 v[26:27], v30 offset1:16
	ds_load_b128 v[36:39], v31 offset:512
	ds_load_2addr_b32 v[48:49], v30 offset0:32 offset1:48
	ds_load_2addr_b32 v[50:51], v30 offset0:64 offset1:80
	ds_load_2addr_b32 v[52:53], v30 offset0:96 offset1:112
	ds_load_b128 v[40:43], v31 offset:16
	ds_load_2addr_b32 v[54:55], v30 offset0:128 offset1:144
	ds_load_b128 v[44:47], v31 offset:528
	s_add_nc_u64 s[24:25], s[24:25], 8
	v_add_nc_u64_e32 v[22:23], 16, v[22:23]
	v_cmp_lt_i64_e64 s26, s[24:25], s[36:37]
	v_add_nc_u64_e32 v[24:25], s[10:11], v[24:25]
	s_and_b32 vcc_lo, exec_lo, s26
	s_wait_dscnt 0x7
	v_pk_fma_f32 v[18:19], v[26:27], v[32:33], v[18:19] op_sel_hi:[1,0,1]
	s_wait_dscnt 0x6
	v_pk_fma_f32 v[14:15], v[26:27], v[36:37], v[14:15] op_sel_hi:[1,0,1]
	ds_load_2addr_b32 v[26:27], v30 offset0:160 offset1:176
	s_wait_dscnt 0x6
	v_pk_fma_f32 v[18:19], v[48:49], v[32:33], v[18:19] op_sel:[0,1,0]
	v_pk_fma_f32 v[14:15], v[48:49], v[36:37], v[14:15] op_sel:[0,1,0]
	ds_load_2addr_b32 v[32:33], v30 offset0:192 offset1:208
	v_dual_mov_b32 v36, v35 :: v_dual_mov_b32 v48, v39
	s_wait_dscnt 0x6
	v_pk_fma_f32 v[18:19], v[50:51], v[34:35], v[18:19] op_sel_hi:[1,0,1]
	v_pk_fma_f32 v[14:15], v[50:51], v[38:39], v[14:15] op_sel_hi:[1,0,1]
	ds_load_2addr_b32 v[34:35], v30 offset0:224 offset1:240
	s_wait_dscnt 0x0
	s_barrier_signal -1
	v_pk_fma_f32 v[18:19], v[52:53], v[36:37], v[18:19] op_sel_hi:[1,0,1]
	v_pk_fma_f32 v[14:15], v[52:53], v[48:49], v[14:15] op_sel_hi:[1,0,1]
	s_barrier_wait -1
	v_mov_b32_e32 v36, v47
	s_delay_alu instid0(VALU_DEP_3) | instskip(NEXT) | instid1(VALU_DEP_3)
	v_pk_fma_f32 v[18:19], v[54:55], v[40:41], v[18:19] op_sel_hi:[1,0,1]
	v_pk_fma_f32 v[14:15], v[54:55], v[44:45], v[14:15] op_sel_hi:[1,0,1]
	s_delay_alu instid0(VALU_DEP_2) | instskip(NEXT) | instid1(VALU_DEP_2)
	v_pk_fma_f32 v[18:19], v[26:27], v[40:41], v[18:19] op_sel:[0,1,0]
	v_pk_fma_f32 v[14:15], v[26:27], v[44:45], v[14:15] op_sel:[0,1,0]
	v_mov_b32_e32 v26, v43
	s_delay_alu instid0(VALU_DEP_3) | instskip(NEXT) | instid1(VALU_DEP_3)
	v_pk_fma_f32 v[18:19], v[32:33], v[42:43], v[18:19] op_sel_hi:[1,0,1]
	v_pk_fma_f32 v[14:15], v[32:33], v[46:47], v[14:15] op_sel_hi:[1,0,1]
	s_delay_alu instid0(VALU_DEP_2) | instskip(NEXT) | instid1(VALU_DEP_2)
	v_pk_fma_f32 v[18:19], v[34:35], v[26:27], v[18:19] op_sel_hi:[1,0,1]
	v_pk_fma_f32 v[14:15], v[34:35], v[36:37], v[14:15] op_sel_hi:[1,0,1]
	s_cbranch_vccz .LBB103_11
.LBB103_7:                              ;   Parent Loop BB103_4 Depth=1
                                        ; =>  This Inner Loop Header: Depth=2
	v_add_nc_u64_e32 v[26:27], s[24:25], v[2:3]
	s_delay_alu instid0(VALU_DEP_1) | instskip(SKIP_2) | instid1(SALU_CYCLE_1)
	v_cmp_gt_i64_e32 vcc_lo, s[36:37], v[26:27]
	v_mov_b32_e32 v26, 0
	s_and_b32 s27, s0, vcc_lo
	s_and_saveexec_b32 s26, s27
	s_cbranch_execz .LBB103_9
; %bb.8:                                ;   in Loop: Header=BB103_7 Depth=2
	flat_load_u16 v26, v[24:25]
	s_wait_loadcnt_dscnt 0x0
	v_cvt_f32_f16_e32 v26, v26
.LBB103_9:                              ;   in Loop: Header=BB103_7 Depth=2
	s_wait_xcnt 0x0
	s_or_b32 exec_lo, exec_lo, s26
	v_add_nc_u64_e32 v[32:33], s[24:25], v[0:1]
	v_mov_b32_e32 v27, 0
	ds_store_b32 v28, v26
	v_cmp_gt_i64_e32 vcc_lo, s[36:37], v[32:33]
	s_and_b32 s27, vcc_lo, s1
	s_delay_alu instid0(SALU_CYCLE_1)
	s_and_saveexec_b32 s26, s27
	s_cbranch_execz .LBB103_6
; %bb.10:                               ;   in Loop: Header=BB103_7 Depth=2
	flat_load_u16 v26, v[22:23]
	s_wait_loadcnt_dscnt 0x0
	v_cvt_f32_f16_e32 v27, v26
	s_branch .LBB103_6
.LBB103_11:                             ;   in Loop: Header=BB103_4 Depth=1
	s_wait_loadcnt 0x0
	v_add_nc_u64_e32 v[20:21], s[18:19], v[20:21]
	s_and_not1_b32 vcc_lo, exec_lo, s39
	s_cbranch_vccnz .LBB103_16
; %bb.12:                               ;   in Loop: Header=BB103_4 Depth=1
	s_and_saveexec_b32 s24, s2
	s_cbranch_execz .LBB103_23
; %bb.13:                               ;   in Loop: Header=BB103_4 Depth=1
	s_delay_alu instid0(VALU_DEP_1) | instskip(NEXT) | instid1(VALU_DEP_1)
	v_lshl_add_u64 v[22:23], v[6:7], 1, v[20:21]
	v_lshl_add_u64 v[24:25], v[4:5], 1, v[22:23]
	s_and_saveexec_b32 s25, s3
	s_cbranch_execnz .LBB103_17
; %bb.14:                               ;   in Loop: Header=BB103_4 Depth=1
	s_or_b32 exec_lo, exec_lo, s25
	s_and_saveexec_b32 s25, s4
	s_cbranch_execnz .LBB103_18
.LBB103_15:                             ;   in Loop: Header=BB103_4 Depth=1
	s_or_b32 exec_lo, exec_lo, s25
	s_delay_alu instid0(SALU_CYCLE_1)
	s_and_b32 exec_lo, exec_lo, s5
	s_cbranch_execnz .LBB103_19
	s_branch .LBB103_23
.LBB103_16:                             ;   in Loop: Header=BB103_4 Depth=1
	s_branch .LBB103_24
.LBB103_17:                             ;   in Loop: Header=BB103_4 Depth=1
	v_fma_mixlo_f16 v26, s38, v18, 0
	flat_store_b16 v[24:25], v26
	s_wait_xcnt 0x0
	s_or_b32 exec_lo, exec_lo, s25
	s_and_saveexec_b32 s25, s4
	s_cbranch_execz .LBB103_15
.LBB103_18:                             ;   in Loop: Header=BB103_4 Depth=1
	v_fma_mixlo_f16 v26, s38, v19, 0
	flat_store_b16 v[24:25], v26 offset:32
	s_wait_xcnt 0x0
	s_or_b32 exec_lo, exec_lo, s25
	s_delay_alu instid0(SALU_CYCLE_1)
	s_and_b32 exec_lo, exec_lo, s5
	s_cbranch_execz .LBB103_23
.LBB103_19:                             ;   in Loop: Header=BB103_4 Depth=1
	v_lshl_add_u64 v[22:23], s[6:7], 1, v[22:23]
	s_delay_alu instid0(VALU_DEP_1)
	v_lshl_add_u64 v[22:23], v[4:5], 1, v[22:23]
	s_and_saveexec_b32 s25, s3
	s_cbranch_execz .LBB103_21
; %bb.20:                               ;   in Loop: Header=BB103_4 Depth=1
	v_fma_mixlo_f16 v24, s38, v14, 0
	flat_store_b16 v[22:23], v24
.LBB103_21:                             ;   in Loop: Header=BB103_4 Depth=1
	s_wait_xcnt 0x0
	s_or_b32 exec_lo, exec_lo, s25
	s_delay_alu instid0(SALU_CYCLE_1)
	s_and_b32 exec_lo, exec_lo, s4
	s_cbranch_execz .LBB103_23
; %bb.22:                               ;   in Loop: Header=BB103_4 Depth=1
	v_fma_mixlo_f16 v24, s38, v15, 0
	flat_store_b16 v[22:23], v24 offset:32
.LBB103_23:                             ;   in Loop: Header=BB103_4 Depth=1
	s_wait_xcnt 0x0
	s_or_b32 exec_lo, exec_lo, s24
	s_cbranch_execnz .LBB103_3
.LBB103_24:                             ;   in Loop: Header=BB103_4 Depth=1
	s_and_saveexec_b32 s24, s2
	s_cbranch_execz .LBB103_2
; %bb.25:                               ;   in Loop: Header=BB103_4 Depth=1
	v_add_nc_u64_e32 v[22:23], s[20:21], v[16:17]
	v_lshlrev_b64_e32 v[16:17], 1, v[4:5]
	v_lshl_add_u64 v[20:21], v[6:7], 1, v[20:21]
	s_delay_alu instid0(VALU_DEP_3) | instskip(NEXT) | instid1(VALU_DEP_2)
	v_lshl_add_u64 v[22:23], v[8:9], 1, v[22:23]
	v_add_nc_u64_e32 v[24:25], v[20:21], v[16:17]
	s_delay_alu instid0(VALU_DEP_2)
	v_add_nc_u64_e32 v[26:27], v[22:23], v[16:17]
	s_and_saveexec_b32 s25, s3
	s_cbranch_execnz .LBB103_28
; %bb.26:                               ;   in Loop: Header=BB103_4 Depth=1
	s_or_b32 exec_lo, exec_lo, s25
	s_and_saveexec_b32 s25, s4
	s_cbranch_execnz .LBB103_29
.LBB103_27:                             ;   in Loop: Header=BB103_4 Depth=1
	s_or_b32 exec_lo, exec_lo, s25
	s_delay_alu instid0(SALU_CYCLE_1)
	s_and_b32 exec_lo, exec_lo, s5
	s_cbranch_execz .LBB103_2
	s_branch .LBB103_30
.LBB103_28:                             ;   in Loop: Header=BB103_4 Depth=1
	flat_load_u16 v33, v[26:27]
	v_mov_b64_e32 v[34:35], s[40:41]
	v_mov_b32_e32 v32, v18
	s_wait_loadcnt_dscnt 0x0
	v_cvt_f32_f16_e32 v33, v33
	s_delay_alu instid0(VALU_DEP_1) | instskip(NEXT) | instid1(VALU_DEP_1)
	v_pk_mul_f32 v[32:33], v[34:35], v[32:33]
	v_add_f32_e32 v18, v32, v33
	s_delay_alu instid0(VALU_DEP_1)
	v_cvt_f16_f32_e32 v18, v18
	flat_store_b16 v[24:25], v18
	s_wait_xcnt 0x0
	s_or_b32 exec_lo, exec_lo, s25
	s_and_saveexec_b32 s25, s4
	s_cbranch_execz .LBB103_27
.LBB103_29:                             ;   in Loop: Header=BB103_4 Depth=1
	flat_load_u16 v26, v[26:27] offset:32
	v_mov_b32_e32 v18, v19
	s_wait_loadcnt_dscnt 0x0
	v_cvt_f32_f16_e32 v19, v26
	s_wait_xcnt 0x0
	v_mov_b64_e32 v[26:27], s[40:41]
	s_delay_alu instid0(VALU_DEP_1) | instskip(NEXT) | instid1(VALU_DEP_1)
	v_pk_mul_f32 v[18:19], v[26:27], v[18:19]
	v_add_f32_e32 v18, v18, v19
	s_delay_alu instid0(VALU_DEP_1) | instskip(SKIP_3) | instid1(SALU_CYCLE_1)
	v_cvt_f16_f32_e32 v18, v18
	flat_store_b16 v[24:25], v18 offset:32
	s_wait_xcnt 0x0
	s_or_b32 exec_lo, exec_lo, s25
	s_and_b32 exec_lo, exec_lo, s5
	s_cbranch_execz .LBB103_2
.LBB103_30:                             ;   in Loop: Header=BB103_4 Depth=1
	v_lshl_add_u64 v[18:19], s[12:13], 1, v[22:23]
	v_lshl_add_u64 v[20:21], s[6:7], 1, v[20:21]
	s_delay_alu instid0(VALU_DEP_2) | instskip(NEXT) | instid1(VALU_DEP_2)
	v_add_nc_u64_e32 v[18:19], v[18:19], v[16:17]
	v_add_nc_u64_e32 v[16:17], v[20:21], v[16:17]
	s_and_saveexec_b32 s25, s3
	s_cbranch_execz .LBB103_32
; %bb.31:                               ;   in Loop: Header=BB103_4 Depth=1
	flat_load_u16 v21, v[18:19]
	v_mov_b64_e32 v[22:23], s[40:41]
	v_mov_b32_e32 v20, v14
	s_wait_loadcnt_dscnt 0x0
	v_cvt_f32_f16_e32 v21, v21
	s_delay_alu instid0(VALU_DEP_1) | instskip(NEXT) | instid1(VALU_DEP_1)
	v_pk_mul_f32 v[20:21], v[22:23], v[20:21]
	v_add_f32_e32 v14, v20, v21
	s_delay_alu instid0(VALU_DEP_1)
	v_cvt_f16_f32_e32 v14, v14
	flat_store_b16 v[16:17], v14
.LBB103_32:                             ;   in Loop: Header=BB103_4 Depth=1
	s_wait_xcnt 0x0
	s_or_b32 exec_lo, exec_lo, s25
	s_delay_alu instid0(SALU_CYCLE_1)
	s_and_b32 exec_lo, exec_lo, s4
	s_cbranch_execz .LBB103_2
; %bb.33:                               ;   in Loop: Header=BB103_4 Depth=1
	flat_load_u16 v18, v[18:19] offset:32
	v_mov_b32_e32 v14, v15
	s_wait_loadcnt_dscnt 0x0
	v_cvt_f32_f16_e32 v15, v18
	s_wait_xcnt 0x0
	v_mov_b64_e32 v[18:19], s[40:41]
	s_delay_alu instid0(VALU_DEP_1) | instskip(NEXT) | instid1(VALU_DEP_1)
	v_pk_mul_f32 v[14:15], v[18:19], v[14:15]
	v_add_f32_e32 v14, v14, v15
	s_delay_alu instid0(VALU_DEP_1)
	v_cvt_f16_f32_e32 v14, v14
	flat_store_b16 v[16:17], v14 offset:32
	s_branch .LBB103_2
.LBB103_34:
	s_endpgm
	.section	.rodata,"a",@progbits
	.p2align	6, 0x0
	.amdhsa_kernel _ZN12_GLOBAL__N_135rocblas_gemm_batched_general_kernelIfLi16ELi16ELi32ELi32ELi8ELi32ELi8ELi8ELi32ELc78ELc78EKPKDF16_S3_KPDF16_EEvlllT_PT11_llS8_llS6_PT12_llPT13_lli
		.amdhsa_group_segment_fixed_size 2048
		.amdhsa_private_segment_fixed_size 0
		.amdhsa_kernarg_size 140
		.amdhsa_user_sgpr_count 2
		.amdhsa_user_sgpr_dispatch_ptr 0
		.amdhsa_user_sgpr_queue_ptr 0
		.amdhsa_user_sgpr_kernarg_segment_ptr 1
		.amdhsa_user_sgpr_dispatch_id 0
		.amdhsa_user_sgpr_kernarg_preload_length 0
		.amdhsa_user_sgpr_kernarg_preload_offset 0
		.amdhsa_user_sgpr_private_segment_size 0
		.amdhsa_wavefront_size32 1
		.amdhsa_uses_dynamic_stack 0
		.amdhsa_enable_private_segment 0
		.amdhsa_system_sgpr_workgroup_id_x 1
		.amdhsa_system_sgpr_workgroup_id_y 1
		.amdhsa_system_sgpr_workgroup_id_z 1
		.amdhsa_system_sgpr_workgroup_info 0
		.amdhsa_system_vgpr_workitem_id 1
		.amdhsa_next_free_vgpr 56
		.amdhsa_next_free_sgpr 44
		.amdhsa_named_barrier_count 0
		.amdhsa_reserve_vcc 1
		.amdhsa_float_round_mode_32 0
		.amdhsa_float_round_mode_16_64 0
		.amdhsa_float_denorm_mode_32 3
		.amdhsa_float_denorm_mode_16_64 3
		.amdhsa_fp16_overflow 0
		.amdhsa_memory_ordered 1
		.amdhsa_forward_progress 1
		.amdhsa_inst_pref_size 15
		.amdhsa_round_robin_scheduling 0
		.amdhsa_exception_fp_ieee_invalid_op 0
		.amdhsa_exception_fp_denorm_src 0
		.amdhsa_exception_fp_ieee_div_zero 0
		.amdhsa_exception_fp_ieee_overflow 0
		.amdhsa_exception_fp_ieee_underflow 0
		.amdhsa_exception_fp_ieee_inexact 0
		.amdhsa_exception_int_div_zero 0
	.end_amdhsa_kernel
	.section	.text._ZN12_GLOBAL__N_135rocblas_gemm_batched_general_kernelIfLi16ELi16ELi32ELi32ELi8ELi32ELi8ELi8ELi32ELc78ELc78EKPKDF16_S3_KPDF16_EEvlllT_PT11_llS8_llS6_PT12_llPT13_lli,"axG",@progbits,_ZN12_GLOBAL__N_135rocblas_gemm_batched_general_kernelIfLi16ELi16ELi32ELi32ELi8ELi32ELi8ELi8ELi32ELc78ELc78EKPKDF16_S3_KPDF16_EEvlllT_PT11_llS8_llS6_PT12_llPT13_lli,comdat
.Lfunc_end103:
	.size	_ZN12_GLOBAL__N_135rocblas_gemm_batched_general_kernelIfLi16ELi16ELi32ELi32ELi8ELi32ELi8ELi8ELi32ELc78ELc78EKPKDF16_S3_KPDF16_EEvlllT_PT11_llS8_llS6_PT12_llPT13_lli, .Lfunc_end103-_ZN12_GLOBAL__N_135rocblas_gemm_batched_general_kernelIfLi16ELi16ELi32ELi32ELi8ELi32ELi8ELi8ELi32ELc78ELc78EKPKDF16_S3_KPDF16_EEvlllT_PT11_llS8_llS6_PT12_llPT13_lli
                                        ; -- End function
	.set _ZN12_GLOBAL__N_135rocblas_gemm_batched_general_kernelIfLi16ELi16ELi32ELi32ELi8ELi32ELi8ELi8ELi32ELc78ELc78EKPKDF16_S3_KPDF16_EEvlllT_PT11_llS8_llS6_PT12_llPT13_lli.num_vgpr, 56
	.set _ZN12_GLOBAL__N_135rocblas_gemm_batched_general_kernelIfLi16ELi16ELi32ELi32ELi8ELi32ELi8ELi8ELi32ELc78ELc78EKPKDF16_S3_KPDF16_EEvlllT_PT11_llS8_llS6_PT12_llPT13_lli.num_agpr, 0
	.set _ZN12_GLOBAL__N_135rocblas_gemm_batched_general_kernelIfLi16ELi16ELi32ELi32ELi8ELi32ELi8ELi8ELi32ELc78ELc78EKPKDF16_S3_KPDF16_EEvlllT_PT11_llS8_llS6_PT12_llPT13_lli.numbered_sgpr, 44
	.set _ZN12_GLOBAL__N_135rocblas_gemm_batched_general_kernelIfLi16ELi16ELi32ELi32ELi8ELi32ELi8ELi8ELi32ELc78ELc78EKPKDF16_S3_KPDF16_EEvlllT_PT11_llS8_llS6_PT12_llPT13_lli.num_named_barrier, 0
	.set _ZN12_GLOBAL__N_135rocblas_gemm_batched_general_kernelIfLi16ELi16ELi32ELi32ELi8ELi32ELi8ELi8ELi32ELc78ELc78EKPKDF16_S3_KPDF16_EEvlllT_PT11_llS8_llS6_PT12_llPT13_lli.private_seg_size, 0
	.set _ZN12_GLOBAL__N_135rocblas_gemm_batched_general_kernelIfLi16ELi16ELi32ELi32ELi8ELi32ELi8ELi8ELi32ELc78ELc78EKPKDF16_S3_KPDF16_EEvlllT_PT11_llS8_llS6_PT12_llPT13_lli.uses_vcc, 1
	.set _ZN12_GLOBAL__N_135rocblas_gemm_batched_general_kernelIfLi16ELi16ELi32ELi32ELi8ELi32ELi8ELi8ELi32ELc78ELc78EKPKDF16_S3_KPDF16_EEvlllT_PT11_llS8_llS6_PT12_llPT13_lli.uses_flat_scratch, 0
	.set _ZN12_GLOBAL__N_135rocblas_gemm_batched_general_kernelIfLi16ELi16ELi32ELi32ELi8ELi32ELi8ELi8ELi32ELc78ELc78EKPKDF16_S3_KPDF16_EEvlllT_PT11_llS8_llS6_PT12_llPT13_lli.has_dyn_sized_stack, 0
	.set _ZN12_GLOBAL__N_135rocblas_gemm_batched_general_kernelIfLi16ELi16ELi32ELi32ELi8ELi32ELi8ELi8ELi32ELc78ELc78EKPKDF16_S3_KPDF16_EEvlllT_PT11_llS8_llS6_PT12_llPT13_lli.has_recursion, 0
	.set _ZN12_GLOBAL__N_135rocblas_gemm_batched_general_kernelIfLi16ELi16ELi32ELi32ELi8ELi32ELi8ELi8ELi32ELc78ELc78EKPKDF16_S3_KPDF16_EEvlllT_PT11_llS8_llS6_PT12_llPT13_lli.has_indirect_call, 0
	.section	.AMDGPU.csdata,"",@progbits
; Kernel info:
; codeLenInByte = 1896
; TotalNumSgprs: 46
; NumVgprs: 56
; ScratchSize: 0
; MemoryBound: 0
; FloatMode: 240
; IeeeMode: 1
; LDSByteSize: 2048 bytes/workgroup (compile time only)
; SGPRBlocks: 0
; VGPRBlocks: 3
; NumSGPRsForWavesPerEU: 46
; NumVGPRsForWavesPerEU: 56
; NamedBarCnt: 0
; Occupancy: 16
; WaveLimiterHint : 1
; COMPUTE_PGM_RSRC2:SCRATCH_EN: 0
; COMPUTE_PGM_RSRC2:USER_SGPR: 2
; COMPUTE_PGM_RSRC2:TRAP_HANDLER: 0
; COMPUTE_PGM_RSRC2:TGID_X_EN: 1
; COMPUTE_PGM_RSRC2:TGID_Y_EN: 1
; COMPUTE_PGM_RSRC2:TGID_Z_EN: 1
; COMPUTE_PGM_RSRC2:TIDIG_COMP_CNT: 1
	.section	.text._ZN12_GLOBAL__N_135rocblas_gemm_batched_general_kernelIfLi16ELi16ELi32ELi32ELi8ELi32ELi8ELi8ELi32ELc84ELc78EKPKDF16_S3_KPDF16_EEvlllT_PT11_llS8_llS6_PT12_llPT13_lli,"axG",@progbits,_ZN12_GLOBAL__N_135rocblas_gemm_batched_general_kernelIfLi16ELi16ELi32ELi32ELi8ELi32ELi8ELi8ELi32ELc84ELc78EKPKDF16_S3_KPDF16_EEvlllT_PT11_llS8_llS6_PT12_llPT13_lli,comdat
	.globl	_ZN12_GLOBAL__N_135rocblas_gemm_batched_general_kernelIfLi16ELi16ELi32ELi32ELi8ELi32ELi8ELi8ELi32ELc84ELc78EKPKDF16_S3_KPDF16_EEvlllT_PT11_llS8_llS6_PT12_llPT13_lli ; -- Begin function _ZN12_GLOBAL__N_135rocblas_gemm_batched_general_kernelIfLi16ELi16ELi32ELi32ELi8ELi32ELi8ELi8ELi32ELc84ELc78EKPKDF16_S3_KPDF16_EEvlllT_PT11_llS8_llS6_PT12_llPT13_lli
	.p2align	8
	.type	_ZN12_GLOBAL__N_135rocblas_gemm_batched_general_kernelIfLi16ELi16ELi32ELi32ELi8ELi32ELi8ELi8ELi32ELc84ELc78EKPKDF16_S3_KPDF16_EEvlllT_PT11_llS8_llS6_PT12_llPT13_lli,@function
_ZN12_GLOBAL__N_135rocblas_gemm_batched_general_kernelIfLi16ELi16ELi32ELi32ELi8ELi32ELi8ELi8ELi32ELc84ELc78EKPKDF16_S3_KPDF16_EEvlllT_PT11_llS8_llS6_PT12_llPT13_lli: ; @_ZN12_GLOBAL__N_135rocblas_gemm_batched_general_kernelIfLi16ELi16ELi32ELi32ELi8ELi32ELi8ELi8ELi32ELc84ELc78EKPKDF16_S3_KPDF16_EEvlllT_PT11_llS8_llS6_PT12_llPT13_lli
; %bb.0:
	s_load_b32 s33, s[0:1], 0x88
	s_bfe_u32 s2, ttmp6, 0x40014
	s_lshr_b32 s3, ttmp7, 16
	s_add_co_i32 s2, s2, 1
	s_bfe_u32 s5, ttmp6, 0x40008
	s_mul_i32 s4, s3, s2
	s_getreg_b32 s2, hwreg(HW_REG_IB_STS2, 6, 4)
	s_add_co_i32 s5, s5, s4
	s_cmp_eq_u32 s2, 0
	s_mov_b32 s35, 0
	s_cselect_b32 s34, s3, s5
	s_wait_kmcnt 0x0
	s_cmp_ge_i32 s34, s33
	s_cbranch_scc1 .LBB104_34
; %bb.1:
	v_bfe_u32 v10, v0, 10, 10
	v_and_b32_e32 v12, 0x3ff, v0
	s_bfe_u32 s16, ttmp6, 0x4000c
	s_bfe_u32 s17, ttmp6, 0x40010
	s_clause 0x3
	s_load_b128 s[4:7], s[0:1], 0x0
	s_load_b256 s[8:15], s[0:1], 0x20
	s_load_b128 s[24:27], s[0:1], 0x40
	s_load_b32 s41, s[0:1], 0x50
	s_add_co_i32 s16, s16, 1
	s_and_b32 s18, ttmp7, 0xffff
	s_add_co_i32 s17, s17, 1
	v_lshl_add_u32 v3, v10, 4, v12
	v_mov_b32_e32 v1, 0
	s_and_b32 s3, ttmp6, 15
	s_mul_i32 s16, ttmp9, s16
	s_mul_i32 s17, s18, s17
	s_bfe_u32 s19, ttmp6, 0x40004
	s_add_co_i32 s3, s3, s16
	s_add_co_i32 s19, s19, s17
	s_cmp_eq_u32 s2, 0
	v_dual_mov_b32 v7, v1 :: v_dual_lshrrev_b32 v6, 3, v3
	v_and_b32_e32 v8, 31, v3
	s_cselect_b32 s16, s18, s19
	s_cselect_b32 s2, ttmp9, s3
	s_lshl_b32 s42, s16, 5
	s_mov_b32 s43, s35
	s_ashr_i32 s3, s2, 31
	v_add_nc_u64_e32 v[14:15], s[42:43], v[6:7]
	s_clause 0x1
	s_load_b128 s[28:31], s[0:1], 0x78
	s_load_b256 s[16:23], s[0:1], 0x58
	s_lshl_b64 s[2:3], s[2:3], 5
	v_dual_mov_b32 v11, v1 :: v_dual_bitop2_b32 v2, 7, v0 bitop3:0x40
	v_dual_mov_b32 v5, s3 :: v_dual_bitop2_b32 v4, s2, v8 bitop3:0x54
	s_wait_kmcnt 0x0
	v_mul_u64_e32 v[16:17], s[24:25], v[14:15]
	s_delay_alu instid0(VALU_DEP_3)
	v_add_nc_u64_e32 v[20:21], s[42:43], v[10:11]
	v_dual_mov_b32 v13, v1 :: v_dual_lshrrev_b32 v0, 5, v3
	v_mul_u64_e32 v[18:19], s[10:11], v[4:5]
	v_dual_lshlrev_b32 v7, 2, v2 :: v_dual_mov_b32 v3, v1
	s_load_b96 s[36:38], s[0:1], 0x10
	s_wait_xcnt 0x0
	v_cmp_gt_i64_e64 s0, s[4:5], v[4:5]
	v_lshlrev_b32_e32 v11, 2, v8
	v_add_nc_u64_e32 v[4:5], s[2:3], v[12:13]
	v_lshl_or_b32 v13, v6, 5, v7
	v_cmp_gt_i64_e64 s1, s[6:7], v[14:15]
	v_mul_u64_e32 v[6:7], s[28:29], v[20:21]
	v_mul_u64_e32 v[8:9], s[18:19], v[20:21]
	s_cmp_eq_f32 s41, 0
	v_add_nc_u32_e32 v29, 0x400, v13
	v_add_nc_u64_e32 v[14:15], 16, v[4:5]
	v_lshlrev_b32_e32 v30, 2, v12
	s_cselect_b32 s24, -1, 0
	s_lshl_b64 s[10:11], s[26:27], 1
	v_lshl_add_u32 v31, v10, 5, 0x400
	v_cmp_gt_i64_e64 s3, s[4:5], v[4:5]
	v_cmp_gt_i64_e64 s2, s[6:7], v[20:21]
	;; [unrolled: 1-line block ×3, first 2 shown]
	v_lshlrev_b32_e32 v14, 1, v2
	v_lshl_or_b32 v28, v0, 7, v11
	v_add_nc_u64_e32 v[10:11], 16, v[20:21]
	v_mov_b32_e32 v15, v1
	s_wait_kmcnt 0x0
	v_cmp_gt_i64_e64 s25, s[36:37], 0
	s_mov_b32 s40, s38
	v_lshl_add_u64 v[12:13], v[16:17], 1, s[10:11]
	s_lshl_b64 s[10:11], s[12:13], 1
	v_cmp_gt_i64_e64 s5, s[6:7], v[10:11]
	s_lshl_b64 s[6:7], s[28:29], 4
	v_lshl_add_u64 v[16:17], v[18:19], 1, s[10:11]
	v_dual_mov_b32 v19, v1 :: v_dual_lshlrev_b32 v18, 1, v0
	v_add_nc_u64_e32 v[10:11], v[12:13], v[14:15]
	s_lshl_b64 s[10:11], s[18:19], 4
	s_lshl_b64 s[12:13], s[30:31], 1
	;; [unrolled: 1-line block ×3, first 2 shown]
	v_add_nc_u64_e32 v[12:13], v[16:17], v[18:19]
	s_branch .LBB104_4
.LBB104_2:                              ;   in Loop: Header=BB104_4 Depth=1
	s_wait_xcnt 0x0
	s_or_b32 exec_lo, exec_lo, s20
.LBB104_3:                              ;   in Loop: Header=BB104_4 Depth=1
	s_add_co_i32 s34, s34, 0x10000
	s_delay_alu instid0(SALU_CYCLE_1)
	s_cmp_lt_i32 s34, s33
	s_cbranch_scc0 .LBB104_34
.LBB104_4:                              ; =>This Loop Header: Depth=1
                                        ;     Child Loop BB104_7 Depth 2
	v_dual_mov_b32 v14, s34 :: v_dual_mov_b32 v19, 0
	v_dual_mov_b32 v18, 0 :: v_dual_mov_b32 v15, 0
	s_and_not1_b32 vcc_lo, exec_lo, s25
	s_clause 0x1
	global_load_b64 v[16:17], v14, s[16:17] scale_offset
	global_load_b64 v[20:21], v14, s[22:23] scale_offset
	s_wait_xcnt 0x0
	v_mov_b32_e32 v14, 0
	s_cbranch_vccnz .LBB104_11
; %bb.5:                                ;   in Loop: Header=BB104_4 Depth=1
	s_lshl_b64 s[20:21], s[34:35], 3
	v_mov_b32_e32 v18, 0
	s_add_nc_u64 s[26:27], s[14:15], s[20:21]
	s_add_nc_u64 s[20:21], s[8:9], s[20:21]
	s_clause 0x1
	global_load_b64 v[14:15], v1, s[26:27]
	global_load_b64 v[24:25], v1, s[20:21]
	s_wait_xcnt 0x0
	s_mov_b64 s[20:21], 0
	v_mov_b32_e32 v19, v18
	s_wait_loadcnt 0x1
	v_add_nc_u64_e32 v[22:23], v[14:15], v[10:11]
	s_wait_loadcnt 0x0
	v_add_nc_u64_e32 v[24:25], v[24:25], v[12:13]
	v_dual_mov_b32 v14, v18 :: v_dual_mov_b32 v15, v18
	s_branch .LBB104_7
.LBB104_6:                              ;   in Loop: Header=BB104_7 Depth=2
	s_wait_xcnt 0x0
	s_or_b32 exec_lo, exec_lo, s26
	ds_store_b32 v29, v27
	s_wait_dscnt 0x0
	s_barrier_signal -1
	s_barrier_wait -1
	ds_load_b128 v[32:35], v31
	ds_load_2addr_b32 v[26:27], v30 offset1:16
	ds_load_b128 v[36:39], v31 offset:512
	ds_load_2addr_b32 v[48:49], v30 offset0:32 offset1:48
	ds_load_2addr_b32 v[50:51], v30 offset0:64 offset1:80
	ds_load_2addr_b32 v[52:53], v30 offset0:96 offset1:112
	ds_load_b128 v[40:43], v31 offset:16
	ds_load_2addr_b32 v[54:55], v30 offset0:128 offset1:144
	ds_load_b128 v[44:47], v31 offset:528
	s_add_nc_u64 s[20:21], s[20:21], 8
	v_add_nc_u64_e32 v[22:23], 16, v[22:23]
	v_cmp_lt_i64_e64 s26, s[20:21], s[36:37]
	v_add_nc_u64_e32 v[24:25], 16, v[24:25]
	s_and_b32 vcc_lo, exec_lo, s26
	s_wait_dscnt 0x7
	v_pk_fma_f32 v[18:19], v[26:27], v[32:33], v[18:19] op_sel_hi:[1,0,1]
	s_wait_dscnt 0x6
	v_pk_fma_f32 v[14:15], v[26:27], v[36:37], v[14:15] op_sel_hi:[1,0,1]
	ds_load_2addr_b32 v[26:27], v30 offset0:160 offset1:176
	s_wait_dscnt 0x6
	v_pk_fma_f32 v[18:19], v[48:49], v[32:33], v[18:19] op_sel:[0,1,0]
	v_pk_fma_f32 v[14:15], v[48:49], v[36:37], v[14:15] op_sel:[0,1,0]
	ds_load_2addr_b32 v[32:33], v30 offset0:192 offset1:208
	v_dual_mov_b32 v36, v35 :: v_dual_mov_b32 v48, v39
	s_wait_dscnt 0x6
	v_pk_fma_f32 v[18:19], v[50:51], v[34:35], v[18:19] op_sel_hi:[1,0,1]
	v_pk_fma_f32 v[14:15], v[50:51], v[38:39], v[14:15] op_sel_hi:[1,0,1]
	ds_load_2addr_b32 v[34:35], v30 offset0:224 offset1:240
	s_wait_dscnt 0x0
	s_barrier_signal -1
	v_pk_fma_f32 v[18:19], v[52:53], v[36:37], v[18:19] op_sel_hi:[1,0,1]
	v_pk_fma_f32 v[14:15], v[52:53], v[48:49], v[14:15] op_sel_hi:[1,0,1]
	s_barrier_wait -1
	v_mov_b32_e32 v36, v47
	s_delay_alu instid0(VALU_DEP_3) | instskip(NEXT) | instid1(VALU_DEP_3)
	v_pk_fma_f32 v[18:19], v[54:55], v[40:41], v[18:19] op_sel_hi:[1,0,1]
	v_pk_fma_f32 v[14:15], v[54:55], v[44:45], v[14:15] op_sel_hi:[1,0,1]
	s_delay_alu instid0(VALU_DEP_2) | instskip(NEXT) | instid1(VALU_DEP_2)
	v_pk_fma_f32 v[18:19], v[26:27], v[40:41], v[18:19] op_sel:[0,1,0]
	v_pk_fma_f32 v[14:15], v[26:27], v[44:45], v[14:15] op_sel:[0,1,0]
	v_mov_b32_e32 v26, v43
	s_delay_alu instid0(VALU_DEP_3) | instskip(NEXT) | instid1(VALU_DEP_3)
	v_pk_fma_f32 v[18:19], v[32:33], v[42:43], v[18:19] op_sel_hi:[1,0,1]
	v_pk_fma_f32 v[14:15], v[32:33], v[46:47], v[14:15] op_sel_hi:[1,0,1]
	s_delay_alu instid0(VALU_DEP_2) | instskip(NEXT) | instid1(VALU_DEP_2)
	v_pk_fma_f32 v[18:19], v[34:35], v[26:27], v[18:19] op_sel_hi:[1,0,1]
	v_pk_fma_f32 v[14:15], v[34:35], v[36:37], v[14:15] op_sel_hi:[1,0,1]
	s_cbranch_vccz .LBB104_11
.LBB104_7:                              ;   Parent Loop BB104_4 Depth=1
                                        ; =>  This Inner Loop Header: Depth=2
	v_add_nc_u64_e32 v[26:27], s[20:21], v[0:1]
	s_delay_alu instid0(VALU_DEP_1) | instskip(SKIP_2) | instid1(SALU_CYCLE_1)
	v_cmp_gt_i64_e32 vcc_lo, s[36:37], v[26:27]
	v_mov_b32_e32 v26, 0
	s_and_b32 s27, s0, vcc_lo
	s_and_saveexec_b32 s26, s27
	s_cbranch_execz .LBB104_9
; %bb.8:                                ;   in Loop: Header=BB104_7 Depth=2
	flat_load_u16 v26, v[24:25]
	s_wait_loadcnt_dscnt 0x0
	v_cvt_f32_f16_e32 v26, v26
.LBB104_9:                              ;   in Loop: Header=BB104_7 Depth=2
	s_wait_xcnt 0x0
	s_or_b32 exec_lo, exec_lo, s26
	v_add_nc_u64_e32 v[32:33], s[20:21], v[2:3]
	v_mov_b32_e32 v27, 0
	ds_store_b32 v28, v26
	v_cmp_gt_i64_e32 vcc_lo, s[36:37], v[32:33]
	s_and_b32 s27, vcc_lo, s1
	s_delay_alu instid0(SALU_CYCLE_1)
	s_and_saveexec_b32 s26, s27
	s_cbranch_execz .LBB104_6
; %bb.10:                               ;   in Loop: Header=BB104_7 Depth=2
	flat_load_u16 v26, v[22:23]
	s_wait_loadcnt_dscnt 0x0
	v_cvt_f32_f16_e32 v27, v26
	s_branch .LBB104_6
.LBB104_11:                             ;   in Loop: Header=BB104_4 Depth=1
	s_wait_loadcnt 0x0
	v_add_nc_u64_e32 v[20:21], s[12:13], v[20:21]
	s_and_not1_b32 vcc_lo, exec_lo, s24
	s_cbranch_vccnz .LBB104_16
; %bb.12:                               ;   in Loop: Header=BB104_4 Depth=1
	s_and_saveexec_b32 s20, s2
	s_cbranch_execz .LBB104_23
; %bb.13:                               ;   in Loop: Header=BB104_4 Depth=1
	s_delay_alu instid0(VALU_DEP_1) | instskip(NEXT) | instid1(VALU_DEP_1)
	v_lshl_add_u64 v[22:23], v[6:7], 1, v[20:21]
	v_lshl_add_u64 v[24:25], v[4:5], 1, v[22:23]
	s_and_saveexec_b32 s21, s3
	s_cbranch_execnz .LBB104_17
; %bb.14:                               ;   in Loop: Header=BB104_4 Depth=1
	s_or_b32 exec_lo, exec_lo, s21
	s_and_saveexec_b32 s21, s4
	s_cbranch_execnz .LBB104_18
.LBB104_15:                             ;   in Loop: Header=BB104_4 Depth=1
	s_or_b32 exec_lo, exec_lo, s21
	s_delay_alu instid0(SALU_CYCLE_1)
	s_and_b32 exec_lo, exec_lo, s5
	s_cbranch_execnz .LBB104_19
	s_branch .LBB104_23
.LBB104_16:                             ;   in Loop: Header=BB104_4 Depth=1
	s_branch .LBB104_24
.LBB104_17:                             ;   in Loop: Header=BB104_4 Depth=1
	v_fma_mixlo_f16 v26, s38, v18, 0
	flat_store_b16 v[24:25], v26
	s_wait_xcnt 0x0
	s_or_b32 exec_lo, exec_lo, s21
	s_and_saveexec_b32 s21, s4
	s_cbranch_execz .LBB104_15
.LBB104_18:                             ;   in Loop: Header=BB104_4 Depth=1
	v_fma_mixlo_f16 v26, s38, v19, 0
	flat_store_b16 v[24:25], v26 offset:32
	s_wait_xcnt 0x0
	s_or_b32 exec_lo, exec_lo, s21
	s_delay_alu instid0(SALU_CYCLE_1)
	s_and_b32 exec_lo, exec_lo, s5
	s_cbranch_execz .LBB104_23
.LBB104_19:                             ;   in Loop: Header=BB104_4 Depth=1
	v_lshl_add_u64 v[22:23], s[6:7], 1, v[22:23]
	s_delay_alu instid0(VALU_DEP_1)
	v_lshl_add_u64 v[22:23], v[4:5], 1, v[22:23]
	s_and_saveexec_b32 s21, s3
	s_cbranch_execz .LBB104_21
; %bb.20:                               ;   in Loop: Header=BB104_4 Depth=1
	v_fma_mixlo_f16 v24, s38, v14, 0
	flat_store_b16 v[22:23], v24
.LBB104_21:                             ;   in Loop: Header=BB104_4 Depth=1
	s_wait_xcnt 0x0
	s_or_b32 exec_lo, exec_lo, s21
	s_delay_alu instid0(SALU_CYCLE_1)
	s_and_b32 exec_lo, exec_lo, s4
	s_cbranch_execz .LBB104_23
; %bb.22:                               ;   in Loop: Header=BB104_4 Depth=1
	v_fma_mixlo_f16 v24, s38, v15, 0
	flat_store_b16 v[22:23], v24 offset:32
.LBB104_23:                             ;   in Loop: Header=BB104_4 Depth=1
	s_wait_xcnt 0x0
	s_or_b32 exec_lo, exec_lo, s20
	s_cbranch_execnz .LBB104_3
.LBB104_24:                             ;   in Loop: Header=BB104_4 Depth=1
	s_and_saveexec_b32 s20, s2
	s_cbranch_execz .LBB104_2
; %bb.25:                               ;   in Loop: Header=BB104_4 Depth=1
	v_add_nc_u64_e32 v[22:23], s[18:19], v[16:17]
	v_lshlrev_b64_e32 v[16:17], 1, v[4:5]
	v_lshl_add_u64 v[20:21], v[6:7], 1, v[20:21]
	s_delay_alu instid0(VALU_DEP_3) | instskip(NEXT) | instid1(VALU_DEP_2)
	v_lshl_add_u64 v[22:23], v[8:9], 1, v[22:23]
	v_add_nc_u64_e32 v[24:25], v[20:21], v[16:17]
	s_delay_alu instid0(VALU_DEP_2)
	v_add_nc_u64_e32 v[26:27], v[22:23], v[16:17]
	s_and_saveexec_b32 s21, s3
	s_cbranch_execnz .LBB104_28
; %bb.26:                               ;   in Loop: Header=BB104_4 Depth=1
	s_or_b32 exec_lo, exec_lo, s21
	s_and_saveexec_b32 s21, s4
	s_cbranch_execnz .LBB104_29
.LBB104_27:                             ;   in Loop: Header=BB104_4 Depth=1
	s_or_b32 exec_lo, exec_lo, s21
	s_delay_alu instid0(SALU_CYCLE_1)
	s_and_b32 exec_lo, exec_lo, s5
	s_cbranch_execz .LBB104_2
	s_branch .LBB104_30
.LBB104_28:                             ;   in Loop: Header=BB104_4 Depth=1
	flat_load_u16 v33, v[26:27]
	v_mov_b64_e32 v[34:35], s[40:41]
	v_mov_b32_e32 v32, v18
	s_wait_loadcnt_dscnt 0x0
	v_cvt_f32_f16_e32 v33, v33
	s_delay_alu instid0(VALU_DEP_1) | instskip(NEXT) | instid1(VALU_DEP_1)
	v_pk_mul_f32 v[32:33], v[34:35], v[32:33]
	v_add_f32_e32 v18, v32, v33
	s_delay_alu instid0(VALU_DEP_1)
	v_cvt_f16_f32_e32 v18, v18
	flat_store_b16 v[24:25], v18
	s_wait_xcnt 0x0
	s_or_b32 exec_lo, exec_lo, s21
	s_and_saveexec_b32 s21, s4
	s_cbranch_execz .LBB104_27
.LBB104_29:                             ;   in Loop: Header=BB104_4 Depth=1
	flat_load_u16 v26, v[26:27] offset:32
	v_mov_b32_e32 v18, v19
	s_wait_loadcnt_dscnt 0x0
	v_cvt_f32_f16_e32 v19, v26
	s_wait_xcnt 0x0
	v_mov_b64_e32 v[26:27], s[40:41]
	s_delay_alu instid0(VALU_DEP_1) | instskip(NEXT) | instid1(VALU_DEP_1)
	v_pk_mul_f32 v[18:19], v[26:27], v[18:19]
	v_add_f32_e32 v18, v18, v19
	s_delay_alu instid0(VALU_DEP_1) | instskip(SKIP_3) | instid1(SALU_CYCLE_1)
	v_cvt_f16_f32_e32 v18, v18
	flat_store_b16 v[24:25], v18 offset:32
	s_wait_xcnt 0x0
	s_or_b32 exec_lo, exec_lo, s21
	s_and_b32 exec_lo, exec_lo, s5
	s_cbranch_execz .LBB104_2
.LBB104_30:                             ;   in Loop: Header=BB104_4 Depth=1
	v_lshl_add_u64 v[18:19], s[10:11], 1, v[22:23]
	v_lshl_add_u64 v[20:21], s[6:7], 1, v[20:21]
	s_delay_alu instid0(VALU_DEP_2) | instskip(NEXT) | instid1(VALU_DEP_2)
	v_add_nc_u64_e32 v[18:19], v[18:19], v[16:17]
	v_add_nc_u64_e32 v[16:17], v[20:21], v[16:17]
	s_and_saveexec_b32 s21, s3
	s_cbranch_execz .LBB104_32
; %bb.31:                               ;   in Loop: Header=BB104_4 Depth=1
	flat_load_u16 v21, v[18:19]
	v_mov_b64_e32 v[22:23], s[40:41]
	v_mov_b32_e32 v20, v14
	s_wait_loadcnt_dscnt 0x0
	v_cvt_f32_f16_e32 v21, v21
	s_delay_alu instid0(VALU_DEP_1) | instskip(NEXT) | instid1(VALU_DEP_1)
	v_pk_mul_f32 v[20:21], v[22:23], v[20:21]
	v_add_f32_e32 v14, v20, v21
	s_delay_alu instid0(VALU_DEP_1)
	v_cvt_f16_f32_e32 v14, v14
	flat_store_b16 v[16:17], v14
.LBB104_32:                             ;   in Loop: Header=BB104_4 Depth=1
	s_wait_xcnt 0x0
	s_or_b32 exec_lo, exec_lo, s21
	s_delay_alu instid0(SALU_CYCLE_1)
	s_and_b32 exec_lo, exec_lo, s4
	s_cbranch_execz .LBB104_2
; %bb.33:                               ;   in Loop: Header=BB104_4 Depth=1
	flat_load_u16 v18, v[18:19] offset:32
	v_mov_b32_e32 v14, v15
	s_wait_loadcnt_dscnt 0x0
	v_cvt_f32_f16_e32 v15, v18
	s_wait_xcnt 0x0
	v_mov_b64_e32 v[18:19], s[40:41]
	s_delay_alu instid0(VALU_DEP_1) | instskip(NEXT) | instid1(VALU_DEP_1)
	v_pk_mul_f32 v[14:15], v[18:19], v[14:15]
	v_add_f32_e32 v14, v14, v15
	s_delay_alu instid0(VALU_DEP_1)
	v_cvt_f16_f32_e32 v14, v14
	flat_store_b16 v[16:17], v14 offset:32
	s_branch .LBB104_2
.LBB104_34:
	s_endpgm
	.section	.rodata,"a",@progbits
	.p2align	6, 0x0
	.amdhsa_kernel _ZN12_GLOBAL__N_135rocblas_gemm_batched_general_kernelIfLi16ELi16ELi32ELi32ELi8ELi32ELi8ELi8ELi32ELc84ELc78EKPKDF16_S3_KPDF16_EEvlllT_PT11_llS8_llS6_PT12_llPT13_lli
		.amdhsa_group_segment_fixed_size 2048
		.amdhsa_private_segment_fixed_size 0
		.amdhsa_kernarg_size 140
		.amdhsa_user_sgpr_count 2
		.amdhsa_user_sgpr_dispatch_ptr 0
		.amdhsa_user_sgpr_queue_ptr 0
		.amdhsa_user_sgpr_kernarg_segment_ptr 1
		.amdhsa_user_sgpr_dispatch_id 0
		.amdhsa_user_sgpr_kernarg_preload_length 0
		.amdhsa_user_sgpr_kernarg_preload_offset 0
		.amdhsa_user_sgpr_private_segment_size 0
		.amdhsa_wavefront_size32 1
		.amdhsa_uses_dynamic_stack 0
		.amdhsa_enable_private_segment 0
		.amdhsa_system_sgpr_workgroup_id_x 1
		.amdhsa_system_sgpr_workgroup_id_y 1
		.amdhsa_system_sgpr_workgroup_id_z 1
		.amdhsa_system_sgpr_workgroup_info 0
		.amdhsa_system_vgpr_workitem_id 1
		.amdhsa_next_free_vgpr 56
		.amdhsa_next_free_sgpr 44
		.amdhsa_named_barrier_count 0
		.amdhsa_reserve_vcc 1
		.amdhsa_float_round_mode_32 0
		.amdhsa_float_round_mode_16_64 0
		.amdhsa_float_denorm_mode_32 3
		.amdhsa_float_denorm_mode_16_64 3
		.amdhsa_fp16_overflow 0
		.amdhsa_memory_ordered 1
		.amdhsa_forward_progress 1
		.amdhsa_inst_pref_size 15
		.amdhsa_round_robin_scheduling 0
		.amdhsa_exception_fp_ieee_invalid_op 0
		.amdhsa_exception_fp_denorm_src 0
		.amdhsa_exception_fp_ieee_div_zero 0
		.amdhsa_exception_fp_ieee_overflow 0
		.amdhsa_exception_fp_ieee_underflow 0
		.amdhsa_exception_fp_ieee_inexact 0
		.amdhsa_exception_int_div_zero 0
	.end_amdhsa_kernel
	.section	.text._ZN12_GLOBAL__N_135rocblas_gemm_batched_general_kernelIfLi16ELi16ELi32ELi32ELi8ELi32ELi8ELi8ELi32ELc84ELc78EKPKDF16_S3_KPDF16_EEvlllT_PT11_llS8_llS6_PT12_llPT13_lli,"axG",@progbits,_ZN12_GLOBAL__N_135rocblas_gemm_batched_general_kernelIfLi16ELi16ELi32ELi32ELi8ELi32ELi8ELi8ELi32ELc84ELc78EKPKDF16_S3_KPDF16_EEvlllT_PT11_llS8_llS6_PT12_llPT13_lli,comdat
.Lfunc_end104:
	.size	_ZN12_GLOBAL__N_135rocblas_gemm_batched_general_kernelIfLi16ELi16ELi32ELi32ELi8ELi32ELi8ELi8ELi32ELc84ELc78EKPKDF16_S3_KPDF16_EEvlllT_PT11_llS8_llS6_PT12_llPT13_lli, .Lfunc_end104-_ZN12_GLOBAL__N_135rocblas_gemm_batched_general_kernelIfLi16ELi16ELi32ELi32ELi8ELi32ELi8ELi8ELi32ELc84ELc78EKPKDF16_S3_KPDF16_EEvlllT_PT11_llS8_llS6_PT12_llPT13_lli
                                        ; -- End function
	.set _ZN12_GLOBAL__N_135rocblas_gemm_batched_general_kernelIfLi16ELi16ELi32ELi32ELi8ELi32ELi8ELi8ELi32ELc84ELc78EKPKDF16_S3_KPDF16_EEvlllT_PT11_llS8_llS6_PT12_llPT13_lli.num_vgpr, 56
	.set _ZN12_GLOBAL__N_135rocblas_gemm_batched_general_kernelIfLi16ELi16ELi32ELi32ELi8ELi32ELi8ELi8ELi32ELc84ELc78EKPKDF16_S3_KPDF16_EEvlllT_PT11_llS8_llS6_PT12_llPT13_lli.num_agpr, 0
	.set _ZN12_GLOBAL__N_135rocblas_gemm_batched_general_kernelIfLi16ELi16ELi32ELi32ELi8ELi32ELi8ELi8ELi32ELc84ELc78EKPKDF16_S3_KPDF16_EEvlllT_PT11_llS8_llS6_PT12_llPT13_lli.numbered_sgpr, 44
	.set _ZN12_GLOBAL__N_135rocblas_gemm_batched_general_kernelIfLi16ELi16ELi32ELi32ELi8ELi32ELi8ELi8ELi32ELc84ELc78EKPKDF16_S3_KPDF16_EEvlllT_PT11_llS8_llS6_PT12_llPT13_lli.num_named_barrier, 0
	.set _ZN12_GLOBAL__N_135rocblas_gemm_batched_general_kernelIfLi16ELi16ELi32ELi32ELi8ELi32ELi8ELi8ELi32ELc84ELc78EKPKDF16_S3_KPDF16_EEvlllT_PT11_llS8_llS6_PT12_llPT13_lli.private_seg_size, 0
	.set _ZN12_GLOBAL__N_135rocblas_gemm_batched_general_kernelIfLi16ELi16ELi32ELi32ELi8ELi32ELi8ELi8ELi32ELc84ELc78EKPKDF16_S3_KPDF16_EEvlllT_PT11_llS8_llS6_PT12_llPT13_lli.uses_vcc, 1
	.set _ZN12_GLOBAL__N_135rocblas_gemm_batched_general_kernelIfLi16ELi16ELi32ELi32ELi8ELi32ELi8ELi8ELi32ELc84ELc78EKPKDF16_S3_KPDF16_EEvlllT_PT11_llS8_llS6_PT12_llPT13_lli.uses_flat_scratch, 0
	.set _ZN12_GLOBAL__N_135rocblas_gemm_batched_general_kernelIfLi16ELi16ELi32ELi32ELi8ELi32ELi8ELi8ELi32ELc84ELc78EKPKDF16_S3_KPDF16_EEvlllT_PT11_llS8_llS6_PT12_llPT13_lli.has_dyn_sized_stack, 0
	.set _ZN12_GLOBAL__N_135rocblas_gemm_batched_general_kernelIfLi16ELi16ELi32ELi32ELi8ELi32ELi8ELi8ELi32ELc84ELc78EKPKDF16_S3_KPDF16_EEvlllT_PT11_llS8_llS6_PT12_llPT13_lli.has_recursion, 0
	.set _ZN12_GLOBAL__N_135rocblas_gemm_batched_general_kernelIfLi16ELi16ELi32ELi32ELi8ELi32ELi8ELi8ELi32ELc84ELc78EKPKDF16_S3_KPDF16_EEvlllT_PT11_llS8_llS6_PT12_llPT13_lli.has_indirect_call, 0
	.section	.AMDGPU.csdata,"",@progbits
; Kernel info:
; codeLenInByte = 1880
; TotalNumSgprs: 46
; NumVgprs: 56
; ScratchSize: 0
; MemoryBound: 0
; FloatMode: 240
; IeeeMode: 1
; LDSByteSize: 2048 bytes/workgroup (compile time only)
; SGPRBlocks: 0
; VGPRBlocks: 3
; NumSGPRsForWavesPerEU: 46
; NumVGPRsForWavesPerEU: 56
; NamedBarCnt: 0
; Occupancy: 16
; WaveLimiterHint : 1
; COMPUTE_PGM_RSRC2:SCRATCH_EN: 0
; COMPUTE_PGM_RSRC2:USER_SGPR: 2
; COMPUTE_PGM_RSRC2:TRAP_HANDLER: 0
; COMPUTE_PGM_RSRC2:TGID_X_EN: 1
; COMPUTE_PGM_RSRC2:TGID_Y_EN: 1
; COMPUTE_PGM_RSRC2:TGID_Z_EN: 1
; COMPUTE_PGM_RSRC2:TIDIG_COMP_CNT: 1
	.section	.text._ZN12_GLOBAL__N_135rocblas_gemm_batched_general_kernelIfLi16ELi16ELi32ELi32ELi8ELi32ELi8ELi8ELi32ELc78ELc84EKPKDF16_S3_KPDF16_EEvlllT_PT11_llS8_llS6_PT12_llPT13_lli,"axG",@progbits,_ZN12_GLOBAL__N_135rocblas_gemm_batched_general_kernelIfLi16ELi16ELi32ELi32ELi8ELi32ELi8ELi8ELi32ELc78ELc84EKPKDF16_S3_KPDF16_EEvlllT_PT11_llS8_llS6_PT12_llPT13_lli,comdat
	.globl	_ZN12_GLOBAL__N_135rocblas_gemm_batched_general_kernelIfLi16ELi16ELi32ELi32ELi8ELi32ELi8ELi8ELi32ELc78ELc84EKPKDF16_S3_KPDF16_EEvlllT_PT11_llS8_llS6_PT12_llPT13_lli ; -- Begin function _ZN12_GLOBAL__N_135rocblas_gemm_batched_general_kernelIfLi16ELi16ELi32ELi32ELi8ELi32ELi8ELi8ELi32ELc78ELc84EKPKDF16_S3_KPDF16_EEvlllT_PT11_llS8_llS6_PT12_llPT13_lli
	.p2align	8
	.type	_ZN12_GLOBAL__N_135rocblas_gemm_batched_general_kernelIfLi16ELi16ELi32ELi32ELi8ELi32ELi8ELi8ELi32ELc78ELc84EKPKDF16_S3_KPDF16_EEvlllT_PT11_llS8_llS6_PT12_llPT13_lli,@function
_ZN12_GLOBAL__N_135rocblas_gemm_batched_general_kernelIfLi16ELi16ELi32ELi32ELi8ELi32ELi8ELi8ELi32ELc78ELc84EKPKDF16_S3_KPDF16_EEvlllT_PT11_llS8_llS6_PT12_llPT13_lli: ; @_ZN12_GLOBAL__N_135rocblas_gemm_batched_general_kernelIfLi16ELi16ELi32ELi32ELi8ELi32ELi8ELi8ELi32ELc78ELc84EKPKDF16_S3_KPDF16_EEvlllT_PT11_llS8_llS6_PT12_llPT13_lli
; %bb.0:
	s_load_b32 s33, s[0:1], 0x88
	s_bfe_u32 s2, ttmp6, 0x40014
	s_lshr_b32 s3, ttmp7, 16
	s_add_co_i32 s2, s2, 1
	s_bfe_u32 s5, ttmp6, 0x40008
	s_mul_i32 s4, s3, s2
	s_getreg_b32 s2, hwreg(HW_REG_IB_STS2, 6, 4)
	s_add_co_i32 s5, s5, s4
	s_cmp_eq_u32 s2, 0
	s_mov_b32 s35, 0
	s_cselect_b32 s34, s3, s5
	s_wait_kmcnt 0x0
	s_cmp_ge_i32 s34, s33
	s_cbranch_scc1 .LBB105_34
; %bb.1:
	s_clause 0x6
	s_load_b128 s[4:7], s[0:1], 0x0
	s_load_b96 s[36:38], s[0:1], 0x10
	s_load_b256 s[8:15], s[0:1], 0x20
	s_load_b128 s[28:31], s[0:1], 0x40
	s_load_b32 s41, s[0:1], 0x50
	s_load_b128 s[24:27], s[0:1], 0x78
	s_load_b256 s[16:23], s[0:1], 0x58
	v_bfe_u32 v6, v0, 10, 10
	v_and_b32_e32 v8, 0x3ff, v0
	s_wait_xcnt 0x0
	s_bfe_u32 s0, ttmp6, 0x4000c
	s_bfe_u32 s3, ttmp6, 0x40010
	s_add_co_i32 s0, s0, 1
	s_and_b32 s39, ttmp7, 0xffff
	s_add_co_i32 s3, s3, 1
	v_lshl_add_u32 v1, v6, 4, v8
	v_mov_b32_e32 v3, 0
	s_and_b32 s1, ttmp6, 15
	s_mul_i32 s0, ttmp9, s0
	s_mul_i32 s3, s39, s3
	s_bfe_u32 s40, ttmp6, 0x40004
	s_add_co_i32 s1, s1, s0
	s_add_co_i32 s40, s40, s3
	s_cmp_eq_u32 s2, 0
	v_dual_mov_b32 v9, v3 :: v_dual_bitop2_b32 v22, 31, v1 bitop3:0x40
	v_dual_lshrrev_b32 v2, 5, v1 :: v_dual_bitop2_b32 v0, 7, v0 bitop3:0x40
	v_dual_mov_b32 v1, v3 :: v_dual_lshrrev_b32 v10, 3, v1
	v_mov_b32_e32 v11, v3
	s_cselect_b32 s40, s39, s40
	s_cselect_b32 s42, ttmp9, s1
	s_lshl_b32 s44, s40, 5
	s_mov_b32 s45, s35
	s_wait_kmcnt 0x0
	v_mul_u64_e32 v[12:13], s[28:29], v[0:1]
	v_add_nc_u64_e32 v[14:15], s[44:45], v[10:11]
	v_dual_lshlrev_b32 v11, 2, v0 :: v_dual_lshlrev_b32 v18, 2, v22
	v_mul_u64_e32 v[16:17], s[10:11], v[2:3]
	v_dual_mov_b32 v7, v3 :: v_dual_lshlrev_b32 v30, 2, v8
	s_ashr_i32 s43, s42, 31
	s_delay_alu instid0(VALU_DEP_3) | instskip(SKIP_1) | instid1(VALU_DEP_2)
	v_lshl_or_b32 v28, v2, 7, v18
	s_lshl_b64 s[2:3], s[42:43], 5
	v_add_nc_u64_e32 v[18:19], s[44:45], v[6:7]
	v_dual_mov_b32 v5, s3 :: v_dual_bitop2_b32 v4, s2, v22 bitop3:0x54
	v_lshl_add_u32 v31, v6, 5, 0x400
	v_cmp_gt_i64_e64 s1, s[6:7], v[14:15]
	s_cmp_eq_f32 s41, 0
	v_lshl_or_b32 v11, v10, 5, v11
	v_cmp_gt_i64_e64 s0, s[4:5], v[4:5]
	v_add_nc_u64_e32 v[4:5], s[2:3], v[8:9]
	v_mul_u64_e32 v[6:7], s[24:25], v[18:19]
	v_mul_u64_e32 v[8:9], s[18:19], v[18:19]
	v_add_nc_u64_e32 v[20:21], 16, v[18:19]
	s_cselect_b32 s39, -1, 0
	v_cmp_gt_i64_e64 s2, s[6:7], v[18:19]
	s_lshl_b32 s44, s40, 6
	v_add_nc_u64_e32 v[14:15], 16, v[4:5]
	v_cmp_gt_i64_e64 s3, s[4:5], v[4:5]
	s_lshl_b64 s[30:31], s[30:31], 1
	s_lshl_b64 s[12:13], s[12:13], 1
	s_add_nc_u64 s[30:31], s[30:31], s[44:45]
	v_add_nc_u32_e32 v29, 0x400, v11
	v_dual_mov_b32 v11, v3 :: v_dual_lshlrev_b32 v10, 1, v10
	v_cmp_gt_i64_e64 s4, s[4:5], v[14:15]
	v_cmp_gt_i64_e64 s5, s[6:7], v[20:21]
	s_lshl_b64 s[6:7], s[24:25], 4
	s_lshl_b64 s[24:25], s[42:43], 6
	v_lshl_add_u64 v[12:13], v[12:13], 1, s[30:31]
	s_add_nc_u64 s[12:13], s[12:13], s[24:25]
	s_mov_b32 s40, s38
	v_lshl_add_u64 v[14:15], v[16:17], 1, s[12:13]
	v_dual_mov_b32 v17, v3 :: v_dual_lshlrev_b32 v16, 1, v22
	s_lshl_b64 s[12:13], s[18:19], 4
	v_add_nc_u64_e32 v[10:11], v[12:13], v[10:11]
	s_lshl_b64 s[18:19], s[28:29], 4
	v_cmp_gt_i64_e64 s28, s[36:37], 0
	v_add_nc_u64_e32 v[12:13], v[14:15], v[16:17]
	s_lshl_b64 s[10:11], s[10:11], 4
	s_lshl_b64 s[24:25], s[26:27], 1
	;; [unrolled: 1-line block ×3, first 2 shown]
	s_branch .LBB105_4
.LBB105_2:                              ;   in Loop: Header=BB105_4 Depth=1
	s_wait_xcnt 0x0
	s_or_b32 exec_lo, exec_lo, s26
.LBB105_3:                              ;   in Loop: Header=BB105_4 Depth=1
	s_add_co_i32 s34, s34, 0x10000
	s_delay_alu instid0(SALU_CYCLE_1)
	s_cmp_lt_i32 s34, s33
	s_cbranch_scc0 .LBB105_34
.LBB105_4:                              ; =>This Loop Header: Depth=1
                                        ;     Child Loop BB105_7 Depth 2
	v_dual_mov_b32 v14, s34 :: v_dual_mov_b32 v19, 0
	v_dual_mov_b32 v18, 0 :: v_dual_mov_b32 v15, 0
	s_and_not1_b32 vcc_lo, exec_lo, s28
	s_clause 0x1
	global_load_b64 v[16:17], v14, s[16:17] scale_offset
	global_load_b64 v[20:21], v14, s[22:23] scale_offset
	s_wait_xcnt 0x0
	v_mov_b32_e32 v14, 0
	s_cbranch_vccnz .LBB105_11
; %bb.5:                                ;   in Loop: Header=BB105_4 Depth=1
	s_lshl_b64 s[26:27], s[34:35], 3
	v_mov_b32_e32 v18, 0
	s_add_nc_u64 s[30:31], s[14:15], s[26:27]
	s_add_nc_u64 s[26:27], s[8:9], s[26:27]
	s_clause 0x1
	global_load_b64 v[14:15], v3, s[30:31]
	global_load_b64 v[24:25], v3, s[26:27]
	s_wait_xcnt 0x0
	s_mov_b64 s[26:27], 0
	v_mov_b32_e32 v19, v18
	s_wait_loadcnt 0x1
	v_add_nc_u64_e32 v[22:23], v[14:15], v[10:11]
	s_wait_loadcnt 0x0
	v_add_nc_u64_e32 v[24:25], v[24:25], v[12:13]
	v_dual_mov_b32 v14, v18 :: v_dual_mov_b32 v15, v18
	s_branch .LBB105_7
.LBB105_6:                              ;   in Loop: Header=BB105_7 Depth=2
	s_wait_xcnt 0x0
	s_or_b32 exec_lo, exec_lo, s29
	ds_store_b32 v29, v27
	s_wait_dscnt 0x0
	s_barrier_signal -1
	s_barrier_wait -1
	ds_load_b128 v[32:35], v31
	ds_load_2addr_b32 v[26:27], v30 offset1:16
	ds_load_b128 v[36:39], v31 offset:512
	ds_load_2addr_b32 v[48:49], v30 offset0:32 offset1:48
	ds_load_2addr_b32 v[50:51], v30 offset0:64 offset1:80
	;; [unrolled: 1-line block ×3, first 2 shown]
	ds_load_b128 v[40:43], v31 offset:16
	ds_load_2addr_b32 v[54:55], v30 offset0:128 offset1:144
	ds_load_b128 v[44:47], v31 offset:528
	s_add_nc_u64 s[26:27], s[26:27], 8
	v_add_nc_u64_e32 v[22:23], s[18:19], v[22:23]
	v_cmp_lt_i64_e64 s29, s[26:27], s[36:37]
	v_add_nc_u64_e32 v[24:25], s[10:11], v[24:25]
	s_and_b32 vcc_lo, exec_lo, s29
	s_wait_dscnt 0x7
	v_pk_fma_f32 v[18:19], v[26:27], v[32:33], v[18:19] op_sel_hi:[1,0,1]
	s_wait_dscnt 0x6
	v_pk_fma_f32 v[14:15], v[26:27], v[36:37], v[14:15] op_sel_hi:[1,0,1]
	ds_load_2addr_b32 v[26:27], v30 offset0:160 offset1:176
	s_wait_dscnt 0x6
	v_pk_fma_f32 v[18:19], v[48:49], v[32:33], v[18:19] op_sel:[0,1,0]
	v_pk_fma_f32 v[14:15], v[48:49], v[36:37], v[14:15] op_sel:[0,1,0]
	ds_load_2addr_b32 v[32:33], v30 offset0:192 offset1:208
	v_dual_mov_b32 v36, v35 :: v_dual_mov_b32 v48, v39
	s_wait_dscnt 0x6
	v_pk_fma_f32 v[18:19], v[50:51], v[34:35], v[18:19] op_sel_hi:[1,0,1]
	v_pk_fma_f32 v[14:15], v[50:51], v[38:39], v[14:15] op_sel_hi:[1,0,1]
	ds_load_2addr_b32 v[34:35], v30 offset0:224 offset1:240
	s_wait_dscnt 0x0
	s_barrier_signal -1
	v_pk_fma_f32 v[18:19], v[52:53], v[36:37], v[18:19] op_sel_hi:[1,0,1]
	v_pk_fma_f32 v[14:15], v[52:53], v[48:49], v[14:15] op_sel_hi:[1,0,1]
	s_barrier_wait -1
	v_mov_b32_e32 v36, v47
	s_delay_alu instid0(VALU_DEP_3) | instskip(NEXT) | instid1(VALU_DEP_3)
	v_pk_fma_f32 v[18:19], v[54:55], v[40:41], v[18:19] op_sel_hi:[1,0,1]
	v_pk_fma_f32 v[14:15], v[54:55], v[44:45], v[14:15] op_sel_hi:[1,0,1]
	s_delay_alu instid0(VALU_DEP_2) | instskip(NEXT) | instid1(VALU_DEP_2)
	v_pk_fma_f32 v[18:19], v[26:27], v[40:41], v[18:19] op_sel:[0,1,0]
	v_pk_fma_f32 v[14:15], v[26:27], v[44:45], v[14:15] op_sel:[0,1,0]
	v_mov_b32_e32 v26, v43
	s_delay_alu instid0(VALU_DEP_3) | instskip(NEXT) | instid1(VALU_DEP_3)
	v_pk_fma_f32 v[18:19], v[32:33], v[42:43], v[18:19] op_sel_hi:[1,0,1]
	v_pk_fma_f32 v[14:15], v[32:33], v[46:47], v[14:15] op_sel_hi:[1,0,1]
	s_delay_alu instid0(VALU_DEP_2) | instskip(NEXT) | instid1(VALU_DEP_2)
	v_pk_fma_f32 v[18:19], v[34:35], v[26:27], v[18:19] op_sel_hi:[1,0,1]
	v_pk_fma_f32 v[14:15], v[34:35], v[36:37], v[14:15] op_sel_hi:[1,0,1]
	s_cbranch_vccz .LBB105_11
.LBB105_7:                              ;   Parent Loop BB105_4 Depth=1
                                        ; =>  This Inner Loop Header: Depth=2
	v_add_nc_u64_e32 v[26:27], s[26:27], v[2:3]
	s_delay_alu instid0(VALU_DEP_1) | instskip(SKIP_2) | instid1(SALU_CYCLE_1)
	v_cmp_gt_i64_e32 vcc_lo, s[36:37], v[26:27]
	v_mov_b32_e32 v26, 0
	s_and_b32 s30, s0, vcc_lo
	s_and_saveexec_b32 s29, s30
	s_cbranch_execz .LBB105_9
; %bb.8:                                ;   in Loop: Header=BB105_7 Depth=2
	flat_load_u16 v26, v[24:25]
	s_wait_loadcnt_dscnt 0x0
	v_cvt_f32_f16_e32 v26, v26
.LBB105_9:                              ;   in Loop: Header=BB105_7 Depth=2
	s_wait_xcnt 0x0
	s_or_b32 exec_lo, exec_lo, s29
	v_add_nc_u64_e32 v[32:33], s[26:27], v[0:1]
	v_mov_b32_e32 v27, 0
	ds_store_b32 v28, v26
	v_cmp_gt_i64_e32 vcc_lo, s[36:37], v[32:33]
	s_and_b32 s30, vcc_lo, s1
	s_delay_alu instid0(SALU_CYCLE_1)
	s_and_saveexec_b32 s29, s30
	s_cbranch_execz .LBB105_6
; %bb.10:                               ;   in Loop: Header=BB105_7 Depth=2
	flat_load_u16 v26, v[22:23]
	s_wait_loadcnt_dscnt 0x0
	v_cvt_f32_f16_e32 v27, v26
	s_branch .LBB105_6
.LBB105_11:                             ;   in Loop: Header=BB105_4 Depth=1
	s_wait_loadcnt 0x0
	v_add_nc_u64_e32 v[20:21], s[24:25], v[20:21]
	s_and_not1_b32 vcc_lo, exec_lo, s39
	s_cbranch_vccnz .LBB105_16
; %bb.12:                               ;   in Loop: Header=BB105_4 Depth=1
	s_and_saveexec_b32 s26, s2
	s_cbranch_execz .LBB105_23
; %bb.13:                               ;   in Loop: Header=BB105_4 Depth=1
	s_delay_alu instid0(VALU_DEP_1) | instskip(NEXT) | instid1(VALU_DEP_1)
	v_lshl_add_u64 v[22:23], v[6:7], 1, v[20:21]
	v_lshl_add_u64 v[24:25], v[4:5], 1, v[22:23]
	s_and_saveexec_b32 s27, s3
	s_cbranch_execnz .LBB105_17
; %bb.14:                               ;   in Loop: Header=BB105_4 Depth=1
	s_or_b32 exec_lo, exec_lo, s27
	s_and_saveexec_b32 s27, s4
	s_cbranch_execnz .LBB105_18
.LBB105_15:                             ;   in Loop: Header=BB105_4 Depth=1
	s_or_b32 exec_lo, exec_lo, s27
	s_delay_alu instid0(SALU_CYCLE_1)
	s_and_b32 exec_lo, exec_lo, s5
	s_cbranch_execnz .LBB105_19
	s_branch .LBB105_23
.LBB105_16:                             ;   in Loop: Header=BB105_4 Depth=1
	s_branch .LBB105_24
.LBB105_17:                             ;   in Loop: Header=BB105_4 Depth=1
	v_fma_mixlo_f16 v26, s38, v18, 0
	flat_store_b16 v[24:25], v26
	s_wait_xcnt 0x0
	s_or_b32 exec_lo, exec_lo, s27
	s_and_saveexec_b32 s27, s4
	s_cbranch_execz .LBB105_15
.LBB105_18:                             ;   in Loop: Header=BB105_4 Depth=1
	v_fma_mixlo_f16 v26, s38, v19, 0
	flat_store_b16 v[24:25], v26 offset:32
	s_wait_xcnt 0x0
	s_or_b32 exec_lo, exec_lo, s27
	s_delay_alu instid0(SALU_CYCLE_1)
	s_and_b32 exec_lo, exec_lo, s5
	s_cbranch_execz .LBB105_23
.LBB105_19:                             ;   in Loop: Header=BB105_4 Depth=1
	v_lshl_add_u64 v[22:23], s[6:7], 1, v[22:23]
	s_delay_alu instid0(VALU_DEP_1)
	v_lshl_add_u64 v[22:23], v[4:5], 1, v[22:23]
	s_and_saveexec_b32 s27, s3
	s_cbranch_execz .LBB105_21
; %bb.20:                               ;   in Loop: Header=BB105_4 Depth=1
	v_fma_mixlo_f16 v24, s38, v14, 0
	flat_store_b16 v[22:23], v24
.LBB105_21:                             ;   in Loop: Header=BB105_4 Depth=1
	s_wait_xcnt 0x0
	s_or_b32 exec_lo, exec_lo, s27
	s_delay_alu instid0(SALU_CYCLE_1)
	s_and_b32 exec_lo, exec_lo, s4
	s_cbranch_execz .LBB105_23
; %bb.22:                               ;   in Loop: Header=BB105_4 Depth=1
	v_fma_mixlo_f16 v24, s38, v15, 0
	flat_store_b16 v[22:23], v24 offset:32
.LBB105_23:                             ;   in Loop: Header=BB105_4 Depth=1
	s_wait_xcnt 0x0
	s_or_b32 exec_lo, exec_lo, s26
	s_cbranch_execnz .LBB105_3
.LBB105_24:                             ;   in Loop: Header=BB105_4 Depth=1
	s_and_saveexec_b32 s26, s2
	s_cbranch_execz .LBB105_2
; %bb.25:                               ;   in Loop: Header=BB105_4 Depth=1
	v_add_nc_u64_e32 v[22:23], s[20:21], v[16:17]
	v_lshlrev_b64_e32 v[16:17], 1, v[4:5]
	v_lshl_add_u64 v[20:21], v[6:7], 1, v[20:21]
	s_delay_alu instid0(VALU_DEP_3) | instskip(NEXT) | instid1(VALU_DEP_2)
	v_lshl_add_u64 v[22:23], v[8:9], 1, v[22:23]
	v_add_nc_u64_e32 v[24:25], v[20:21], v[16:17]
	s_delay_alu instid0(VALU_DEP_2)
	v_add_nc_u64_e32 v[26:27], v[22:23], v[16:17]
	s_and_saveexec_b32 s27, s3
	s_cbranch_execnz .LBB105_28
; %bb.26:                               ;   in Loop: Header=BB105_4 Depth=1
	s_or_b32 exec_lo, exec_lo, s27
	s_and_saveexec_b32 s27, s4
	s_cbranch_execnz .LBB105_29
.LBB105_27:                             ;   in Loop: Header=BB105_4 Depth=1
	s_or_b32 exec_lo, exec_lo, s27
	s_delay_alu instid0(SALU_CYCLE_1)
	s_and_b32 exec_lo, exec_lo, s5
	s_cbranch_execz .LBB105_2
	s_branch .LBB105_30
.LBB105_28:                             ;   in Loop: Header=BB105_4 Depth=1
	flat_load_u16 v33, v[26:27]
	v_mov_b64_e32 v[34:35], s[40:41]
	v_mov_b32_e32 v32, v18
	s_wait_loadcnt_dscnt 0x0
	v_cvt_f32_f16_e32 v33, v33
	s_delay_alu instid0(VALU_DEP_1) | instskip(NEXT) | instid1(VALU_DEP_1)
	v_pk_mul_f32 v[32:33], v[34:35], v[32:33]
	v_add_f32_e32 v18, v32, v33
	s_delay_alu instid0(VALU_DEP_1)
	v_cvt_f16_f32_e32 v18, v18
	flat_store_b16 v[24:25], v18
	s_wait_xcnt 0x0
	s_or_b32 exec_lo, exec_lo, s27
	s_and_saveexec_b32 s27, s4
	s_cbranch_execz .LBB105_27
.LBB105_29:                             ;   in Loop: Header=BB105_4 Depth=1
	flat_load_u16 v26, v[26:27] offset:32
	v_mov_b32_e32 v18, v19
	s_wait_loadcnt_dscnt 0x0
	v_cvt_f32_f16_e32 v19, v26
	s_wait_xcnt 0x0
	v_mov_b64_e32 v[26:27], s[40:41]
	s_delay_alu instid0(VALU_DEP_1) | instskip(NEXT) | instid1(VALU_DEP_1)
	v_pk_mul_f32 v[18:19], v[26:27], v[18:19]
	v_add_f32_e32 v18, v18, v19
	s_delay_alu instid0(VALU_DEP_1) | instskip(SKIP_3) | instid1(SALU_CYCLE_1)
	v_cvt_f16_f32_e32 v18, v18
	flat_store_b16 v[24:25], v18 offset:32
	s_wait_xcnt 0x0
	s_or_b32 exec_lo, exec_lo, s27
	s_and_b32 exec_lo, exec_lo, s5
	s_cbranch_execz .LBB105_2
.LBB105_30:                             ;   in Loop: Header=BB105_4 Depth=1
	v_lshl_add_u64 v[18:19], s[12:13], 1, v[22:23]
	v_lshl_add_u64 v[20:21], s[6:7], 1, v[20:21]
	s_delay_alu instid0(VALU_DEP_2) | instskip(NEXT) | instid1(VALU_DEP_2)
	v_add_nc_u64_e32 v[18:19], v[18:19], v[16:17]
	v_add_nc_u64_e32 v[16:17], v[20:21], v[16:17]
	s_and_saveexec_b32 s27, s3
	s_cbranch_execz .LBB105_32
; %bb.31:                               ;   in Loop: Header=BB105_4 Depth=1
	flat_load_u16 v21, v[18:19]
	v_mov_b64_e32 v[22:23], s[40:41]
	v_mov_b32_e32 v20, v14
	s_wait_loadcnt_dscnt 0x0
	v_cvt_f32_f16_e32 v21, v21
	s_delay_alu instid0(VALU_DEP_1) | instskip(NEXT) | instid1(VALU_DEP_1)
	v_pk_mul_f32 v[20:21], v[22:23], v[20:21]
	v_add_f32_e32 v14, v20, v21
	s_delay_alu instid0(VALU_DEP_1)
	v_cvt_f16_f32_e32 v14, v14
	flat_store_b16 v[16:17], v14
.LBB105_32:                             ;   in Loop: Header=BB105_4 Depth=1
	s_wait_xcnt 0x0
	s_or_b32 exec_lo, exec_lo, s27
	s_delay_alu instid0(SALU_CYCLE_1)
	s_and_b32 exec_lo, exec_lo, s4
	s_cbranch_execz .LBB105_2
; %bb.33:                               ;   in Loop: Header=BB105_4 Depth=1
	flat_load_u16 v18, v[18:19] offset:32
	v_mov_b32_e32 v14, v15
	s_wait_loadcnt_dscnt 0x0
	v_cvt_f32_f16_e32 v15, v18
	s_wait_xcnt 0x0
	v_mov_b64_e32 v[18:19], s[40:41]
	s_delay_alu instid0(VALU_DEP_1) | instskip(NEXT) | instid1(VALU_DEP_1)
	v_pk_mul_f32 v[14:15], v[18:19], v[14:15]
	v_add_f32_e32 v14, v14, v15
	s_delay_alu instid0(VALU_DEP_1)
	v_cvt_f16_f32_e32 v14, v14
	flat_store_b16 v[16:17], v14 offset:32
	s_branch .LBB105_2
.LBB105_34:
	s_endpgm
	.section	.rodata,"a",@progbits
	.p2align	6, 0x0
	.amdhsa_kernel _ZN12_GLOBAL__N_135rocblas_gemm_batched_general_kernelIfLi16ELi16ELi32ELi32ELi8ELi32ELi8ELi8ELi32ELc78ELc84EKPKDF16_S3_KPDF16_EEvlllT_PT11_llS8_llS6_PT12_llPT13_lli
		.amdhsa_group_segment_fixed_size 2048
		.amdhsa_private_segment_fixed_size 0
		.amdhsa_kernarg_size 140
		.amdhsa_user_sgpr_count 2
		.amdhsa_user_sgpr_dispatch_ptr 0
		.amdhsa_user_sgpr_queue_ptr 0
		.amdhsa_user_sgpr_kernarg_segment_ptr 1
		.amdhsa_user_sgpr_dispatch_id 0
		.amdhsa_user_sgpr_kernarg_preload_length 0
		.amdhsa_user_sgpr_kernarg_preload_offset 0
		.amdhsa_user_sgpr_private_segment_size 0
		.amdhsa_wavefront_size32 1
		.amdhsa_uses_dynamic_stack 0
		.amdhsa_enable_private_segment 0
		.amdhsa_system_sgpr_workgroup_id_x 1
		.amdhsa_system_sgpr_workgroup_id_y 1
		.amdhsa_system_sgpr_workgroup_id_z 1
		.amdhsa_system_sgpr_workgroup_info 0
		.amdhsa_system_vgpr_workitem_id 1
		.amdhsa_next_free_vgpr 56
		.amdhsa_next_free_sgpr 46
		.amdhsa_named_barrier_count 0
		.amdhsa_reserve_vcc 1
		.amdhsa_float_round_mode_32 0
		.amdhsa_float_round_mode_16_64 0
		.amdhsa_float_denorm_mode_32 3
		.amdhsa_float_denorm_mode_16_64 3
		.amdhsa_fp16_overflow 0
		.amdhsa_memory_ordered 1
		.amdhsa_forward_progress 1
		.amdhsa_inst_pref_size 15
		.amdhsa_round_robin_scheduling 0
		.amdhsa_exception_fp_ieee_invalid_op 0
		.amdhsa_exception_fp_denorm_src 0
		.amdhsa_exception_fp_ieee_div_zero 0
		.amdhsa_exception_fp_ieee_overflow 0
		.amdhsa_exception_fp_ieee_underflow 0
		.amdhsa_exception_fp_ieee_inexact 0
		.amdhsa_exception_int_div_zero 0
	.end_amdhsa_kernel
	.section	.text._ZN12_GLOBAL__N_135rocblas_gemm_batched_general_kernelIfLi16ELi16ELi32ELi32ELi8ELi32ELi8ELi8ELi32ELc78ELc84EKPKDF16_S3_KPDF16_EEvlllT_PT11_llS8_llS6_PT12_llPT13_lli,"axG",@progbits,_ZN12_GLOBAL__N_135rocblas_gemm_batched_general_kernelIfLi16ELi16ELi32ELi32ELi8ELi32ELi8ELi8ELi32ELc78ELc84EKPKDF16_S3_KPDF16_EEvlllT_PT11_llS8_llS6_PT12_llPT13_lli,comdat
.Lfunc_end105:
	.size	_ZN12_GLOBAL__N_135rocblas_gemm_batched_general_kernelIfLi16ELi16ELi32ELi32ELi8ELi32ELi8ELi8ELi32ELc78ELc84EKPKDF16_S3_KPDF16_EEvlllT_PT11_llS8_llS6_PT12_llPT13_lli, .Lfunc_end105-_ZN12_GLOBAL__N_135rocblas_gemm_batched_general_kernelIfLi16ELi16ELi32ELi32ELi8ELi32ELi8ELi8ELi32ELc78ELc84EKPKDF16_S3_KPDF16_EEvlllT_PT11_llS8_llS6_PT12_llPT13_lli
                                        ; -- End function
	.set _ZN12_GLOBAL__N_135rocblas_gemm_batched_general_kernelIfLi16ELi16ELi32ELi32ELi8ELi32ELi8ELi8ELi32ELc78ELc84EKPKDF16_S3_KPDF16_EEvlllT_PT11_llS8_llS6_PT12_llPT13_lli.num_vgpr, 56
	.set _ZN12_GLOBAL__N_135rocblas_gemm_batched_general_kernelIfLi16ELi16ELi32ELi32ELi8ELi32ELi8ELi8ELi32ELc78ELc84EKPKDF16_S3_KPDF16_EEvlllT_PT11_llS8_llS6_PT12_llPT13_lli.num_agpr, 0
	.set _ZN12_GLOBAL__N_135rocblas_gemm_batched_general_kernelIfLi16ELi16ELi32ELi32ELi8ELi32ELi8ELi8ELi32ELc78ELc84EKPKDF16_S3_KPDF16_EEvlllT_PT11_llS8_llS6_PT12_llPT13_lli.numbered_sgpr, 46
	.set _ZN12_GLOBAL__N_135rocblas_gemm_batched_general_kernelIfLi16ELi16ELi32ELi32ELi8ELi32ELi8ELi8ELi32ELc78ELc84EKPKDF16_S3_KPDF16_EEvlllT_PT11_llS8_llS6_PT12_llPT13_lli.num_named_barrier, 0
	.set _ZN12_GLOBAL__N_135rocblas_gemm_batched_general_kernelIfLi16ELi16ELi32ELi32ELi8ELi32ELi8ELi8ELi32ELc78ELc84EKPKDF16_S3_KPDF16_EEvlllT_PT11_llS8_llS6_PT12_llPT13_lli.private_seg_size, 0
	.set _ZN12_GLOBAL__N_135rocblas_gemm_batched_general_kernelIfLi16ELi16ELi32ELi32ELi8ELi32ELi8ELi8ELi32ELc78ELc84EKPKDF16_S3_KPDF16_EEvlllT_PT11_llS8_llS6_PT12_llPT13_lli.uses_vcc, 1
	.set _ZN12_GLOBAL__N_135rocblas_gemm_batched_general_kernelIfLi16ELi16ELi32ELi32ELi8ELi32ELi8ELi8ELi32ELc78ELc84EKPKDF16_S3_KPDF16_EEvlllT_PT11_llS8_llS6_PT12_llPT13_lli.uses_flat_scratch, 0
	.set _ZN12_GLOBAL__N_135rocblas_gemm_batched_general_kernelIfLi16ELi16ELi32ELi32ELi8ELi32ELi8ELi8ELi32ELc78ELc84EKPKDF16_S3_KPDF16_EEvlllT_PT11_llS8_llS6_PT12_llPT13_lli.has_dyn_sized_stack, 0
	.set _ZN12_GLOBAL__N_135rocblas_gemm_batched_general_kernelIfLi16ELi16ELi32ELi32ELi8ELi32ELi8ELi8ELi32ELc78ELc84EKPKDF16_S3_KPDF16_EEvlllT_PT11_llS8_llS6_PT12_llPT13_lli.has_recursion, 0
	.set _ZN12_GLOBAL__N_135rocblas_gemm_batched_general_kernelIfLi16ELi16ELi32ELi32ELi8ELi32ELi8ELi8ELi32ELc78ELc84EKPKDF16_S3_KPDF16_EEvlllT_PT11_llS8_llS6_PT12_llPT13_lli.has_indirect_call, 0
	.section	.AMDGPU.csdata,"",@progbits
; Kernel info:
; codeLenInByte = 1900
; TotalNumSgprs: 48
; NumVgprs: 56
; ScratchSize: 0
; MemoryBound: 0
; FloatMode: 240
; IeeeMode: 1
; LDSByteSize: 2048 bytes/workgroup (compile time only)
; SGPRBlocks: 0
; VGPRBlocks: 3
; NumSGPRsForWavesPerEU: 48
; NumVGPRsForWavesPerEU: 56
; NamedBarCnt: 0
; Occupancy: 16
; WaveLimiterHint : 1
; COMPUTE_PGM_RSRC2:SCRATCH_EN: 0
; COMPUTE_PGM_RSRC2:USER_SGPR: 2
; COMPUTE_PGM_RSRC2:TRAP_HANDLER: 0
; COMPUTE_PGM_RSRC2:TGID_X_EN: 1
; COMPUTE_PGM_RSRC2:TGID_Y_EN: 1
; COMPUTE_PGM_RSRC2:TGID_Z_EN: 1
; COMPUTE_PGM_RSRC2:TIDIG_COMP_CNT: 1
	.section	.text._ZN12_GLOBAL__N_135rocblas_gemm_batched_general_kernelIfLi16ELi16ELi32ELi32ELi8ELi32ELi8ELi8ELi32ELc84ELc84EKPKDF16_S3_KPDF16_EEvlllT_PT11_llS8_llS6_PT12_llPT13_lli,"axG",@progbits,_ZN12_GLOBAL__N_135rocblas_gemm_batched_general_kernelIfLi16ELi16ELi32ELi32ELi8ELi32ELi8ELi8ELi32ELc84ELc84EKPKDF16_S3_KPDF16_EEvlllT_PT11_llS8_llS6_PT12_llPT13_lli,comdat
	.globl	_ZN12_GLOBAL__N_135rocblas_gemm_batched_general_kernelIfLi16ELi16ELi32ELi32ELi8ELi32ELi8ELi8ELi32ELc84ELc84EKPKDF16_S3_KPDF16_EEvlllT_PT11_llS8_llS6_PT12_llPT13_lli ; -- Begin function _ZN12_GLOBAL__N_135rocblas_gemm_batched_general_kernelIfLi16ELi16ELi32ELi32ELi8ELi32ELi8ELi8ELi32ELc84ELc84EKPKDF16_S3_KPDF16_EEvlllT_PT11_llS8_llS6_PT12_llPT13_lli
	.p2align	8
	.type	_ZN12_GLOBAL__N_135rocblas_gemm_batched_general_kernelIfLi16ELi16ELi32ELi32ELi8ELi32ELi8ELi8ELi32ELc84ELc84EKPKDF16_S3_KPDF16_EEvlllT_PT11_llS8_llS6_PT12_llPT13_lli,@function
_ZN12_GLOBAL__N_135rocblas_gemm_batched_general_kernelIfLi16ELi16ELi32ELi32ELi8ELi32ELi8ELi8ELi32ELc84ELc84EKPKDF16_S3_KPDF16_EEvlllT_PT11_llS8_llS6_PT12_llPT13_lli: ; @_ZN12_GLOBAL__N_135rocblas_gemm_batched_general_kernelIfLi16ELi16ELi32ELi32ELi8ELi32ELi8ELi8ELi32ELc84ELc84EKPKDF16_S3_KPDF16_EEvlllT_PT11_llS8_llS6_PT12_llPT13_lli
; %bb.0:
	s_load_b32 s33, s[0:1], 0x88
	s_bfe_u32 s2, ttmp6, 0x40014
	s_lshr_b32 s3, ttmp7, 16
	s_add_co_i32 s2, s2, 1
	s_bfe_u32 s5, ttmp6, 0x40008
	s_mul_i32 s4, s3, s2
	s_getreg_b32 s2, hwreg(HW_REG_IB_STS2, 6, 4)
	s_add_co_i32 s5, s5, s4
	s_cmp_eq_u32 s2, 0
	s_mov_b32 s35, 0
	s_cselect_b32 s34, s3, s5
	s_wait_kmcnt 0x0
	s_cmp_ge_i32 s34, s33
	s_cbranch_scc1 .LBB106_34
; %bb.1:
	v_bfe_u32 v10, v0, 10, 10
	v_and_b32_e32 v12, 0x3ff, v0
	s_clause 0x6
	s_load_b128 s[4:7], s[0:1], 0x0
	s_load_b96 s[36:38], s[0:1], 0x10
	s_load_b256 s[8:15], s[0:1], 0x20
	s_load_b128 s[24:27], s[0:1], 0x40
	s_load_b32 s41, s[0:1], 0x50
	s_load_b128 s[28:31], s[0:1], 0x78
	s_load_b256 s[16:23], s[0:1], 0x58
	s_wait_xcnt 0x0
	s_bfe_u32 s0, ttmp6, 0x4000c
	s_bfe_u32 s3, ttmp6, 0x40010
	s_add_co_i32 s0, s0, 1
	s_and_b32 s39, ttmp7, 0xffff
	s_add_co_i32 s3, s3, 1
	s_and_b32 s1, ttmp6, 15
	s_mul_i32 s0, ttmp9, s0
	s_mul_i32 s3, s39, s3
	s_bfe_u32 s40, ttmp6, 0x40004
	v_lshl_add_u32 v6, v10, 4, v12
	s_add_co_i32 s1, s1, s0
	s_add_co_i32 s40, s40, s3
	s_cmp_eq_u32 s2, 0
	s_delay_alu instid0(VALU_DEP_1) | instskip(SKIP_3) | instid1(VALU_DEP_1)
	v_dual_mov_b32 v1, 0 :: v_dual_bitop2_b32 v8, 31, v6 bitop3:0x40
	s_cselect_b32 s0, ttmp9, s1
	s_cselect_b32 s40, s39, s40
	s_ashr_i32 s1, s0, 31
	v_dual_mov_b32 v11, v1 :: v_dual_bitop2_b32 v2, 7, v0 bitop3:0x40
	s_lshl_b64 s[2:3], s[0:1], 5
	v_dual_mov_b32 v3, v1 :: v_dual_lshrrev_b32 v14, 3, v6
	v_dual_mov_b32 v15, v1 :: v_dual_bitop2_b32 v4, s2, v8 bitop3:0x54
	s_delay_alu instid0(VALU_DEP_3) | instskip(SKIP_1) | instid1(VALU_DEP_3)
	v_dual_mov_b32 v5, s3 :: v_dual_lshlrev_b32 v9, 2, v2
	s_wait_kmcnt 0x0
	v_mul_u64_e32 v[16:17], s[24:25], v[2:3]
	s_lshl_b32 s0, s40, 5
	s_mov_b32 s1, s35
	v_mul_u64_e32 v[18:19], s[10:11], v[4:5]
	v_dual_lshrrev_b32 v0, 5, v6 :: v_dual_lshlrev_b32 v8, 2, v8
	v_add_nc_u64_e32 v[6:7], s[0:1], v[14:15]
	v_add_nc_u64_e32 v[20:21], s[0:1], v[10:11]
	v_lshl_or_b32 v9, v14, 5, v9
	v_dual_mov_b32 v13, v1 :: v_dual_lshlrev_b32 v30, 2, v12
	v_lshl_or_b32 v28, v0, 7, v8
	v_cmp_gt_i64_e64 s0, s[4:5], v[4:5]
	v_cmp_gt_i64_e64 s1, s[6:7], v[6:7]
	v_add_nc_u32_e32 v29, 0x400, v9
	v_mul_u64_e32 v[6:7], s[28:29], v[20:21]
	v_mul_u64_e32 v[8:9], s[18:19], v[20:21]
	v_add_nc_u64_e32 v[4:5], s[2:3], v[12:13]
	v_lshl_add_u32 v31, v10, 5, 0x400
	v_add_nc_u64_e32 v[12:13], 16, v[20:21]
	s_cmp_eq_f32 s41, 0
	s_mov_b32 s11, s35
	v_cmp_gt_i64_e64 s2, s[6:7], v[20:21]
	s_delay_alu instid0(VALU_DEP_4)
	v_add_nc_u64_e32 v[10:11], 16, v[4:5]
	s_cselect_b32 s39, -1, 0
	s_lshl_b32 s10, s40, 6
	s_lshl_b64 s[26:27], s[26:27], 1
	v_cmp_gt_i64_e64 s3, s[4:5], v[4:5]
	s_add_nc_u64 s[10:11], s[26:27], s[10:11]
	v_cmp_gt_i64_e64 s26, s[36:37], 0
	v_cmp_gt_i64_e64 s4, s[4:5], v[10:11]
	;; [unrolled: 1-line block ×3, first 2 shown]
	s_lshl_b64 s[6:7], s[12:13], 1
	v_lshl_add_u64 v[10:11], v[16:17], 1, s[10:11]
	v_dual_mov_b32 v13, v1 :: v_dual_lshlrev_b32 v12, 1, v14
	v_lshl_add_u64 v[14:15], v[18:19], 1, s[6:7]
	v_dual_mov_b32 v17, v1 :: v_dual_lshlrev_b32 v16, 1, v0
	s_lshl_b64 s[6:7], s[28:29], 4
	s_delay_alu instid0(VALU_DEP_3)
	v_add_nc_u64_e32 v[10:11], v[10:11], v[12:13]
	s_mov_b32 s40, s38
	s_lshl_b64 s[10:11], s[18:19], 4
	v_add_nc_u64_e32 v[12:13], v[14:15], v[16:17]
	s_lshl_b64 s[12:13], s[24:25], 4
	s_lshl_b64 s[18:19], s[30:31], 1
	;; [unrolled: 1-line block ×3, first 2 shown]
	s_branch .LBB106_4
.LBB106_2:                              ;   in Loop: Header=BB106_4 Depth=1
	s_wait_xcnt 0x0
	s_or_b32 exec_lo, exec_lo, s24
.LBB106_3:                              ;   in Loop: Header=BB106_4 Depth=1
	s_add_co_i32 s34, s34, 0x10000
	s_delay_alu instid0(SALU_CYCLE_1)
	s_cmp_lt_i32 s34, s33
	s_cbranch_scc0 .LBB106_34
.LBB106_4:                              ; =>This Loop Header: Depth=1
                                        ;     Child Loop BB106_7 Depth 2
	v_dual_mov_b32 v14, s34 :: v_dual_mov_b32 v19, 0
	v_dual_mov_b32 v18, 0 :: v_dual_mov_b32 v15, 0
	s_and_not1_b32 vcc_lo, exec_lo, s26
	s_clause 0x1
	global_load_b64 v[16:17], v14, s[16:17] scale_offset
	global_load_b64 v[20:21], v14, s[22:23] scale_offset
	s_wait_xcnt 0x0
	v_mov_b32_e32 v14, 0
	s_cbranch_vccnz .LBB106_11
; %bb.5:                                ;   in Loop: Header=BB106_4 Depth=1
	s_lshl_b64 s[24:25], s[34:35], 3
	v_mov_b32_e32 v18, 0
	s_add_nc_u64 s[28:29], s[14:15], s[24:25]
	s_add_nc_u64 s[24:25], s[8:9], s[24:25]
	s_clause 0x1
	global_load_b64 v[14:15], v1, s[28:29]
	global_load_b64 v[24:25], v1, s[24:25]
	s_wait_xcnt 0x0
	s_mov_b64 s[24:25], 0
	v_mov_b32_e32 v19, v18
	s_wait_loadcnt 0x1
	v_add_nc_u64_e32 v[22:23], v[14:15], v[10:11]
	s_wait_loadcnt 0x0
	v_add_nc_u64_e32 v[24:25], v[24:25], v[12:13]
	v_dual_mov_b32 v14, v18 :: v_dual_mov_b32 v15, v18
	s_branch .LBB106_7
.LBB106_6:                              ;   in Loop: Header=BB106_7 Depth=2
	s_wait_xcnt 0x0
	s_or_b32 exec_lo, exec_lo, s27
	ds_store_b32 v29, v27
	s_wait_dscnt 0x0
	s_barrier_signal -1
	s_barrier_wait -1
	ds_load_b128 v[32:35], v31
	ds_load_2addr_b32 v[26:27], v30 offset1:16
	ds_load_b128 v[36:39], v31 offset:512
	ds_load_2addr_b32 v[48:49], v30 offset0:32 offset1:48
	ds_load_2addr_b32 v[50:51], v30 offset0:64 offset1:80
	;; [unrolled: 1-line block ×3, first 2 shown]
	ds_load_b128 v[40:43], v31 offset:16
	ds_load_2addr_b32 v[54:55], v30 offset0:128 offset1:144
	ds_load_b128 v[44:47], v31 offset:528
	s_add_nc_u64 s[24:25], s[24:25], 8
	v_add_nc_u64_e32 v[22:23], s[12:13], v[22:23]
	v_cmp_lt_i64_e64 s27, s[24:25], s[36:37]
	v_add_nc_u64_e32 v[24:25], 16, v[24:25]
	s_and_b32 vcc_lo, exec_lo, s27
	s_wait_dscnt 0x7
	v_pk_fma_f32 v[18:19], v[26:27], v[32:33], v[18:19] op_sel_hi:[1,0,1]
	s_wait_dscnt 0x6
	v_pk_fma_f32 v[14:15], v[26:27], v[36:37], v[14:15] op_sel_hi:[1,0,1]
	ds_load_2addr_b32 v[26:27], v30 offset0:160 offset1:176
	s_wait_dscnt 0x6
	v_pk_fma_f32 v[18:19], v[48:49], v[32:33], v[18:19] op_sel:[0,1,0]
	v_pk_fma_f32 v[14:15], v[48:49], v[36:37], v[14:15] op_sel:[0,1,0]
	ds_load_2addr_b32 v[32:33], v30 offset0:192 offset1:208
	v_dual_mov_b32 v36, v35 :: v_dual_mov_b32 v48, v39
	s_wait_dscnt 0x6
	v_pk_fma_f32 v[18:19], v[50:51], v[34:35], v[18:19] op_sel_hi:[1,0,1]
	v_pk_fma_f32 v[14:15], v[50:51], v[38:39], v[14:15] op_sel_hi:[1,0,1]
	ds_load_2addr_b32 v[34:35], v30 offset0:224 offset1:240
	s_wait_dscnt 0x0
	s_barrier_signal -1
	v_pk_fma_f32 v[18:19], v[52:53], v[36:37], v[18:19] op_sel_hi:[1,0,1]
	v_pk_fma_f32 v[14:15], v[52:53], v[48:49], v[14:15] op_sel_hi:[1,0,1]
	s_barrier_wait -1
	v_mov_b32_e32 v36, v47
	s_delay_alu instid0(VALU_DEP_3) | instskip(NEXT) | instid1(VALU_DEP_3)
	v_pk_fma_f32 v[18:19], v[54:55], v[40:41], v[18:19] op_sel_hi:[1,0,1]
	v_pk_fma_f32 v[14:15], v[54:55], v[44:45], v[14:15] op_sel_hi:[1,0,1]
	s_delay_alu instid0(VALU_DEP_2) | instskip(NEXT) | instid1(VALU_DEP_2)
	v_pk_fma_f32 v[18:19], v[26:27], v[40:41], v[18:19] op_sel:[0,1,0]
	v_pk_fma_f32 v[14:15], v[26:27], v[44:45], v[14:15] op_sel:[0,1,0]
	v_mov_b32_e32 v26, v43
	s_delay_alu instid0(VALU_DEP_3) | instskip(NEXT) | instid1(VALU_DEP_3)
	v_pk_fma_f32 v[18:19], v[32:33], v[42:43], v[18:19] op_sel_hi:[1,0,1]
	v_pk_fma_f32 v[14:15], v[32:33], v[46:47], v[14:15] op_sel_hi:[1,0,1]
	s_delay_alu instid0(VALU_DEP_2) | instskip(NEXT) | instid1(VALU_DEP_2)
	v_pk_fma_f32 v[18:19], v[34:35], v[26:27], v[18:19] op_sel_hi:[1,0,1]
	v_pk_fma_f32 v[14:15], v[34:35], v[36:37], v[14:15] op_sel_hi:[1,0,1]
	s_cbranch_vccz .LBB106_11
.LBB106_7:                              ;   Parent Loop BB106_4 Depth=1
                                        ; =>  This Inner Loop Header: Depth=2
	v_add_nc_u64_e32 v[26:27], s[24:25], v[0:1]
	s_delay_alu instid0(VALU_DEP_1) | instskip(SKIP_2) | instid1(SALU_CYCLE_1)
	v_cmp_gt_i64_e32 vcc_lo, s[36:37], v[26:27]
	v_mov_b32_e32 v26, 0
	s_and_b32 s28, s0, vcc_lo
	s_and_saveexec_b32 s27, s28
	s_cbranch_execz .LBB106_9
; %bb.8:                                ;   in Loop: Header=BB106_7 Depth=2
	flat_load_u16 v26, v[24:25]
	s_wait_loadcnt_dscnt 0x0
	v_cvt_f32_f16_e32 v26, v26
.LBB106_9:                              ;   in Loop: Header=BB106_7 Depth=2
	s_wait_xcnt 0x0
	s_or_b32 exec_lo, exec_lo, s27
	v_add_nc_u64_e32 v[32:33], s[24:25], v[2:3]
	v_mov_b32_e32 v27, 0
	ds_store_b32 v28, v26
	v_cmp_gt_i64_e32 vcc_lo, s[36:37], v[32:33]
	s_and_b32 s28, vcc_lo, s1
	s_delay_alu instid0(SALU_CYCLE_1)
	s_and_saveexec_b32 s27, s28
	s_cbranch_execz .LBB106_6
; %bb.10:                               ;   in Loop: Header=BB106_7 Depth=2
	flat_load_u16 v26, v[22:23]
	s_wait_loadcnt_dscnt 0x0
	v_cvt_f32_f16_e32 v27, v26
	s_branch .LBB106_6
.LBB106_11:                             ;   in Loop: Header=BB106_4 Depth=1
	s_wait_loadcnt 0x0
	v_add_nc_u64_e32 v[20:21], s[18:19], v[20:21]
	s_and_not1_b32 vcc_lo, exec_lo, s39
	s_cbranch_vccnz .LBB106_16
; %bb.12:                               ;   in Loop: Header=BB106_4 Depth=1
	s_and_saveexec_b32 s24, s2
	s_cbranch_execz .LBB106_23
; %bb.13:                               ;   in Loop: Header=BB106_4 Depth=1
	s_delay_alu instid0(VALU_DEP_1) | instskip(NEXT) | instid1(VALU_DEP_1)
	v_lshl_add_u64 v[22:23], v[6:7], 1, v[20:21]
	v_lshl_add_u64 v[24:25], v[4:5], 1, v[22:23]
	s_and_saveexec_b32 s25, s3
	s_cbranch_execnz .LBB106_17
; %bb.14:                               ;   in Loop: Header=BB106_4 Depth=1
	s_or_b32 exec_lo, exec_lo, s25
	s_and_saveexec_b32 s25, s4
	s_cbranch_execnz .LBB106_18
.LBB106_15:                             ;   in Loop: Header=BB106_4 Depth=1
	s_or_b32 exec_lo, exec_lo, s25
	s_delay_alu instid0(SALU_CYCLE_1)
	s_and_b32 exec_lo, exec_lo, s5
	s_cbranch_execnz .LBB106_19
	s_branch .LBB106_23
.LBB106_16:                             ;   in Loop: Header=BB106_4 Depth=1
	s_branch .LBB106_24
.LBB106_17:                             ;   in Loop: Header=BB106_4 Depth=1
	v_fma_mixlo_f16 v26, s38, v18, 0
	flat_store_b16 v[24:25], v26
	s_wait_xcnt 0x0
	s_or_b32 exec_lo, exec_lo, s25
	s_and_saveexec_b32 s25, s4
	s_cbranch_execz .LBB106_15
.LBB106_18:                             ;   in Loop: Header=BB106_4 Depth=1
	v_fma_mixlo_f16 v26, s38, v19, 0
	flat_store_b16 v[24:25], v26 offset:32
	s_wait_xcnt 0x0
	s_or_b32 exec_lo, exec_lo, s25
	s_delay_alu instid0(SALU_CYCLE_1)
	s_and_b32 exec_lo, exec_lo, s5
	s_cbranch_execz .LBB106_23
.LBB106_19:                             ;   in Loop: Header=BB106_4 Depth=1
	v_lshl_add_u64 v[22:23], s[6:7], 1, v[22:23]
	s_delay_alu instid0(VALU_DEP_1)
	v_lshl_add_u64 v[22:23], v[4:5], 1, v[22:23]
	s_and_saveexec_b32 s25, s3
	s_cbranch_execz .LBB106_21
; %bb.20:                               ;   in Loop: Header=BB106_4 Depth=1
	v_fma_mixlo_f16 v24, s38, v14, 0
	flat_store_b16 v[22:23], v24
.LBB106_21:                             ;   in Loop: Header=BB106_4 Depth=1
	s_wait_xcnt 0x0
	s_or_b32 exec_lo, exec_lo, s25
	s_delay_alu instid0(SALU_CYCLE_1)
	s_and_b32 exec_lo, exec_lo, s4
	s_cbranch_execz .LBB106_23
; %bb.22:                               ;   in Loop: Header=BB106_4 Depth=1
	v_fma_mixlo_f16 v24, s38, v15, 0
	flat_store_b16 v[22:23], v24 offset:32
.LBB106_23:                             ;   in Loop: Header=BB106_4 Depth=1
	s_wait_xcnt 0x0
	s_or_b32 exec_lo, exec_lo, s24
	s_cbranch_execnz .LBB106_3
.LBB106_24:                             ;   in Loop: Header=BB106_4 Depth=1
	s_and_saveexec_b32 s24, s2
	s_cbranch_execz .LBB106_2
; %bb.25:                               ;   in Loop: Header=BB106_4 Depth=1
	v_add_nc_u64_e32 v[22:23], s[20:21], v[16:17]
	v_lshlrev_b64_e32 v[16:17], 1, v[4:5]
	v_lshl_add_u64 v[20:21], v[6:7], 1, v[20:21]
	s_delay_alu instid0(VALU_DEP_3) | instskip(NEXT) | instid1(VALU_DEP_2)
	v_lshl_add_u64 v[22:23], v[8:9], 1, v[22:23]
	v_add_nc_u64_e32 v[24:25], v[20:21], v[16:17]
	s_delay_alu instid0(VALU_DEP_2)
	v_add_nc_u64_e32 v[26:27], v[22:23], v[16:17]
	s_and_saveexec_b32 s25, s3
	s_cbranch_execnz .LBB106_28
; %bb.26:                               ;   in Loop: Header=BB106_4 Depth=1
	s_or_b32 exec_lo, exec_lo, s25
	s_and_saveexec_b32 s25, s4
	s_cbranch_execnz .LBB106_29
.LBB106_27:                             ;   in Loop: Header=BB106_4 Depth=1
	s_or_b32 exec_lo, exec_lo, s25
	s_delay_alu instid0(SALU_CYCLE_1)
	s_and_b32 exec_lo, exec_lo, s5
	s_cbranch_execz .LBB106_2
	s_branch .LBB106_30
.LBB106_28:                             ;   in Loop: Header=BB106_4 Depth=1
	flat_load_u16 v33, v[26:27]
	v_mov_b64_e32 v[34:35], s[40:41]
	v_mov_b32_e32 v32, v18
	s_wait_loadcnt_dscnt 0x0
	v_cvt_f32_f16_e32 v33, v33
	s_delay_alu instid0(VALU_DEP_1) | instskip(NEXT) | instid1(VALU_DEP_1)
	v_pk_mul_f32 v[32:33], v[34:35], v[32:33]
	v_add_f32_e32 v18, v32, v33
	s_delay_alu instid0(VALU_DEP_1)
	v_cvt_f16_f32_e32 v18, v18
	flat_store_b16 v[24:25], v18
	s_wait_xcnt 0x0
	s_or_b32 exec_lo, exec_lo, s25
	s_and_saveexec_b32 s25, s4
	s_cbranch_execz .LBB106_27
.LBB106_29:                             ;   in Loop: Header=BB106_4 Depth=1
	flat_load_u16 v26, v[26:27] offset:32
	v_mov_b32_e32 v18, v19
	s_wait_loadcnt_dscnt 0x0
	v_cvt_f32_f16_e32 v19, v26
	s_wait_xcnt 0x0
	v_mov_b64_e32 v[26:27], s[40:41]
	s_delay_alu instid0(VALU_DEP_1) | instskip(NEXT) | instid1(VALU_DEP_1)
	v_pk_mul_f32 v[18:19], v[26:27], v[18:19]
	v_add_f32_e32 v18, v18, v19
	s_delay_alu instid0(VALU_DEP_1) | instskip(SKIP_3) | instid1(SALU_CYCLE_1)
	v_cvt_f16_f32_e32 v18, v18
	flat_store_b16 v[24:25], v18 offset:32
	s_wait_xcnt 0x0
	s_or_b32 exec_lo, exec_lo, s25
	s_and_b32 exec_lo, exec_lo, s5
	s_cbranch_execz .LBB106_2
.LBB106_30:                             ;   in Loop: Header=BB106_4 Depth=1
	v_lshl_add_u64 v[18:19], s[10:11], 1, v[22:23]
	v_lshl_add_u64 v[20:21], s[6:7], 1, v[20:21]
	s_delay_alu instid0(VALU_DEP_2) | instskip(NEXT) | instid1(VALU_DEP_2)
	v_add_nc_u64_e32 v[18:19], v[18:19], v[16:17]
	v_add_nc_u64_e32 v[16:17], v[20:21], v[16:17]
	s_and_saveexec_b32 s25, s3
	s_cbranch_execz .LBB106_32
; %bb.31:                               ;   in Loop: Header=BB106_4 Depth=1
	flat_load_u16 v21, v[18:19]
	v_mov_b64_e32 v[22:23], s[40:41]
	v_mov_b32_e32 v20, v14
	s_wait_loadcnt_dscnt 0x0
	v_cvt_f32_f16_e32 v21, v21
	s_delay_alu instid0(VALU_DEP_1) | instskip(NEXT) | instid1(VALU_DEP_1)
	v_pk_mul_f32 v[20:21], v[22:23], v[20:21]
	v_add_f32_e32 v14, v20, v21
	s_delay_alu instid0(VALU_DEP_1)
	v_cvt_f16_f32_e32 v14, v14
	flat_store_b16 v[16:17], v14
.LBB106_32:                             ;   in Loop: Header=BB106_4 Depth=1
	s_wait_xcnt 0x0
	s_or_b32 exec_lo, exec_lo, s25
	s_delay_alu instid0(SALU_CYCLE_1)
	s_and_b32 exec_lo, exec_lo, s4
	s_cbranch_execz .LBB106_2
; %bb.33:                               ;   in Loop: Header=BB106_4 Depth=1
	flat_load_u16 v18, v[18:19] offset:32
	v_mov_b32_e32 v14, v15
	s_wait_loadcnt_dscnt 0x0
	v_cvt_f32_f16_e32 v15, v18
	s_wait_xcnt 0x0
	v_mov_b64_e32 v[18:19], s[40:41]
	s_delay_alu instid0(VALU_DEP_1) | instskip(NEXT) | instid1(VALU_DEP_1)
	v_pk_mul_f32 v[14:15], v[18:19], v[14:15]
	v_add_f32_e32 v14, v14, v15
	s_delay_alu instid0(VALU_DEP_1)
	v_cvt_f16_f32_e32 v14, v14
	flat_store_b16 v[16:17], v14 offset:32
	s_branch .LBB106_2
.LBB106_34:
	s_endpgm
	.section	.rodata,"a",@progbits
	.p2align	6, 0x0
	.amdhsa_kernel _ZN12_GLOBAL__N_135rocblas_gemm_batched_general_kernelIfLi16ELi16ELi32ELi32ELi8ELi32ELi8ELi8ELi32ELc84ELc84EKPKDF16_S3_KPDF16_EEvlllT_PT11_llS8_llS6_PT12_llPT13_lli
		.amdhsa_group_segment_fixed_size 2048
		.amdhsa_private_segment_fixed_size 0
		.amdhsa_kernarg_size 140
		.amdhsa_user_sgpr_count 2
		.amdhsa_user_sgpr_dispatch_ptr 0
		.amdhsa_user_sgpr_queue_ptr 0
		.amdhsa_user_sgpr_kernarg_segment_ptr 1
		.amdhsa_user_sgpr_dispatch_id 0
		.amdhsa_user_sgpr_kernarg_preload_length 0
		.amdhsa_user_sgpr_kernarg_preload_offset 0
		.amdhsa_user_sgpr_private_segment_size 0
		.amdhsa_wavefront_size32 1
		.amdhsa_uses_dynamic_stack 0
		.amdhsa_enable_private_segment 0
		.amdhsa_system_sgpr_workgroup_id_x 1
		.amdhsa_system_sgpr_workgroup_id_y 1
		.amdhsa_system_sgpr_workgroup_id_z 1
		.amdhsa_system_sgpr_workgroup_info 0
		.amdhsa_system_vgpr_workitem_id 1
		.amdhsa_next_free_vgpr 56
		.amdhsa_next_free_sgpr 42
		.amdhsa_named_barrier_count 0
		.amdhsa_reserve_vcc 1
		.amdhsa_float_round_mode_32 0
		.amdhsa_float_round_mode_16_64 0
		.amdhsa_float_denorm_mode_32 3
		.amdhsa_float_denorm_mode_16_64 3
		.amdhsa_fp16_overflow 0
		.amdhsa_memory_ordered 1
		.amdhsa_forward_progress 1
		.amdhsa_inst_pref_size 15
		.amdhsa_round_robin_scheduling 0
		.amdhsa_exception_fp_ieee_invalid_op 0
		.amdhsa_exception_fp_denorm_src 0
		.amdhsa_exception_fp_ieee_div_zero 0
		.amdhsa_exception_fp_ieee_overflow 0
		.amdhsa_exception_fp_ieee_underflow 0
		.amdhsa_exception_fp_ieee_inexact 0
		.amdhsa_exception_int_div_zero 0
	.end_amdhsa_kernel
	.section	.text._ZN12_GLOBAL__N_135rocblas_gemm_batched_general_kernelIfLi16ELi16ELi32ELi32ELi8ELi32ELi8ELi8ELi32ELc84ELc84EKPKDF16_S3_KPDF16_EEvlllT_PT11_llS8_llS6_PT12_llPT13_lli,"axG",@progbits,_ZN12_GLOBAL__N_135rocblas_gemm_batched_general_kernelIfLi16ELi16ELi32ELi32ELi8ELi32ELi8ELi8ELi32ELc84ELc84EKPKDF16_S3_KPDF16_EEvlllT_PT11_llS8_llS6_PT12_llPT13_lli,comdat
.Lfunc_end106:
	.size	_ZN12_GLOBAL__N_135rocblas_gemm_batched_general_kernelIfLi16ELi16ELi32ELi32ELi8ELi32ELi8ELi8ELi32ELc84ELc84EKPKDF16_S3_KPDF16_EEvlllT_PT11_llS8_llS6_PT12_llPT13_lli, .Lfunc_end106-_ZN12_GLOBAL__N_135rocblas_gemm_batched_general_kernelIfLi16ELi16ELi32ELi32ELi8ELi32ELi8ELi8ELi32ELc84ELc84EKPKDF16_S3_KPDF16_EEvlllT_PT11_llS8_llS6_PT12_llPT13_lli
                                        ; -- End function
	.set _ZN12_GLOBAL__N_135rocblas_gemm_batched_general_kernelIfLi16ELi16ELi32ELi32ELi8ELi32ELi8ELi8ELi32ELc84ELc84EKPKDF16_S3_KPDF16_EEvlllT_PT11_llS8_llS6_PT12_llPT13_lli.num_vgpr, 56
	.set _ZN12_GLOBAL__N_135rocblas_gemm_batched_general_kernelIfLi16ELi16ELi32ELi32ELi8ELi32ELi8ELi8ELi32ELc84ELc84EKPKDF16_S3_KPDF16_EEvlllT_PT11_llS8_llS6_PT12_llPT13_lli.num_agpr, 0
	.set _ZN12_GLOBAL__N_135rocblas_gemm_batched_general_kernelIfLi16ELi16ELi32ELi32ELi8ELi32ELi8ELi8ELi32ELc84ELc84EKPKDF16_S3_KPDF16_EEvlllT_PT11_llS8_llS6_PT12_llPT13_lli.numbered_sgpr, 42
	.set _ZN12_GLOBAL__N_135rocblas_gemm_batched_general_kernelIfLi16ELi16ELi32ELi32ELi8ELi32ELi8ELi8ELi32ELc84ELc84EKPKDF16_S3_KPDF16_EEvlllT_PT11_llS8_llS6_PT12_llPT13_lli.num_named_barrier, 0
	.set _ZN12_GLOBAL__N_135rocblas_gemm_batched_general_kernelIfLi16ELi16ELi32ELi32ELi8ELi32ELi8ELi8ELi32ELc84ELc84EKPKDF16_S3_KPDF16_EEvlllT_PT11_llS8_llS6_PT12_llPT13_lli.private_seg_size, 0
	.set _ZN12_GLOBAL__N_135rocblas_gemm_batched_general_kernelIfLi16ELi16ELi32ELi32ELi8ELi32ELi8ELi8ELi32ELc84ELc84EKPKDF16_S3_KPDF16_EEvlllT_PT11_llS8_llS6_PT12_llPT13_lli.uses_vcc, 1
	.set _ZN12_GLOBAL__N_135rocblas_gemm_batched_general_kernelIfLi16ELi16ELi32ELi32ELi8ELi32ELi8ELi8ELi32ELc84ELc84EKPKDF16_S3_KPDF16_EEvlllT_PT11_llS8_llS6_PT12_llPT13_lli.uses_flat_scratch, 0
	.set _ZN12_GLOBAL__N_135rocblas_gemm_batched_general_kernelIfLi16ELi16ELi32ELi32ELi8ELi32ELi8ELi8ELi32ELc84ELc84EKPKDF16_S3_KPDF16_EEvlllT_PT11_llS8_llS6_PT12_llPT13_lli.has_dyn_sized_stack, 0
	.set _ZN12_GLOBAL__N_135rocblas_gemm_batched_general_kernelIfLi16ELi16ELi32ELi32ELi8ELi32ELi8ELi8ELi32ELc84ELc84EKPKDF16_S3_KPDF16_EEvlllT_PT11_llS8_llS6_PT12_llPT13_lli.has_recursion, 0
	.set _ZN12_GLOBAL__N_135rocblas_gemm_batched_general_kernelIfLi16ELi16ELi32ELi32ELi8ELi32ELi8ELi8ELi32ELc84ELc84EKPKDF16_S3_KPDF16_EEvlllT_PT11_llS8_llS6_PT12_llPT13_lli.has_indirect_call, 0
	.section	.AMDGPU.csdata,"",@progbits
; Kernel info:
; codeLenInByte = 1908
; TotalNumSgprs: 44
; NumVgprs: 56
; ScratchSize: 0
; MemoryBound: 0
; FloatMode: 240
; IeeeMode: 1
; LDSByteSize: 2048 bytes/workgroup (compile time only)
; SGPRBlocks: 0
; VGPRBlocks: 3
; NumSGPRsForWavesPerEU: 44
; NumVGPRsForWavesPerEU: 56
; NamedBarCnt: 0
; Occupancy: 16
; WaveLimiterHint : 1
; COMPUTE_PGM_RSRC2:SCRATCH_EN: 0
; COMPUTE_PGM_RSRC2:USER_SGPR: 2
; COMPUTE_PGM_RSRC2:TRAP_HANDLER: 0
; COMPUTE_PGM_RSRC2:TGID_X_EN: 1
; COMPUTE_PGM_RSRC2:TGID_Y_EN: 1
; COMPUTE_PGM_RSRC2:TGID_Z_EN: 1
; COMPUTE_PGM_RSRC2:TIDIG_COMP_CNT: 1
	.section	.text._ZN12_GLOBAL__N_135rocblas_gemm_batched_general_kernelIfLi16ELi16ELi32ELi32ELi8ELi32ELi8ELi8ELi32ELc67ELc67EKPKDF16_S3_KPDF16_EEvlllT_PT11_llS8_llS6_PT12_llPT13_lli,"axG",@progbits,_ZN12_GLOBAL__N_135rocblas_gemm_batched_general_kernelIfLi16ELi16ELi32ELi32ELi8ELi32ELi8ELi8ELi32ELc67ELc67EKPKDF16_S3_KPDF16_EEvlllT_PT11_llS8_llS6_PT12_llPT13_lli,comdat
	.globl	_ZN12_GLOBAL__N_135rocblas_gemm_batched_general_kernelIfLi16ELi16ELi32ELi32ELi8ELi32ELi8ELi8ELi32ELc67ELc67EKPKDF16_S3_KPDF16_EEvlllT_PT11_llS8_llS6_PT12_llPT13_lli ; -- Begin function _ZN12_GLOBAL__N_135rocblas_gemm_batched_general_kernelIfLi16ELi16ELi32ELi32ELi8ELi32ELi8ELi8ELi32ELc67ELc67EKPKDF16_S3_KPDF16_EEvlllT_PT11_llS8_llS6_PT12_llPT13_lli
	.p2align	8
	.type	_ZN12_GLOBAL__N_135rocblas_gemm_batched_general_kernelIfLi16ELi16ELi32ELi32ELi8ELi32ELi8ELi8ELi32ELc67ELc67EKPKDF16_S3_KPDF16_EEvlllT_PT11_llS8_llS6_PT12_llPT13_lli,@function
_ZN12_GLOBAL__N_135rocblas_gemm_batched_general_kernelIfLi16ELi16ELi32ELi32ELi8ELi32ELi8ELi8ELi32ELc67ELc67EKPKDF16_S3_KPDF16_EEvlllT_PT11_llS8_llS6_PT12_llPT13_lli: ; @_ZN12_GLOBAL__N_135rocblas_gemm_batched_general_kernelIfLi16ELi16ELi32ELi32ELi8ELi32ELi8ELi8ELi32ELc67ELc67EKPKDF16_S3_KPDF16_EEvlllT_PT11_llS8_llS6_PT12_llPT13_lli
; %bb.0:
	s_load_b32 s33, s[0:1], 0x88
	s_bfe_u32 s2, ttmp6, 0x40014
	s_lshr_b32 s3, ttmp7, 16
	s_add_co_i32 s2, s2, 1
	s_bfe_u32 s5, ttmp6, 0x40008
	s_mul_i32 s4, s3, s2
	s_getreg_b32 s2, hwreg(HW_REG_IB_STS2, 6, 4)
	s_add_co_i32 s5, s5, s4
	s_cmp_eq_u32 s2, 0
	s_mov_b32 s35, 0
	s_cselect_b32 s34, s3, s5
	s_wait_kmcnt 0x0
	s_cmp_ge_i32 s34, s33
	s_cbranch_scc1 .LBB107_34
; %bb.1:
	v_bfe_u32 v10, v0, 10, 10
	v_and_b32_e32 v12, 0x3ff, v0
	s_clause 0x6
	s_load_b128 s[4:7], s[0:1], 0x0
	s_load_b96 s[36:38], s[0:1], 0x10
	s_load_b256 s[8:15], s[0:1], 0x20
	s_load_b128 s[24:27], s[0:1], 0x40
	s_load_b32 s41, s[0:1], 0x50
	s_load_b128 s[28:31], s[0:1], 0x78
	s_load_b256 s[16:23], s[0:1], 0x58
	s_wait_xcnt 0x0
	s_bfe_u32 s0, ttmp6, 0x4000c
	s_bfe_u32 s3, ttmp6, 0x40010
	s_add_co_i32 s0, s0, 1
	s_and_b32 s39, ttmp7, 0xffff
	s_add_co_i32 s3, s3, 1
	s_and_b32 s1, ttmp6, 15
	s_mul_i32 s0, ttmp9, s0
	s_mul_i32 s3, s39, s3
	s_bfe_u32 s40, ttmp6, 0x40004
	v_lshl_add_u32 v6, v10, 4, v12
	s_add_co_i32 s1, s1, s0
	s_add_co_i32 s40, s40, s3
	s_cmp_eq_u32 s2, 0
	s_delay_alu instid0(VALU_DEP_1) | instskip(SKIP_3) | instid1(VALU_DEP_1)
	v_dual_mov_b32 v1, 0 :: v_dual_bitop2_b32 v8, 31, v6 bitop3:0x40
	s_cselect_b32 s0, ttmp9, s1
	s_cselect_b32 s40, s39, s40
	s_ashr_i32 s1, s0, 31
	v_dual_mov_b32 v11, v1 :: v_dual_bitop2_b32 v2, 7, v0 bitop3:0x40
	s_lshl_b64 s[2:3], s[0:1], 5
	v_dual_mov_b32 v3, v1 :: v_dual_lshrrev_b32 v14, 3, v6
	v_dual_mov_b32 v15, v1 :: v_dual_bitop2_b32 v4, s2, v8 bitop3:0x54
	s_delay_alu instid0(VALU_DEP_3) | instskip(SKIP_1) | instid1(VALU_DEP_3)
	v_dual_mov_b32 v5, s3 :: v_dual_lshlrev_b32 v9, 2, v2
	s_wait_kmcnt 0x0
	v_mul_u64_e32 v[16:17], s[24:25], v[2:3]
	s_lshl_b32 s0, s40, 5
	s_mov_b32 s1, s35
	v_mul_u64_e32 v[18:19], s[10:11], v[4:5]
	v_dual_lshrrev_b32 v0, 5, v6 :: v_dual_lshlrev_b32 v8, 2, v8
	v_add_nc_u64_e32 v[6:7], s[0:1], v[14:15]
	v_add_nc_u64_e32 v[20:21], s[0:1], v[10:11]
	v_lshl_or_b32 v9, v14, 5, v9
	v_dual_mov_b32 v13, v1 :: v_dual_lshlrev_b32 v30, 2, v12
	v_lshl_or_b32 v28, v0, 7, v8
	v_cmp_gt_i64_e64 s0, s[4:5], v[4:5]
	v_cmp_gt_i64_e64 s1, s[6:7], v[6:7]
	v_add_nc_u32_e32 v29, 0x400, v9
	v_mul_u64_e32 v[6:7], s[28:29], v[20:21]
	v_mul_u64_e32 v[8:9], s[18:19], v[20:21]
	v_add_nc_u64_e32 v[4:5], s[2:3], v[12:13]
	v_lshl_add_u32 v31, v10, 5, 0x400
	v_add_nc_u64_e32 v[12:13], 16, v[20:21]
	s_cmp_eq_f32 s41, 0
	s_mov_b32 s11, s35
	v_cmp_gt_i64_e64 s2, s[6:7], v[20:21]
	s_delay_alu instid0(VALU_DEP_4)
	v_add_nc_u64_e32 v[10:11], 16, v[4:5]
	s_cselect_b32 s39, -1, 0
	s_lshl_b32 s10, s40, 6
	s_lshl_b64 s[26:27], s[26:27], 1
	v_cmp_gt_i64_e64 s3, s[4:5], v[4:5]
	s_add_nc_u64 s[10:11], s[26:27], s[10:11]
	v_cmp_gt_i64_e64 s26, s[36:37], 0
	v_cmp_gt_i64_e64 s4, s[4:5], v[10:11]
	;; [unrolled: 1-line block ×3, first 2 shown]
	s_lshl_b64 s[6:7], s[12:13], 1
	v_lshl_add_u64 v[10:11], v[16:17], 1, s[10:11]
	v_dual_mov_b32 v13, v1 :: v_dual_lshlrev_b32 v12, 1, v14
	v_lshl_add_u64 v[14:15], v[18:19], 1, s[6:7]
	v_dual_mov_b32 v17, v1 :: v_dual_lshlrev_b32 v16, 1, v0
	s_lshl_b64 s[6:7], s[28:29], 4
	s_delay_alu instid0(VALU_DEP_3)
	v_add_nc_u64_e32 v[10:11], v[10:11], v[12:13]
	s_mov_b32 s40, s38
	s_lshl_b64 s[10:11], s[18:19], 4
	v_add_nc_u64_e32 v[12:13], v[14:15], v[16:17]
	s_lshl_b64 s[12:13], s[24:25], 4
	s_lshl_b64 s[18:19], s[30:31], 1
	;; [unrolled: 1-line block ×3, first 2 shown]
	s_branch .LBB107_4
.LBB107_2:                              ;   in Loop: Header=BB107_4 Depth=1
	s_wait_xcnt 0x0
	s_or_b32 exec_lo, exec_lo, s24
.LBB107_3:                              ;   in Loop: Header=BB107_4 Depth=1
	s_add_co_i32 s34, s34, 0x10000
	s_delay_alu instid0(SALU_CYCLE_1)
	s_cmp_lt_i32 s34, s33
	s_cbranch_scc0 .LBB107_34
.LBB107_4:                              ; =>This Loop Header: Depth=1
                                        ;     Child Loop BB107_7 Depth 2
	v_dual_mov_b32 v14, s34 :: v_dual_mov_b32 v19, 0
	v_dual_mov_b32 v18, 0 :: v_dual_mov_b32 v15, 0
	s_and_not1_b32 vcc_lo, exec_lo, s26
	s_clause 0x1
	global_load_b64 v[16:17], v14, s[16:17] scale_offset
	global_load_b64 v[20:21], v14, s[22:23] scale_offset
	s_wait_xcnt 0x0
	v_mov_b32_e32 v14, 0
	s_cbranch_vccnz .LBB107_11
; %bb.5:                                ;   in Loop: Header=BB107_4 Depth=1
	s_lshl_b64 s[24:25], s[34:35], 3
	v_mov_b32_e32 v18, 0
	s_add_nc_u64 s[28:29], s[14:15], s[24:25]
	s_add_nc_u64 s[24:25], s[8:9], s[24:25]
	s_clause 0x1
	global_load_b64 v[14:15], v1, s[28:29]
	global_load_b64 v[24:25], v1, s[24:25]
	s_wait_xcnt 0x0
	s_mov_b64 s[24:25], 0
	v_mov_b32_e32 v19, v18
	s_wait_loadcnt 0x1
	v_add_nc_u64_e32 v[22:23], v[14:15], v[10:11]
	s_wait_loadcnt 0x0
	v_add_nc_u64_e32 v[24:25], v[24:25], v[12:13]
	v_dual_mov_b32 v14, v18 :: v_dual_mov_b32 v15, v18
	s_branch .LBB107_7
.LBB107_6:                              ;   in Loop: Header=BB107_7 Depth=2
	s_wait_xcnt 0x0
	s_or_b32 exec_lo, exec_lo, s27
	ds_store_b32 v29, v27
	s_wait_dscnt 0x0
	s_barrier_signal -1
	s_barrier_wait -1
	ds_load_b128 v[32:35], v31
	ds_load_2addr_b32 v[26:27], v30 offset1:16
	ds_load_b128 v[36:39], v31 offset:512
	ds_load_2addr_b32 v[48:49], v30 offset0:32 offset1:48
	ds_load_2addr_b32 v[50:51], v30 offset0:64 offset1:80
	;; [unrolled: 1-line block ×3, first 2 shown]
	ds_load_b128 v[40:43], v31 offset:16
	ds_load_2addr_b32 v[54:55], v30 offset0:128 offset1:144
	ds_load_b128 v[44:47], v31 offset:528
	s_add_nc_u64 s[24:25], s[24:25], 8
	v_add_nc_u64_e32 v[22:23], s[12:13], v[22:23]
	v_cmp_lt_i64_e64 s27, s[24:25], s[36:37]
	v_add_nc_u64_e32 v[24:25], 16, v[24:25]
	s_and_b32 vcc_lo, exec_lo, s27
	s_wait_dscnt 0x7
	v_pk_fma_f32 v[18:19], v[26:27], v[32:33], v[18:19] op_sel_hi:[1,0,1]
	s_wait_dscnt 0x6
	v_pk_fma_f32 v[14:15], v[26:27], v[36:37], v[14:15] op_sel_hi:[1,0,1]
	ds_load_2addr_b32 v[26:27], v30 offset0:160 offset1:176
	s_wait_dscnt 0x6
	v_pk_fma_f32 v[18:19], v[48:49], v[32:33], v[18:19] op_sel:[0,1,0]
	v_pk_fma_f32 v[14:15], v[48:49], v[36:37], v[14:15] op_sel:[0,1,0]
	ds_load_2addr_b32 v[32:33], v30 offset0:192 offset1:208
	v_dual_mov_b32 v36, v35 :: v_dual_mov_b32 v48, v39
	s_wait_dscnt 0x6
	v_pk_fma_f32 v[18:19], v[50:51], v[34:35], v[18:19] op_sel_hi:[1,0,1]
	v_pk_fma_f32 v[14:15], v[50:51], v[38:39], v[14:15] op_sel_hi:[1,0,1]
	ds_load_2addr_b32 v[34:35], v30 offset0:224 offset1:240
	s_wait_dscnt 0x0
	s_barrier_signal -1
	v_pk_fma_f32 v[18:19], v[52:53], v[36:37], v[18:19] op_sel_hi:[1,0,1]
	v_pk_fma_f32 v[14:15], v[52:53], v[48:49], v[14:15] op_sel_hi:[1,0,1]
	s_barrier_wait -1
	v_mov_b32_e32 v36, v47
	s_delay_alu instid0(VALU_DEP_3) | instskip(NEXT) | instid1(VALU_DEP_3)
	v_pk_fma_f32 v[18:19], v[54:55], v[40:41], v[18:19] op_sel_hi:[1,0,1]
	v_pk_fma_f32 v[14:15], v[54:55], v[44:45], v[14:15] op_sel_hi:[1,0,1]
	s_delay_alu instid0(VALU_DEP_2) | instskip(NEXT) | instid1(VALU_DEP_2)
	v_pk_fma_f32 v[18:19], v[26:27], v[40:41], v[18:19] op_sel:[0,1,0]
	v_pk_fma_f32 v[14:15], v[26:27], v[44:45], v[14:15] op_sel:[0,1,0]
	v_mov_b32_e32 v26, v43
	s_delay_alu instid0(VALU_DEP_3) | instskip(NEXT) | instid1(VALU_DEP_3)
	v_pk_fma_f32 v[18:19], v[32:33], v[42:43], v[18:19] op_sel_hi:[1,0,1]
	v_pk_fma_f32 v[14:15], v[32:33], v[46:47], v[14:15] op_sel_hi:[1,0,1]
	s_delay_alu instid0(VALU_DEP_2) | instskip(NEXT) | instid1(VALU_DEP_2)
	v_pk_fma_f32 v[18:19], v[34:35], v[26:27], v[18:19] op_sel_hi:[1,0,1]
	v_pk_fma_f32 v[14:15], v[34:35], v[36:37], v[14:15] op_sel_hi:[1,0,1]
	s_cbranch_vccz .LBB107_11
.LBB107_7:                              ;   Parent Loop BB107_4 Depth=1
                                        ; =>  This Inner Loop Header: Depth=2
	v_add_nc_u64_e32 v[26:27], s[24:25], v[0:1]
	s_delay_alu instid0(VALU_DEP_1) | instskip(SKIP_2) | instid1(SALU_CYCLE_1)
	v_cmp_gt_i64_e32 vcc_lo, s[36:37], v[26:27]
	v_mov_b32_e32 v26, 0
	s_and_b32 s28, s0, vcc_lo
	s_and_saveexec_b32 s27, s28
	s_cbranch_execz .LBB107_9
; %bb.8:                                ;   in Loop: Header=BB107_7 Depth=2
	flat_load_u16 v26, v[24:25]
	s_wait_loadcnt_dscnt 0x0
	v_cvt_f32_f16_e32 v26, v26
.LBB107_9:                              ;   in Loop: Header=BB107_7 Depth=2
	s_wait_xcnt 0x0
	s_or_b32 exec_lo, exec_lo, s27
	v_add_nc_u64_e32 v[32:33], s[24:25], v[2:3]
	v_mov_b32_e32 v27, 0
	ds_store_b32 v28, v26
	v_cmp_gt_i64_e32 vcc_lo, s[36:37], v[32:33]
	s_and_b32 s28, vcc_lo, s1
	s_delay_alu instid0(SALU_CYCLE_1)
	s_and_saveexec_b32 s27, s28
	s_cbranch_execz .LBB107_6
; %bb.10:                               ;   in Loop: Header=BB107_7 Depth=2
	flat_load_u16 v26, v[22:23]
	s_wait_loadcnt_dscnt 0x0
	v_cvt_f32_f16_e32 v27, v26
	s_branch .LBB107_6
.LBB107_11:                             ;   in Loop: Header=BB107_4 Depth=1
	s_wait_loadcnt 0x0
	v_add_nc_u64_e32 v[20:21], s[18:19], v[20:21]
	s_and_not1_b32 vcc_lo, exec_lo, s39
	s_cbranch_vccnz .LBB107_16
; %bb.12:                               ;   in Loop: Header=BB107_4 Depth=1
	s_and_saveexec_b32 s24, s2
	s_cbranch_execz .LBB107_23
; %bb.13:                               ;   in Loop: Header=BB107_4 Depth=1
	s_delay_alu instid0(VALU_DEP_1) | instskip(NEXT) | instid1(VALU_DEP_1)
	v_lshl_add_u64 v[22:23], v[6:7], 1, v[20:21]
	v_lshl_add_u64 v[24:25], v[4:5], 1, v[22:23]
	s_and_saveexec_b32 s25, s3
	s_cbranch_execnz .LBB107_17
; %bb.14:                               ;   in Loop: Header=BB107_4 Depth=1
	s_or_b32 exec_lo, exec_lo, s25
	s_and_saveexec_b32 s25, s4
	s_cbranch_execnz .LBB107_18
.LBB107_15:                             ;   in Loop: Header=BB107_4 Depth=1
	s_or_b32 exec_lo, exec_lo, s25
	s_delay_alu instid0(SALU_CYCLE_1)
	s_and_b32 exec_lo, exec_lo, s5
	s_cbranch_execnz .LBB107_19
	s_branch .LBB107_23
.LBB107_16:                             ;   in Loop: Header=BB107_4 Depth=1
	s_branch .LBB107_24
.LBB107_17:                             ;   in Loop: Header=BB107_4 Depth=1
	v_fma_mixlo_f16 v26, s38, v18, 0
	flat_store_b16 v[24:25], v26
	s_wait_xcnt 0x0
	s_or_b32 exec_lo, exec_lo, s25
	s_and_saveexec_b32 s25, s4
	s_cbranch_execz .LBB107_15
.LBB107_18:                             ;   in Loop: Header=BB107_4 Depth=1
	v_fma_mixlo_f16 v26, s38, v19, 0
	flat_store_b16 v[24:25], v26 offset:32
	s_wait_xcnt 0x0
	s_or_b32 exec_lo, exec_lo, s25
	s_delay_alu instid0(SALU_CYCLE_1)
	s_and_b32 exec_lo, exec_lo, s5
	s_cbranch_execz .LBB107_23
.LBB107_19:                             ;   in Loop: Header=BB107_4 Depth=1
	v_lshl_add_u64 v[22:23], s[6:7], 1, v[22:23]
	s_delay_alu instid0(VALU_DEP_1)
	v_lshl_add_u64 v[22:23], v[4:5], 1, v[22:23]
	s_and_saveexec_b32 s25, s3
	s_cbranch_execz .LBB107_21
; %bb.20:                               ;   in Loop: Header=BB107_4 Depth=1
	v_fma_mixlo_f16 v24, s38, v14, 0
	flat_store_b16 v[22:23], v24
.LBB107_21:                             ;   in Loop: Header=BB107_4 Depth=1
	s_wait_xcnt 0x0
	s_or_b32 exec_lo, exec_lo, s25
	s_delay_alu instid0(SALU_CYCLE_1)
	s_and_b32 exec_lo, exec_lo, s4
	s_cbranch_execz .LBB107_23
; %bb.22:                               ;   in Loop: Header=BB107_4 Depth=1
	v_fma_mixlo_f16 v24, s38, v15, 0
	flat_store_b16 v[22:23], v24 offset:32
.LBB107_23:                             ;   in Loop: Header=BB107_4 Depth=1
	s_wait_xcnt 0x0
	s_or_b32 exec_lo, exec_lo, s24
	s_cbranch_execnz .LBB107_3
.LBB107_24:                             ;   in Loop: Header=BB107_4 Depth=1
	s_and_saveexec_b32 s24, s2
	s_cbranch_execz .LBB107_2
; %bb.25:                               ;   in Loop: Header=BB107_4 Depth=1
	v_add_nc_u64_e32 v[22:23], s[20:21], v[16:17]
	v_lshlrev_b64_e32 v[16:17], 1, v[4:5]
	v_lshl_add_u64 v[20:21], v[6:7], 1, v[20:21]
	s_delay_alu instid0(VALU_DEP_3) | instskip(NEXT) | instid1(VALU_DEP_2)
	v_lshl_add_u64 v[22:23], v[8:9], 1, v[22:23]
	v_add_nc_u64_e32 v[24:25], v[20:21], v[16:17]
	s_delay_alu instid0(VALU_DEP_2)
	v_add_nc_u64_e32 v[26:27], v[22:23], v[16:17]
	s_and_saveexec_b32 s25, s3
	s_cbranch_execnz .LBB107_28
; %bb.26:                               ;   in Loop: Header=BB107_4 Depth=1
	s_or_b32 exec_lo, exec_lo, s25
	s_and_saveexec_b32 s25, s4
	s_cbranch_execnz .LBB107_29
.LBB107_27:                             ;   in Loop: Header=BB107_4 Depth=1
	s_or_b32 exec_lo, exec_lo, s25
	s_delay_alu instid0(SALU_CYCLE_1)
	s_and_b32 exec_lo, exec_lo, s5
	s_cbranch_execz .LBB107_2
	s_branch .LBB107_30
.LBB107_28:                             ;   in Loop: Header=BB107_4 Depth=1
	flat_load_u16 v33, v[26:27]
	v_mov_b64_e32 v[34:35], s[40:41]
	v_mov_b32_e32 v32, v18
	s_wait_loadcnt_dscnt 0x0
	v_cvt_f32_f16_e32 v33, v33
	s_delay_alu instid0(VALU_DEP_1) | instskip(NEXT) | instid1(VALU_DEP_1)
	v_pk_mul_f32 v[32:33], v[34:35], v[32:33]
	v_add_f32_e32 v18, v32, v33
	s_delay_alu instid0(VALU_DEP_1)
	v_cvt_f16_f32_e32 v18, v18
	flat_store_b16 v[24:25], v18
	s_wait_xcnt 0x0
	s_or_b32 exec_lo, exec_lo, s25
	s_and_saveexec_b32 s25, s4
	s_cbranch_execz .LBB107_27
.LBB107_29:                             ;   in Loop: Header=BB107_4 Depth=1
	flat_load_u16 v26, v[26:27] offset:32
	v_mov_b32_e32 v18, v19
	s_wait_loadcnt_dscnt 0x0
	v_cvt_f32_f16_e32 v19, v26
	s_wait_xcnt 0x0
	v_mov_b64_e32 v[26:27], s[40:41]
	s_delay_alu instid0(VALU_DEP_1) | instskip(NEXT) | instid1(VALU_DEP_1)
	v_pk_mul_f32 v[18:19], v[26:27], v[18:19]
	v_add_f32_e32 v18, v18, v19
	s_delay_alu instid0(VALU_DEP_1) | instskip(SKIP_3) | instid1(SALU_CYCLE_1)
	v_cvt_f16_f32_e32 v18, v18
	flat_store_b16 v[24:25], v18 offset:32
	s_wait_xcnt 0x0
	s_or_b32 exec_lo, exec_lo, s25
	s_and_b32 exec_lo, exec_lo, s5
	s_cbranch_execz .LBB107_2
.LBB107_30:                             ;   in Loop: Header=BB107_4 Depth=1
	v_lshl_add_u64 v[18:19], s[10:11], 1, v[22:23]
	v_lshl_add_u64 v[20:21], s[6:7], 1, v[20:21]
	s_delay_alu instid0(VALU_DEP_2) | instskip(NEXT) | instid1(VALU_DEP_2)
	v_add_nc_u64_e32 v[18:19], v[18:19], v[16:17]
	v_add_nc_u64_e32 v[16:17], v[20:21], v[16:17]
	s_and_saveexec_b32 s25, s3
	s_cbranch_execz .LBB107_32
; %bb.31:                               ;   in Loop: Header=BB107_4 Depth=1
	flat_load_u16 v21, v[18:19]
	v_mov_b64_e32 v[22:23], s[40:41]
	v_mov_b32_e32 v20, v14
	s_wait_loadcnt_dscnt 0x0
	v_cvt_f32_f16_e32 v21, v21
	s_delay_alu instid0(VALU_DEP_1) | instskip(NEXT) | instid1(VALU_DEP_1)
	v_pk_mul_f32 v[20:21], v[22:23], v[20:21]
	v_add_f32_e32 v14, v20, v21
	s_delay_alu instid0(VALU_DEP_1)
	v_cvt_f16_f32_e32 v14, v14
	flat_store_b16 v[16:17], v14
.LBB107_32:                             ;   in Loop: Header=BB107_4 Depth=1
	s_wait_xcnt 0x0
	s_or_b32 exec_lo, exec_lo, s25
	s_delay_alu instid0(SALU_CYCLE_1)
	s_and_b32 exec_lo, exec_lo, s4
	s_cbranch_execz .LBB107_2
; %bb.33:                               ;   in Loop: Header=BB107_4 Depth=1
	flat_load_u16 v18, v[18:19] offset:32
	v_mov_b32_e32 v14, v15
	s_wait_loadcnt_dscnt 0x0
	v_cvt_f32_f16_e32 v15, v18
	s_wait_xcnt 0x0
	v_mov_b64_e32 v[18:19], s[40:41]
	s_delay_alu instid0(VALU_DEP_1) | instskip(NEXT) | instid1(VALU_DEP_1)
	v_pk_mul_f32 v[14:15], v[18:19], v[14:15]
	v_add_f32_e32 v14, v14, v15
	s_delay_alu instid0(VALU_DEP_1)
	v_cvt_f16_f32_e32 v14, v14
	flat_store_b16 v[16:17], v14 offset:32
	s_branch .LBB107_2
.LBB107_34:
	s_endpgm
	.section	.rodata,"a",@progbits
	.p2align	6, 0x0
	.amdhsa_kernel _ZN12_GLOBAL__N_135rocblas_gemm_batched_general_kernelIfLi16ELi16ELi32ELi32ELi8ELi32ELi8ELi8ELi32ELc67ELc67EKPKDF16_S3_KPDF16_EEvlllT_PT11_llS8_llS6_PT12_llPT13_lli
		.amdhsa_group_segment_fixed_size 2048
		.amdhsa_private_segment_fixed_size 0
		.amdhsa_kernarg_size 140
		.amdhsa_user_sgpr_count 2
		.amdhsa_user_sgpr_dispatch_ptr 0
		.amdhsa_user_sgpr_queue_ptr 0
		.amdhsa_user_sgpr_kernarg_segment_ptr 1
		.amdhsa_user_sgpr_dispatch_id 0
		.amdhsa_user_sgpr_kernarg_preload_length 0
		.amdhsa_user_sgpr_kernarg_preload_offset 0
		.amdhsa_user_sgpr_private_segment_size 0
		.amdhsa_wavefront_size32 1
		.amdhsa_uses_dynamic_stack 0
		.amdhsa_enable_private_segment 0
		.amdhsa_system_sgpr_workgroup_id_x 1
		.amdhsa_system_sgpr_workgroup_id_y 1
		.amdhsa_system_sgpr_workgroup_id_z 1
		.amdhsa_system_sgpr_workgroup_info 0
		.amdhsa_system_vgpr_workitem_id 1
		.amdhsa_next_free_vgpr 56
		.amdhsa_next_free_sgpr 42
		.amdhsa_named_barrier_count 0
		.amdhsa_reserve_vcc 1
		.amdhsa_float_round_mode_32 0
		.amdhsa_float_round_mode_16_64 0
		.amdhsa_float_denorm_mode_32 3
		.amdhsa_float_denorm_mode_16_64 3
		.amdhsa_fp16_overflow 0
		.amdhsa_memory_ordered 1
		.amdhsa_forward_progress 1
		.amdhsa_inst_pref_size 15
		.amdhsa_round_robin_scheduling 0
		.amdhsa_exception_fp_ieee_invalid_op 0
		.amdhsa_exception_fp_denorm_src 0
		.amdhsa_exception_fp_ieee_div_zero 0
		.amdhsa_exception_fp_ieee_overflow 0
		.amdhsa_exception_fp_ieee_underflow 0
		.amdhsa_exception_fp_ieee_inexact 0
		.amdhsa_exception_int_div_zero 0
	.end_amdhsa_kernel
	.section	.text._ZN12_GLOBAL__N_135rocblas_gemm_batched_general_kernelIfLi16ELi16ELi32ELi32ELi8ELi32ELi8ELi8ELi32ELc67ELc67EKPKDF16_S3_KPDF16_EEvlllT_PT11_llS8_llS6_PT12_llPT13_lli,"axG",@progbits,_ZN12_GLOBAL__N_135rocblas_gemm_batched_general_kernelIfLi16ELi16ELi32ELi32ELi8ELi32ELi8ELi8ELi32ELc67ELc67EKPKDF16_S3_KPDF16_EEvlllT_PT11_llS8_llS6_PT12_llPT13_lli,comdat
.Lfunc_end107:
	.size	_ZN12_GLOBAL__N_135rocblas_gemm_batched_general_kernelIfLi16ELi16ELi32ELi32ELi8ELi32ELi8ELi8ELi32ELc67ELc67EKPKDF16_S3_KPDF16_EEvlllT_PT11_llS8_llS6_PT12_llPT13_lli, .Lfunc_end107-_ZN12_GLOBAL__N_135rocblas_gemm_batched_general_kernelIfLi16ELi16ELi32ELi32ELi8ELi32ELi8ELi8ELi32ELc67ELc67EKPKDF16_S3_KPDF16_EEvlllT_PT11_llS8_llS6_PT12_llPT13_lli
                                        ; -- End function
	.set _ZN12_GLOBAL__N_135rocblas_gemm_batched_general_kernelIfLi16ELi16ELi32ELi32ELi8ELi32ELi8ELi8ELi32ELc67ELc67EKPKDF16_S3_KPDF16_EEvlllT_PT11_llS8_llS6_PT12_llPT13_lli.num_vgpr, 56
	.set _ZN12_GLOBAL__N_135rocblas_gemm_batched_general_kernelIfLi16ELi16ELi32ELi32ELi8ELi32ELi8ELi8ELi32ELc67ELc67EKPKDF16_S3_KPDF16_EEvlllT_PT11_llS8_llS6_PT12_llPT13_lli.num_agpr, 0
	.set _ZN12_GLOBAL__N_135rocblas_gemm_batched_general_kernelIfLi16ELi16ELi32ELi32ELi8ELi32ELi8ELi8ELi32ELc67ELc67EKPKDF16_S3_KPDF16_EEvlllT_PT11_llS8_llS6_PT12_llPT13_lli.numbered_sgpr, 42
	.set _ZN12_GLOBAL__N_135rocblas_gemm_batched_general_kernelIfLi16ELi16ELi32ELi32ELi8ELi32ELi8ELi8ELi32ELc67ELc67EKPKDF16_S3_KPDF16_EEvlllT_PT11_llS8_llS6_PT12_llPT13_lli.num_named_barrier, 0
	.set _ZN12_GLOBAL__N_135rocblas_gemm_batched_general_kernelIfLi16ELi16ELi32ELi32ELi8ELi32ELi8ELi8ELi32ELc67ELc67EKPKDF16_S3_KPDF16_EEvlllT_PT11_llS8_llS6_PT12_llPT13_lli.private_seg_size, 0
	.set _ZN12_GLOBAL__N_135rocblas_gemm_batched_general_kernelIfLi16ELi16ELi32ELi32ELi8ELi32ELi8ELi8ELi32ELc67ELc67EKPKDF16_S3_KPDF16_EEvlllT_PT11_llS8_llS6_PT12_llPT13_lli.uses_vcc, 1
	.set _ZN12_GLOBAL__N_135rocblas_gemm_batched_general_kernelIfLi16ELi16ELi32ELi32ELi8ELi32ELi8ELi8ELi32ELc67ELc67EKPKDF16_S3_KPDF16_EEvlllT_PT11_llS8_llS6_PT12_llPT13_lli.uses_flat_scratch, 0
	.set _ZN12_GLOBAL__N_135rocblas_gemm_batched_general_kernelIfLi16ELi16ELi32ELi32ELi8ELi32ELi8ELi8ELi32ELc67ELc67EKPKDF16_S3_KPDF16_EEvlllT_PT11_llS8_llS6_PT12_llPT13_lli.has_dyn_sized_stack, 0
	.set _ZN12_GLOBAL__N_135rocblas_gemm_batched_general_kernelIfLi16ELi16ELi32ELi32ELi8ELi32ELi8ELi8ELi32ELc67ELc67EKPKDF16_S3_KPDF16_EEvlllT_PT11_llS8_llS6_PT12_llPT13_lli.has_recursion, 0
	.set _ZN12_GLOBAL__N_135rocblas_gemm_batched_general_kernelIfLi16ELi16ELi32ELi32ELi8ELi32ELi8ELi8ELi32ELc67ELc67EKPKDF16_S3_KPDF16_EEvlllT_PT11_llS8_llS6_PT12_llPT13_lli.has_indirect_call, 0
	.section	.AMDGPU.csdata,"",@progbits
; Kernel info:
; codeLenInByte = 1908
; TotalNumSgprs: 44
; NumVgprs: 56
; ScratchSize: 0
; MemoryBound: 0
; FloatMode: 240
; IeeeMode: 1
; LDSByteSize: 2048 bytes/workgroup (compile time only)
; SGPRBlocks: 0
; VGPRBlocks: 3
; NumSGPRsForWavesPerEU: 44
; NumVGPRsForWavesPerEU: 56
; NamedBarCnt: 0
; Occupancy: 16
; WaveLimiterHint : 1
; COMPUTE_PGM_RSRC2:SCRATCH_EN: 0
; COMPUTE_PGM_RSRC2:USER_SGPR: 2
; COMPUTE_PGM_RSRC2:TRAP_HANDLER: 0
; COMPUTE_PGM_RSRC2:TGID_X_EN: 1
; COMPUTE_PGM_RSRC2:TGID_Y_EN: 1
; COMPUTE_PGM_RSRC2:TGID_Z_EN: 1
; COMPUTE_PGM_RSRC2:TIDIG_COMP_CNT: 1
	.section	.text._ZN12_GLOBAL__N_135rocblas_gemm_batched_general_kernelIfLi16ELi16ELi32ELi32ELi8ELi32ELi8ELi8ELi32ELc67ELc78EKPKDF16_S3_KPDF16_EEvlllT_PT11_llS8_llS6_PT12_llPT13_lli,"axG",@progbits,_ZN12_GLOBAL__N_135rocblas_gemm_batched_general_kernelIfLi16ELi16ELi32ELi32ELi8ELi32ELi8ELi8ELi32ELc67ELc78EKPKDF16_S3_KPDF16_EEvlllT_PT11_llS8_llS6_PT12_llPT13_lli,comdat
	.globl	_ZN12_GLOBAL__N_135rocblas_gemm_batched_general_kernelIfLi16ELi16ELi32ELi32ELi8ELi32ELi8ELi8ELi32ELc67ELc78EKPKDF16_S3_KPDF16_EEvlllT_PT11_llS8_llS6_PT12_llPT13_lli ; -- Begin function _ZN12_GLOBAL__N_135rocblas_gemm_batched_general_kernelIfLi16ELi16ELi32ELi32ELi8ELi32ELi8ELi8ELi32ELc67ELc78EKPKDF16_S3_KPDF16_EEvlllT_PT11_llS8_llS6_PT12_llPT13_lli
	.p2align	8
	.type	_ZN12_GLOBAL__N_135rocblas_gemm_batched_general_kernelIfLi16ELi16ELi32ELi32ELi8ELi32ELi8ELi8ELi32ELc67ELc78EKPKDF16_S3_KPDF16_EEvlllT_PT11_llS8_llS6_PT12_llPT13_lli,@function
_ZN12_GLOBAL__N_135rocblas_gemm_batched_general_kernelIfLi16ELi16ELi32ELi32ELi8ELi32ELi8ELi8ELi32ELc67ELc78EKPKDF16_S3_KPDF16_EEvlllT_PT11_llS8_llS6_PT12_llPT13_lli: ; @_ZN12_GLOBAL__N_135rocblas_gemm_batched_general_kernelIfLi16ELi16ELi32ELi32ELi8ELi32ELi8ELi8ELi32ELc67ELc78EKPKDF16_S3_KPDF16_EEvlllT_PT11_llS8_llS6_PT12_llPT13_lli
; %bb.0:
	s_load_b32 s33, s[0:1], 0x88
	s_bfe_u32 s2, ttmp6, 0x40014
	s_lshr_b32 s3, ttmp7, 16
	s_add_co_i32 s2, s2, 1
	s_bfe_u32 s5, ttmp6, 0x40008
	s_mul_i32 s4, s3, s2
	s_getreg_b32 s2, hwreg(HW_REG_IB_STS2, 6, 4)
	s_add_co_i32 s5, s5, s4
	s_cmp_eq_u32 s2, 0
	s_mov_b32 s35, 0
	s_cselect_b32 s34, s3, s5
	s_wait_kmcnt 0x0
	s_cmp_ge_i32 s34, s33
	s_cbranch_scc1 .LBB108_34
; %bb.1:
	v_bfe_u32 v10, v0, 10, 10
	v_and_b32_e32 v12, 0x3ff, v0
	s_bfe_u32 s16, ttmp6, 0x4000c
	s_bfe_u32 s17, ttmp6, 0x40010
	s_clause 0x3
	s_load_b128 s[4:7], s[0:1], 0x0
	s_load_b256 s[8:15], s[0:1], 0x20
	s_load_b128 s[24:27], s[0:1], 0x40
	s_load_b32 s41, s[0:1], 0x50
	s_add_co_i32 s16, s16, 1
	s_and_b32 s18, ttmp7, 0xffff
	s_add_co_i32 s17, s17, 1
	v_lshl_add_u32 v3, v10, 4, v12
	v_mov_b32_e32 v1, 0
	s_and_b32 s3, ttmp6, 15
	s_mul_i32 s16, ttmp9, s16
	s_mul_i32 s17, s18, s17
	s_bfe_u32 s19, ttmp6, 0x40004
	s_add_co_i32 s3, s3, s16
	s_add_co_i32 s19, s19, s17
	s_cmp_eq_u32 s2, 0
	v_dual_mov_b32 v7, v1 :: v_dual_lshrrev_b32 v6, 3, v3
	v_and_b32_e32 v8, 31, v3
	s_cselect_b32 s16, s18, s19
	s_cselect_b32 s2, ttmp9, s3
	s_lshl_b32 s42, s16, 5
	s_mov_b32 s43, s35
	s_ashr_i32 s3, s2, 31
	v_add_nc_u64_e32 v[14:15], s[42:43], v[6:7]
	s_clause 0x1
	s_load_b128 s[28:31], s[0:1], 0x78
	s_load_b256 s[16:23], s[0:1], 0x58
	s_lshl_b64 s[2:3], s[2:3], 5
	v_dual_mov_b32 v11, v1 :: v_dual_bitop2_b32 v2, 7, v0 bitop3:0x40
	v_dual_mov_b32 v5, s3 :: v_dual_bitop2_b32 v4, s2, v8 bitop3:0x54
	s_wait_kmcnt 0x0
	v_mul_u64_e32 v[16:17], s[24:25], v[14:15]
	s_delay_alu instid0(VALU_DEP_3)
	v_add_nc_u64_e32 v[20:21], s[42:43], v[10:11]
	v_dual_mov_b32 v13, v1 :: v_dual_lshrrev_b32 v0, 5, v3
	v_mul_u64_e32 v[18:19], s[10:11], v[4:5]
	v_dual_lshlrev_b32 v7, 2, v2 :: v_dual_mov_b32 v3, v1
	s_load_b96 s[36:38], s[0:1], 0x10
	s_wait_xcnt 0x0
	v_cmp_gt_i64_e64 s0, s[4:5], v[4:5]
	v_lshlrev_b32_e32 v11, 2, v8
	v_add_nc_u64_e32 v[4:5], s[2:3], v[12:13]
	v_lshl_or_b32 v13, v6, 5, v7
	v_cmp_gt_i64_e64 s1, s[6:7], v[14:15]
	v_mul_u64_e32 v[6:7], s[28:29], v[20:21]
	v_mul_u64_e32 v[8:9], s[18:19], v[20:21]
	s_cmp_eq_f32 s41, 0
	v_add_nc_u32_e32 v29, 0x400, v13
	v_add_nc_u64_e32 v[14:15], 16, v[4:5]
	v_lshlrev_b32_e32 v30, 2, v12
	s_cselect_b32 s24, -1, 0
	s_lshl_b64 s[10:11], s[26:27], 1
	v_lshl_add_u32 v31, v10, 5, 0x400
	v_cmp_gt_i64_e64 s3, s[4:5], v[4:5]
	v_cmp_gt_i64_e64 s2, s[6:7], v[20:21]
	;; [unrolled: 1-line block ×3, first 2 shown]
	v_lshlrev_b32_e32 v14, 1, v2
	v_lshl_or_b32 v28, v0, 7, v11
	v_add_nc_u64_e32 v[10:11], 16, v[20:21]
	v_mov_b32_e32 v15, v1
	s_wait_kmcnt 0x0
	v_cmp_gt_i64_e64 s25, s[36:37], 0
	s_mov_b32 s40, s38
	v_lshl_add_u64 v[12:13], v[16:17], 1, s[10:11]
	s_lshl_b64 s[10:11], s[12:13], 1
	v_cmp_gt_i64_e64 s5, s[6:7], v[10:11]
	s_lshl_b64 s[6:7], s[28:29], 4
	v_lshl_add_u64 v[16:17], v[18:19], 1, s[10:11]
	v_dual_mov_b32 v19, v1 :: v_dual_lshlrev_b32 v18, 1, v0
	v_add_nc_u64_e32 v[10:11], v[12:13], v[14:15]
	s_lshl_b64 s[10:11], s[18:19], 4
	s_lshl_b64 s[12:13], s[30:31], 1
	;; [unrolled: 1-line block ×3, first 2 shown]
	v_add_nc_u64_e32 v[12:13], v[16:17], v[18:19]
	s_branch .LBB108_4
.LBB108_2:                              ;   in Loop: Header=BB108_4 Depth=1
	s_wait_xcnt 0x0
	s_or_b32 exec_lo, exec_lo, s20
.LBB108_3:                              ;   in Loop: Header=BB108_4 Depth=1
	s_add_co_i32 s34, s34, 0x10000
	s_delay_alu instid0(SALU_CYCLE_1)
	s_cmp_lt_i32 s34, s33
	s_cbranch_scc0 .LBB108_34
.LBB108_4:                              ; =>This Loop Header: Depth=1
                                        ;     Child Loop BB108_7 Depth 2
	v_dual_mov_b32 v14, s34 :: v_dual_mov_b32 v19, 0
	v_dual_mov_b32 v18, 0 :: v_dual_mov_b32 v15, 0
	s_and_not1_b32 vcc_lo, exec_lo, s25
	s_clause 0x1
	global_load_b64 v[16:17], v14, s[16:17] scale_offset
	global_load_b64 v[20:21], v14, s[22:23] scale_offset
	s_wait_xcnt 0x0
	v_mov_b32_e32 v14, 0
	s_cbranch_vccnz .LBB108_11
; %bb.5:                                ;   in Loop: Header=BB108_4 Depth=1
	s_lshl_b64 s[20:21], s[34:35], 3
	v_mov_b32_e32 v18, 0
	s_add_nc_u64 s[26:27], s[14:15], s[20:21]
	s_add_nc_u64 s[20:21], s[8:9], s[20:21]
	s_clause 0x1
	global_load_b64 v[14:15], v1, s[26:27]
	global_load_b64 v[24:25], v1, s[20:21]
	s_wait_xcnt 0x0
	s_mov_b64 s[20:21], 0
	v_mov_b32_e32 v19, v18
	s_wait_loadcnt 0x1
	v_add_nc_u64_e32 v[22:23], v[14:15], v[10:11]
	s_wait_loadcnt 0x0
	v_add_nc_u64_e32 v[24:25], v[24:25], v[12:13]
	v_dual_mov_b32 v14, v18 :: v_dual_mov_b32 v15, v18
	s_branch .LBB108_7
.LBB108_6:                              ;   in Loop: Header=BB108_7 Depth=2
	s_wait_xcnt 0x0
	s_or_b32 exec_lo, exec_lo, s26
	ds_store_b32 v29, v27
	s_wait_dscnt 0x0
	s_barrier_signal -1
	s_barrier_wait -1
	ds_load_b128 v[32:35], v31
	ds_load_2addr_b32 v[26:27], v30 offset1:16
	ds_load_b128 v[36:39], v31 offset:512
	ds_load_2addr_b32 v[48:49], v30 offset0:32 offset1:48
	ds_load_2addr_b32 v[50:51], v30 offset0:64 offset1:80
	;; [unrolled: 1-line block ×3, first 2 shown]
	ds_load_b128 v[40:43], v31 offset:16
	ds_load_2addr_b32 v[54:55], v30 offset0:128 offset1:144
	ds_load_b128 v[44:47], v31 offset:528
	s_add_nc_u64 s[20:21], s[20:21], 8
	v_add_nc_u64_e32 v[22:23], 16, v[22:23]
	v_cmp_lt_i64_e64 s26, s[20:21], s[36:37]
	v_add_nc_u64_e32 v[24:25], 16, v[24:25]
	s_and_b32 vcc_lo, exec_lo, s26
	s_wait_dscnt 0x7
	v_pk_fma_f32 v[18:19], v[26:27], v[32:33], v[18:19] op_sel_hi:[1,0,1]
	s_wait_dscnt 0x6
	v_pk_fma_f32 v[14:15], v[26:27], v[36:37], v[14:15] op_sel_hi:[1,0,1]
	ds_load_2addr_b32 v[26:27], v30 offset0:160 offset1:176
	s_wait_dscnt 0x6
	v_pk_fma_f32 v[18:19], v[48:49], v[32:33], v[18:19] op_sel:[0,1,0]
	v_pk_fma_f32 v[14:15], v[48:49], v[36:37], v[14:15] op_sel:[0,1,0]
	ds_load_2addr_b32 v[32:33], v30 offset0:192 offset1:208
	v_dual_mov_b32 v36, v35 :: v_dual_mov_b32 v48, v39
	s_wait_dscnt 0x6
	v_pk_fma_f32 v[18:19], v[50:51], v[34:35], v[18:19] op_sel_hi:[1,0,1]
	v_pk_fma_f32 v[14:15], v[50:51], v[38:39], v[14:15] op_sel_hi:[1,0,1]
	ds_load_2addr_b32 v[34:35], v30 offset0:224 offset1:240
	s_wait_dscnt 0x0
	s_barrier_signal -1
	v_pk_fma_f32 v[18:19], v[52:53], v[36:37], v[18:19] op_sel_hi:[1,0,1]
	v_pk_fma_f32 v[14:15], v[52:53], v[48:49], v[14:15] op_sel_hi:[1,0,1]
	s_barrier_wait -1
	v_mov_b32_e32 v36, v47
	s_delay_alu instid0(VALU_DEP_3) | instskip(NEXT) | instid1(VALU_DEP_3)
	v_pk_fma_f32 v[18:19], v[54:55], v[40:41], v[18:19] op_sel_hi:[1,0,1]
	v_pk_fma_f32 v[14:15], v[54:55], v[44:45], v[14:15] op_sel_hi:[1,0,1]
	s_delay_alu instid0(VALU_DEP_2) | instskip(NEXT) | instid1(VALU_DEP_2)
	v_pk_fma_f32 v[18:19], v[26:27], v[40:41], v[18:19] op_sel:[0,1,0]
	v_pk_fma_f32 v[14:15], v[26:27], v[44:45], v[14:15] op_sel:[0,1,0]
	v_mov_b32_e32 v26, v43
	s_delay_alu instid0(VALU_DEP_3) | instskip(NEXT) | instid1(VALU_DEP_3)
	v_pk_fma_f32 v[18:19], v[32:33], v[42:43], v[18:19] op_sel_hi:[1,0,1]
	v_pk_fma_f32 v[14:15], v[32:33], v[46:47], v[14:15] op_sel_hi:[1,0,1]
	s_delay_alu instid0(VALU_DEP_2) | instskip(NEXT) | instid1(VALU_DEP_2)
	v_pk_fma_f32 v[18:19], v[34:35], v[26:27], v[18:19] op_sel_hi:[1,0,1]
	v_pk_fma_f32 v[14:15], v[34:35], v[36:37], v[14:15] op_sel_hi:[1,0,1]
	s_cbranch_vccz .LBB108_11
.LBB108_7:                              ;   Parent Loop BB108_4 Depth=1
                                        ; =>  This Inner Loop Header: Depth=2
	v_add_nc_u64_e32 v[26:27], s[20:21], v[0:1]
	s_delay_alu instid0(VALU_DEP_1) | instskip(SKIP_2) | instid1(SALU_CYCLE_1)
	v_cmp_gt_i64_e32 vcc_lo, s[36:37], v[26:27]
	v_mov_b32_e32 v26, 0
	s_and_b32 s27, s0, vcc_lo
	s_and_saveexec_b32 s26, s27
	s_cbranch_execz .LBB108_9
; %bb.8:                                ;   in Loop: Header=BB108_7 Depth=2
	flat_load_u16 v26, v[24:25]
	s_wait_loadcnt_dscnt 0x0
	v_cvt_f32_f16_e32 v26, v26
.LBB108_9:                              ;   in Loop: Header=BB108_7 Depth=2
	s_wait_xcnt 0x0
	s_or_b32 exec_lo, exec_lo, s26
	v_add_nc_u64_e32 v[32:33], s[20:21], v[2:3]
	v_mov_b32_e32 v27, 0
	ds_store_b32 v28, v26
	v_cmp_gt_i64_e32 vcc_lo, s[36:37], v[32:33]
	s_and_b32 s27, vcc_lo, s1
	s_delay_alu instid0(SALU_CYCLE_1)
	s_and_saveexec_b32 s26, s27
	s_cbranch_execz .LBB108_6
; %bb.10:                               ;   in Loop: Header=BB108_7 Depth=2
	flat_load_u16 v26, v[22:23]
	s_wait_loadcnt_dscnt 0x0
	v_cvt_f32_f16_e32 v27, v26
	s_branch .LBB108_6
.LBB108_11:                             ;   in Loop: Header=BB108_4 Depth=1
	s_wait_loadcnt 0x0
	v_add_nc_u64_e32 v[20:21], s[12:13], v[20:21]
	s_and_not1_b32 vcc_lo, exec_lo, s24
	s_cbranch_vccnz .LBB108_16
; %bb.12:                               ;   in Loop: Header=BB108_4 Depth=1
	s_and_saveexec_b32 s20, s2
	s_cbranch_execz .LBB108_23
; %bb.13:                               ;   in Loop: Header=BB108_4 Depth=1
	s_delay_alu instid0(VALU_DEP_1) | instskip(NEXT) | instid1(VALU_DEP_1)
	v_lshl_add_u64 v[22:23], v[6:7], 1, v[20:21]
	v_lshl_add_u64 v[24:25], v[4:5], 1, v[22:23]
	s_and_saveexec_b32 s21, s3
	s_cbranch_execnz .LBB108_17
; %bb.14:                               ;   in Loop: Header=BB108_4 Depth=1
	s_or_b32 exec_lo, exec_lo, s21
	s_and_saveexec_b32 s21, s4
	s_cbranch_execnz .LBB108_18
.LBB108_15:                             ;   in Loop: Header=BB108_4 Depth=1
	s_or_b32 exec_lo, exec_lo, s21
	s_delay_alu instid0(SALU_CYCLE_1)
	s_and_b32 exec_lo, exec_lo, s5
	s_cbranch_execnz .LBB108_19
	s_branch .LBB108_23
.LBB108_16:                             ;   in Loop: Header=BB108_4 Depth=1
	s_branch .LBB108_24
.LBB108_17:                             ;   in Loop: Header=BB108_4 Depth=1
	v_fma_mixlo_f16 v26, s38, v18, 0
	flat_store_b16 v[24:25], v26
	s_wait_xcnt 0x0
	s_or_b32 exec_lo, exec_lo, s21
	s_and_saveexec_b32 s21, s4
	s_cbranch_execz .LBB108_15
.LBB108_18:                             ;   in Loop: Header=BB108_4 Depth=1
	v_fma_mixlo_f16 v26, s38, v19, 0
	flat_store_b16 v[24:25], v26 offset:32
	s_wait_xcnt 0x0
	s_or_b32 exec_lo, exec_lo, s21
	s_delay_alu instid0(SALU_CYCLE_1)
	s_and_b32 exec_lo, exec_lo, s5
	s_cbranch_execz .LBB108_23
.LBB108_19:                             ;   in Loop: Header=BB108_4 Depth=1
	v_lshl_add_u64 v[22:23], s[6:7], 1, v[22:23]
	s_delay_alu instid0(VALU_DEP_1)
	v_lshl_add_u64 v[22:23], v[4:5], 1, v[22:23]
	s_and_saveexec_b32 s21, s3
	s_cbranch_execz .LBB108_21
; %bb.20:                               ;   in Loop: Header=BB108_4 Depth=1
	v_fma_mixlo_f16 v24, s38, v14, 0
	flat_store_b16 v[22:23], v24
.LBB108_21:                             ;   in Loop: Header=BB108_4 Depth=1
	s_wait_xcnt 0x0
	s_or_b32 exec_lo, exec_lo, s21
	s_delay_alu instid0(SALU_CYCLE_1)
	s_and_b32 exec_lo, exec_lo, s4
	s_cbranch_execz .LBB108_23
; %bb.22:                               ;   in Loop: Header=BB108_4 Depth=1
	v_fma_mixlo_f16 v24, s38, v15, 0
	flat_store_b16 v[22:23], v24 offset:32
.LBB108_23:                             ;   in Loop: Header=BB108_4 Depth=1
	s_wait_xcnt 0x0
	s_or_b32 exec_lo, exec_lo, s20
	s_cbranch_execnz .LBB108_3
.LBB108_24:                             ;   in Loop: Header=BB108_4 Depth=1
	s_and_saveexec_b32 s20, s2
	s_cbranch_execz .LBB108_2
; %bb.25:                               ;   in Loop: Header=BB108_4 Depth=1
	v_add_nc_u64_e32 v[22:23], s[18:19], v[16:17]
	v_lshlrev_b64_e32 v[16:17], 1, v[4:5]
	v_lshl_add_u64 v[20:21], v[6:7], 1, v[20:21]
	s_delay_alu instid0(VALU_DEP_3) | instskip(NEXT) | instid1(VALU_DEP_2)
	v_lshl_add_u64 v[22:23], v[8:9], 1, v[22:23]
	v_add_nc_u64_e32 v[24:25], v[20:21], v[16:17]
	s_delay_alu instid0(VALU_DEP_2)
	v_add_nc_u64_e32 v[26:27], v[22:23], v[16:17]
	s_and_saveexec_b32 s21, s3
	s_cbranch_execnz .LBB108_28
; %bb.26:                               ;   in Loop: Header=BB108_4 Depth=1
	s_or_b32 exec_lo, exec_lo, s21
	s_and_saveexec_b32 s21, s4
	s_cbranch_execnz .LBB108_29
.LBB108_27:                             ;   in Loop: Header=BB108_4 Depth=1
	s_or_b32 exec_lo, exec_lo, s21
	s_delay_alu instid0(SALU_CYCLE_1)
	s_and_b32 exec_lo, exec_lo, s5
	s_cbranch_execz .LBB108_2
	s_branch .LBB108_30
.LBB108_28:                             ;   in Loop: Header=BB108_4 Depth=1
	flat_load_u16 v33, v[26:27]
	v_mov_b64_e32 v[34:35], s[40:41]
	v_mov_b32_e32 v32, v18
	s_wait_loadcnt_dscnt 0x0
	v_cvt_f32_f16_e32 v33, v33
	s_delay_alu instid0(VALU_DEP_1) | instskip(NEXT) | instid1(VALU_DEP_1)
	v_pk_mul_f32 v[32:33], v[34:35], v[32:33]
	v_add_f32_e32 v18, v32, v33
	s_delay_alu instid0(VALU_DEP_1)
	v_cvt_f16_f32_e32 v18, v18
	flat_store_b16 v[24:25], v18
	s_wait_xcnt 0x0
	s_or_b32 exec_lo, exec_lo, s21
	s_and_saveexec_b32 s21, s4
	s_cbranch_execz .LBB108_27
.LBB108_29:                             ;   in Loop: Header=BB108_4 Depth=1
	flat_load_u16 v26, v[26:27] offset:32
	v_mov_b32_e32 v18, v19
	s_wait_loadcnt_dscnt 0x0
	v_cvt_f32_f16_e32 v19, v26
	s_wait_xcnt 0x0
	v_mov_b64_e32 v[26:27], s[40:41]
	s_delay_alu instid0(VALU_DEP_1) | instskip(NEXT) | instid1(VALU_DEP_1)
	v_pk_mul_f32 v[18:19], v[26:27], v[18:19]
	v_add_f32_e32 v18, v18, v19
	s_delay_alu instid0(VALU_DEP_1) | instskip(SKIP_3) | instid1(SALU_CYCLE_1)
	v_cvt_f16_f32_e32 v18, v18
	flat_store_b16 v[24:25], v18 offset:32
	s_wait_xcnt 0x0
	s_or_b32 exec_lo, exec_lo, s21
	s_and_b32 exec_lo, exec_lo, s5
	s_cbranch_execz .LBB108_2
.LBB108_30:                             ;   in Loop: Header=BB108_4 Depth=1
	v_lshl_add_u64 v[18:19], s[10:11], 1, v[22:23]
	v_lshl_add_u64 v[20:21], s[6:7], 1, v[20:21]
	s_delay_alu instid0(VALU_DEP_2) | instskip(NEXT) | instid1(VALU_DEP_2)
	v_add_nc_u64_e32 v[18:19], v[18:19], v[16:17]
	v_add_nc_u64_e32 v[16:17], v[20:21], v[16:17]
	s_and_saveexec_b32 s21, s3
	s_cbranch_execz .LBB108_32
; %bb.31:                               ;   in Loop: Header=BB108_4 Depth=1
	flat_load_u16 v21, v[18:19]
	v_mov_b64_e32 v[22:23], s[40:41]
	v_mov_b32_e32 v20, v14
	s_wait_loadcnt_dscnt 0x0
	v_cvt_f32_f16_e32 v21, v21
	s_delay_alu instid0(VALU_DEP_1) | instskip(NEXT) | instid1(VALU_DEP_1)
	v_pk_mul_f32 v[20:21], v[22:23], v[20:21]
	v_add_f32_e32 v14, v20, v21
	s_delay_alu instid0(VALU_DEP_1)
	v_cvt_f16_f32_e32 v14, v14
	flat_store_b16 v[16:17], v14
.LBB108_32:                             ;   in Loop: Header=BB108_4 Depth=1
	s_wait_xcnt 0x0
	s_or_b32 exec_lo, exec_lo, s21
	s_delay_alu instid0(SALU_CYCLE_1)
	s_and_b32 exec_lo, exec_lo, s4
	s_cbranch_execz .LBB108_2
; %bb.33:                               ;   in Loop: Header=BB108_4 Depth=1
	flat_load_u16 v18, v[18:19] offset:32
	v_mov_b32_e32 v14, v15
	s_wait_loadcnt_dscnt 0x0
	v_cvt_f32_f16_e32 v15, v18
	s_wait_xcnt 0x0
	v_mov_b64_e32 v[18:19], s[40:41]
	s_delay_alu instid0(VALU_DEP_1) | instskip(NEXT) | instid1(VALU_DEP_1)
	v_pk_mul_f32 v[14:15], v[18:19], v[14:15]
	v_add_f32_e32 v14, v14, v15
	s_delay_alu instid0(VALU_DEP_1)
	v_cvt_f16_f32_e32 v14, v14
	flat_store_b16 v[16:17], v14 offset:32
	s_branch .LBB108_2
.LBB108_34:
	s_endpgm
	.section	.rodata,"a",@progbits
	.p2align	6, 0x0
	.amdhsa_kernel _ZN12_GLOBAL__N_135rocblas_gemm_batched_general_kernelIfLi16ELi16ELi32ELi32ELi8ELi32ELi8ELi8ELi32ELc67ELc78EKPKDF16_S3_KPDF16_EEvlllT_PT11_llS8_llS6_PT12_llPT13_lli
		.amdhsa_group_segment_fixed_size 2048
		.amdhsa_private_segment_fixed_size 0
		.amdhsa_kernarg_size 140
		.amdhsa_user_sgpr_count 2
		.amdhsa_user_sgpr_dispatch_ptr 0
		.amdhsa_user_sgpr_queue_ptr 0
		.amdhsa_user_sgpr_kernarg_segment_ptr 1
		.amdhsa_user_sgpr_dispatch_id 0
		.amdhsa_user_sgpr_kernarg_preload_length 0
		.amdhsa_user_sgpr_kernarg_preload_offset 0
		.amdhsa_user_sgpr_private_segment_size 0
		.amdhsa_wavefront_size32 1
		.amdhsa_uses_dynamic_stack 0
		.amdhsa_enable_private_segment 0
		.amdhsa_system_sgpr_workgroup_id_x 1
		.amdhsa_system_sgpr_workgroup_id_y 1
		.amdhsa_system_sgpr_workgroup_id_z 1
		.amdhsa_system_sgpr_workgroup_info 0
		.amdhsa_system_vgpr_workitem_id 1
		.amdhsa_next_free_vgpr 56
		.amdhsa_next_free_sgpr 44
		.amdhsa_named_barrier_count 0
		.amdhsa_reserve_vcc 1
		.amdhsa_float_round_mode_32 0
		.amdhsa_float_round_mode_16_64 0
		.amdhsa_float_denorm_mode_32 3
		.amdhsa_float_denorm_mode_16_64 3
		.amdhsa_fp16_overflow 0
		.amdhsa_memory_ordered 1
		.amdhsa_forward_progress 1
		.amdhsa_inst_pref_size 15
		.amdhsa_round_robin_scheduling 0
		.amdhsa_exception_fp_ieee_invalid_op 0
		.amdhsa_exception_fp_denorm_src 0
		.amdhsa_exception_fp_ieee_div_zero 0
		.amdhsa_exception_fp_ieee_overflow 0
		.amdhsa_exception_fp_ieee_underflow 0
		.amdhsa_exception_fp_ieee_inexact 0
		.amdhsa_exception_int_div_zero 0
	.end_amdhsa_kernel
	.section	.text._ZN12_GLOBAL__N_135rocblas_gemm_batched_general_kernelIfLi16ELi16ELi32ELi32ELi8ELi32ELi8ELi8ELi32ELc67ELc78EKPKDF16_S3_KPDF16_EEvlllT_PT11_llS8_llS6_PT12_llPT13_lli,"axG",@progbits,_ZN12_GLOBAL__N_135rocblas_gemm_batched_general_kernelIfLi16ELi16ELi32ELi32ELi8ELi32ELi8ELi8ELi32ELc67ELc78EKPKDF16_S3_KPDF16_EEvlllT_PT11_llS8_llS6_PT12_llPT13_lli,comdat
.Lfunc_end108:
	.size	_ZN12_GLOBAL__N_135rocblas_gemm_batched_general_kernelIfLi16ELi16ELi32ELi32ELi8ELi32ELi8ELi8ELi32ELc67ELc78EKPKDF16_S3_KPDF16_EEvlllT_PT11_llS8_llS6_PT12_llPT13_lli, .Lfunc_end108-_ZN12_GLOBAL__N_135rocblas_gemm_batched_general_kernelIfLi16ELi16ELi32ELi32ELi8ELi32ELi8ELi8ELi32ELc67ELc78EKPKDF16_S3_KPDF16_EEvlllT_PT11_llS8_llS6_PT12_llPT13_lli
                                        ; -- End function
	.set _ZN12_GLOBAL__N_135rocblas_gemm_batched_general_kernelIfLi16ELi16ELi32ELi32ELi8ELi32ELi8ELi8ELi32ELc67ELc78EKPKDF16_S3_KPDF16_EEvlllT_PT11_llS8_llS6_PT12_llPT13_lli.num_vgpr, 56
	.set _ZN12_GLOBAL__N_135rocblas_gemm_batched_general_kernelIfLi16ELi16ELi32ELi32ELi8ELi32ELi8ELi8ELi32ELc67ELc78EKPKDF16_S3_KPDF16_EEvlllT_PT11_llS8_llS6_PT12_llPT13_lli.num_agpr, 0
	.set _ZN12_GLOBAL__N_135rocblas_gemm_batched_general_kernelIfLi16ELi16ELi32ELi32ELi8ELi32ELi8ELi8ELi32ELc67ELc78EKPKDF16_S3_KPDF16_EEvlllT_PT11_llS8_llS6_PT12_llPT13_lli.numbered_sgpr, 44
	.set _ZN12_GLOBAL__N_135rocblas_gemm_batched_general_kernelIfLi16ELi16ELi32ELi32ELi8ELi32ELi8ELi8ELi32ELc67ELc78EKPKDF16_S3_KPDF16_EEvlllT_PT11_llS8_llS6_PT12_llPT13_lli.num_named_barrier, 0
	.set _ZN12_GLOBAL__N_135rocblas_gemm_batched_general_kernelIfLi16ELi16ELi32ELi32ELi8ELi32ELi8ELi8ELi32ELc67ELc78EKPKDF16_S3_KPDF16_EEvlllT_PT11_llS8_llS6_PT12_llPT13_lli.private_seg_size, 0
	.set _ZN12_GLOBAL__N_135rocblas_gemm_batched_general_kernelIfLi16ELi16ELi32ELi32ELi8ELi32ELi8ELi8ELi32ELc67ELc78EKPKDF16_S3_KPDF16_EEvlllT_PT11_llS8_llS6_PT12_llPT13_lli.uses_vcc, 1
	.set _ZN12_GLOBAL__N_135rocblas_gemm_batched_general_kernelIfLi16ELi16ELi32ELi32ELi8ELi32ELi8ELi8ELi32ELc67ELc78EKPKDF16_S3_KPDF16_EEvlllT_PT11_llS8_llS6_PT12_llPT13_lli.uses_flat_scratch, 0
	.set _ZN12_GLOBAL__N_135rocblas_gemm_batched_general_kernelIfLi16ELi16ELi32ELi32ELi8ELi32ELi8ELi8ELi32ELc67ELc78EKPKDF16_S3_KPDF16_EEvlllT_PT11_llS8_llS6_PT12_llPT13_lli.has_dyn_sized_stack, 0
	.set _ZN12_GLOBAL__N_135rocblas_gemm_batched_general_kernelIfLi16ELi16ELi32ELi32ELi8ELi32ELi8ELi8ELi32ELc67ELc78EKPKDF16_S3_KPDF16_EEvlllT_PT11_llS8_llS6_PT12_llPT13_lli.has_recursion, 0
	.set _ZN12_GLOBAL__N_135rocblas_gemm_batched_general_kernelIfLi16ELi16ELi32ELi32ELi8ELi32ELi8ELi8ELi32ELc67ELc78EKPKDF16_S3_KPDF16_EEvlllT_PT11_llS8_llS6_PT12_llPT13_lli.has_indirect_call, 0
	.section	.AMDGPU.csdata,"",@progbits
; Kernel info:
; codeLenInByte = 1880
; TotalNumSgprs: 46
; NumVgprs: 56
; ScratchSize: 0
; MemoryBound: 0
; FloatMode: 240
; IeeeMode: 1
; LDSByteSize: 2048 bytes/workgroup (compile time only)
; SGPRBlocks: 0
; VGPRBlocks: 3
; NumSGPRsForWavesPerEU: 46
; NumVGPRsForWavesPerEU: 56
; NamedBarCnt: 0
; Occupancy: 16
; WaveLimiterHint : 1
; COMPUTE_PGM_RSRC2:SCRATCH_EN: 0
; COMPUTE_PGM_RSRC2:USER_SGPR: 2
; COMPUTE_PGM_RSRC2:TRAP_HANDLER: 0
; COMPUTE_PGM_RSRC2:TGID_X_EN: 1
; COMPUTE_PGM_RSRC2:TGID_Y_EN: 1
; COMPUTE_PGM_RSRC2:TGID_Z_EN: 1
; COMPUTE_PGM_RSRC2:TIDIG_COMP_CNT: 1
	.section	.text._ZN12_GLOBAL__N_135rocblas_gemm_batched_general_kernelIfLi16ELi16ELi32ELi32ELi8ELi32ELi8ELi8ELi32ELc67ELc84EKPKDF16_S3_KPDF16_EEvlllT_PT11_llS8_llS6_PT12_llPT13_lli,"axG",@progbits,_ZN12_GLOBAL__N_135rocblas_gemm_batched_general_kernelIfLi16ELi16ELi32ELi32ELi8ELi32ELi8ELi8ELi32ELc67ELc84EKPKDF16_S3_KPDF16_EEvlllT_PT11_llS8_llS6_PT12_llPT13_lli,comdat
	.globl	_ZN12_GLOBAL__N_135rocblas_gemm_batched_general_kernelIfLi16ELi16ELi32ELi32ELi8ELi32ELi8ELi8ELi32ELc67ELc84EKPKDF16_S3_KPDF16_EEvlllT_PT11_llS8_llS6_PT12_llPT13_lli ; -- Begin function _ZN12_GLOBAL__N_135rocblas_gemm_batched_general_kernelIfLi16ELi16ELi32ELi32ELi8ELi32ELi8ELi8ELi32ELc67ELc84EKPKDF16_S3_KPDF16_EEvlllT_PT11_llS8_llS6_PT12_llPT13_lli
	.p2align	8
	.type	_ZN12_GLOBAL__N_135rocblas_gemm_batched_general_kernelIfLi16ELi16ELi32ELi32ELi8ELi32ELi8ELi8ELi32ELc67ELc84EKPKDF16_S3_KPDF16_EEvlllT_PT11_llS8_llS6_PT12_llPT13_lli,@function
_ZN12_GLOBAL__N_135rocblas_gemm_batched_general_kernelIfLi16ELi16ELi32ELi32ELi8ELi32ELi8ELi8ELi32ELc67ELc84EKPKDF16_S3_KPDF16_EEvlllT_PT11_llS8_llS6_PT12_llPT13_lli: ; @_ZN12_GLOBAL__N_135rocblas_gemm_batched_general_kernelIfLi16ELi16ELi32ELi32ELi8ELi32ELi8ELi8ELi32ELc67ELc84EKPKDF16_S3_KPDF16_EEvlllT_PT11_llS8_llS6_PT12_llPT13_lli
; %bb.0:
	s_load_b32 s33, s[0:1], 0x88
	s_bfe_u32 s2, ttmp6, 0x40014
	s_lshr_b32 s3, ttmp7, 16
	s_add_co_i32 s2, s2, 1
	s_bfe_u32 s5, ttmp6, 0x40008
	s_mul_i32 s4, s3, s2
	s_getreg_b32 s2, hwreg(HW_REG_IB_STS2, 6, 4)
	s_add_co_i32 s5, s5, s4
	s_cmp_eq_u32 s2, 0
	s_mov_b32 s35, 0
	s_cselect_b32 s34, s3, s5
	s_wait_kmcnt 0x0
	s_cmp_ge_i32 s34, s33
	s_cbranch_scc1 .LBB109_34
; %bb.1:
	v_bfe_u32 v10, v0, 10, 10
	v_and_b32_e32 v12, 0x3ff, v0
	s_clause 0x6
	s_load_b128 s[4:7], s[0:1], 0x0
	s_load_b96 s[36:38], s[0:1], 0x10
	s_load_b256 s[8:15], s[0:1], 0x20
	s_load_b128 s[24:27], s[0:1], 0x40
	s_load_b32 s41, s[0:1], 0x50
	s_load_b128 s[28:31], s[0:1], 0x78
	s_load_b256 s[16:23], s[0:1], 0x58
	s_wait_xcnt 0x0
	s_bfe_u32 s0, ttmp6, 0x4000c
	s_bfe_u32 s3, ttmp6, 0x40010
	s_add_co_i32 s0, s0, 1
	s_and_b32 s39, ttmp7, 0xffff
	s_add_co_i32 s3, s3, 1
	s_and_b32 s1, ttmp6, 15
	s_mul_i32 s0, ttmp9, s0
	s_mul_i32 s3, s39, s3
	s_bfe_u32 s40, ttmp6, 0x40004
	v_lshl_add_u32 v6, v10, 4, v12
	s_add_co_i32 s1, s1, s0
	s_add_co_i32 s40, s40, s3
	s_cmp_eq_u32 s2, 0
	s_delay_alu instid0(VALU_DEP_1) | instskip(SKIP_3) | instid1(VALU_DEP_1)
	v_dual_mov_b32 v1, 0 :: v_dual_bitop2_b32 v8, 31, v6 bitop3:0x40
	s_cselect_b32 s0, ttmp9, s1
	s_cselect_b32 s40, s39, s40
	s_ashr_i32 s1, s0, 31
	v_dual_mov_b32 v11, v1 :: v_dual_bitop2_b32 v2, 7, v0 bitop3:0x40
	s_lshl_b64 s[2:3], s[0:1], 5
	v_dual_mov_b32 v3, v1 :: v_dual_lshrrev_b32 v14, 3, v6
	v_dual_mov_b32 v15, v1 :: v_dual_bitop2_b32 v4, s2, v8 bitop3:0x54
	s_delay_alu instid0(VALU_DEP_3) | instskip(SKIP_1) | instid1(VALU_DEP_3)
	v_dual_mov_b32 v5, s3 :: v_dual_lshlrev_b32 v9, 2, v2
	s_wait_kmcnt 0x0
	v_mul_u64_e32 v[16:17], s[24:25], v[2:3]
	s_lshl_b32 s0, s40, 5
	s_mov_b32 s1, s35
	v_mul_u64_e32 v[18:19], s[10:11], v[4:5]
	v_dual_lshrrev_b32 v0, 5, v6 :: v_dual_lshlrev_b32 v8, 2, v8
	v_add_nc_u64_e32 v[6:7], s[0:1], v[14:15]
	v_add_nc_u64_e32 v[20:21], s[0:1], v[10:11]
	v_lshl_or_b32 v9, v14, 5, v9
	v_dual_mov_b32 v13, v1 :: v_dual_lshlrev_b32 v30, 2, v12
	v_lshl_or_b32 v28, v0, 7, v8
	v_cmp_gt_i64_e64 s0, s[4:5], v[4:5]
	v_cmp_gt_i64_e64 s1, s[6:7], v[6:7]
	v_add_nc_u32_e32 v29, 0x400, v9
	v_mul_u64_e32 v[6:7], s[28:29], v[20:21]
	v_mul_u64_e32 v[8:9], s[18:19], v[20:21]
	v_add_nc_u64_e32 v[4:5], s[2:3], v[12:13]
	v_lshl_add_u32 v31, v10, 5, 0x400
	v_add_nc_u64_e32 v[12:13], 16, v[20:21]
	s_cmp_eq_f32 s41, 0
	s_mov_b32 s11, s35
	v_cmp_gt_i64_e64 s2, s[6:7], v[20:21]
	s_delay_alu instid0(VALU_DEP_4)
	v_add_nc_u64_e32 v[10:11], 16, v[4:5]
	s_cselect_b32 s39, -1, 0
	s_lshl_b32 s10, s40, 6
	s_lshl_b64 s[26:27], s[26:27], 1
	v_cmp_gt_i64_e64 s3, s[4:5], v[4:5]
	s_add_nc_u64 s[10:11], s[26:27], s[10:11]
	v_cmp_gt_i64_e64 s26, s[36:37], 0
	v_cmp_gt_i64_e64 s4, s[4:5], v[10:11]
	;; [unrolled: 1-line block ×3, first 2 shown]
	s_lshl_b64 s[6:7], s[12:13], 1
	v_lshl_add_u64 v[10:11], v[16:17], 1, s[10:11]
	v_dual_mov_b32 v13, v1 :: v_dual_lshlrev_b32 v12, 1, v14
	v_lshl_add_u64 v[14:15], v[18:19], 1, s[6:7]
	v_dual_mov_b32 v17, v1 :: v_dual_lshlrev_b32 v16, 1, v0
	s_lshl_b64 s[6:7], s[28:29], 4
	s_delay_alu instid0(VALU_DEP_3)
	v_add_nc_u64_e32 v[10:11], v[10:11], v[12:13]
	s_mov_b32 s40, s38
	s_lshl_b64 s[10:11], s[18:19], 4
	v_add_nc_u64_e32 v[12:13], v[14:15], v[16:17]
	s_lshl_b64 s[12:13], s[24:25], 4
	s_lshl_b64 s[18:19], s[30:31], 1
	;; [unrolled: 1-line block ×3, first 2 shown]
	s_branch .LBB109_4
.LBB109_2:                              ;   in Loop: Header=BB109_4 Depth=1
	s_wait_xcnt 0x0
	s_or_b32 exec_lo, exec_lo, s24
.LBB109_3:                              ;   in Loop: Header=BB109_4 Depth=1
	s_add_co_i32 s34, s34, 0x10000
	s_delay_alu instid0(SALU_CYCLE_1)
	s_cmp_lt_i32 s34, s33
	s_cbranch_scc0 .LBB109_34
.LBB109_4:                              ; =>This Loop Header: Depth=1
                                        ;     Child Loop BB109_7 Depth 2
	v_dual_mov_b32 v14, s34 :: v_dual_mov_b32 v19, 0
	v_dual_mov_b32 v18, 0 :: v_dual_mov_b32 v15, 0
	s_and_not1_b32 vcc_lo, exec_lo, s26
	s_clause 0x1
	global_load_b64 v[16:17], v14, s[16:17] scale_offset
	global_load_b64 v[20:21], v14, s[22:23] scale_offset
	s_wait_xcnt 0x0
	v_mov_b32_e32 v14, 0
	s_cbranch_vccnz .LBB109_11
; %bb.5:                                ;   in Loop: Header=BB109_4 Depth=1
	s_lshl_b64 s[24:25], s[34:35], 3
	v_mov_b32_e32 v18, 0
	s_add_nc_u64 s[28:29], s[14:15], s[24:25]
	s_add_nc_u64 s[24:25], s[8:9], s[24:25]
	s_clause 0x1
	global_load_b64 v[14:15], v1, s[28:29]
	global_load_b64 v[24:25], v1, s[24:25]
	s_wait_xcnt 0x0
	s_mov_b64 s[24:25], 0
	v_mov_b32_e32 v19, v18
	s_wait_loadcnt 0x1
	v_add_nc_u64_e32 v[22:23], v[14:15], v[10:11]
	s_wait_loadcnt 0x0
	v_add_nc_u64_e32 v[24:25], v[24:25], v[12:13]
	v_dual_mov_b32 v14, v18 :: v_dual_mov_b32 v15, v18
	s_branch .LBB109_7
.LBB109_6:                              ;   in Loop: Header=BB109_7 Depth=2
	s_wait_xcnt 0x0
	s_or_b32 exec_lo, exec_lo, s27
	ds_store_b32 v29, v27
	s_wait_dscnt 0x0
	s_barrier_signal -1
	s_barrier_wait -1
	ds_load_b128 v[32:35], v31
	ds_load_2addr_b32 v[26:27], v30 offset1:16
	ds_load_b128 v[36:39], v31 offset:512
	ds_load_2addr_b32 v[48:49], v30 offset0:32 offset1:48
	ds_load_2addr_b32 v[50:51], v30 offset0:64 offset1:80
	;; [unrolled: 1-line block ×3, first 2 shown]
	ds_load_b128 v[40:43], v31 offset:16
	ds_load_2addr_b32 v[54:55], v30 offset0:128 offset1:144
	ds_load_b128 v[44:47], v31 offset:528
	s_add_nc_u64 s[24:25], s[24:25], 8
	v_add_nc_u64_e32 v[22:23], s[12:13], v[22:23]
	v_cmp_lt_i64_e64 s27, s[24:25], s[36:37]
	v_add_nc_u64_e32 v[24:25], 16, v[24:25]
	s_and_b32 vcc_lo, exec_lo, s27
	s_wait_dscnt 0x7
	v_pk_fma_f32 v[18:19], v[26:27], v[32:33], v[18:19] op_sel_hi:[1,0,1]
	s_wait_dscnt 0x6
	v_pk_fma_f32 v[14:15], v[26:27], v[36:37], v[14:15] op_sel_hi:[1,0,1]
	ds_load_2addr_b32 v[26:27], v30 offset0:160 offset1:176
	s_wait_dscnt 0x6
	v_pk_fma_f32 v[18:19], v[48:49], v[32:33], v[18:19] op_sel:[0,1,0]
	v_pk_fma_f32 v[14:15], v[48:49], v[36:37], v[14:15] op_sel:[0,1,0]
	ds_load_2addr_b32 v[32:33], v30 offset0:192 offset1:208
	v_dual_mov_b32 v36, v35 :: v_dual_mov_b32 v48, v39
	s_wait_dscnt 0x6
	v_pk_fma_f32 v[18:19], v[50:51], v[34:35], v[18:19] op_sel_hi:[1,0,1]
	v_pk_fma_f32 v[14:15], v[50:51], v[38:39], v[14:15] op_sel_hi:[1,0,1]
	ds_load_2addr_b32 v[34:35], v30 offset0:224 offset1:240
	s_wait_dscnt 0x0
	s_barrier_signal -1
	v_pk_fma_f32 v[18:19], v[52:53], v[36:37], v[18:19] op_sel_hi:[1,0,1]
	v_pk_fma_f32 v[14:15], v[52:53], v[48:49], v[14:15] op_sel_hi:[1,0,1]
	s_barrier_wait -1
	v_mov_b32_e32 v36, v47
	s_delay_alu instid0(VALU_DEP_3) | instskip(NEXT) | instid1(VALU_DEP_3)
	v_pk_fma_f32 v[18:19], v[54:55], v[40:41], v[18:19] op_sel_hi:[1,0,1]
	v_pk_fma_f32 v[14:15], v[54:55], v[44:45], v[14:15] op_sel_hi:[1,0,1]
	s_delay_alu instid0(VALU_DEP_2) | instskip(NEXT) | instid1(VALU_DEP_2)
	v_pk_fma_f32 v[18:19], v[26:27], v[40:41], v[18:19] op_sel:[0,1,0]
	v_pk_fma_f32 v[14:15], v[26:27], v[44:45], v[14:15] op_sel:[0,1,0]
	v_mov_b32_e32 v26, v43
	s_delay_alu instid0(VALU_DEP_3) | instskip(NEXT) | instid1(VALU_DEP_3)
	v_pk_fma_f32 v[18:19], v[32:33], v[42:43], v[18:19] op_sel_hi:[1,0,1]
	v_pk_fma_f32 v[14:15], v[32:33], v[46:47], v[14:15] op_sel_hi:[1,0,1]
	s_delay_alu instid0(VALU_DEP_2) | instskip(NEXT) | instid1(VALU_DEP_2)
	v_pk_fma_f32 v[18:19], v[34:35], v[26:27], v[18:19] op_sel_hi:[1,0,1]
	v_pk_fma_f32 v[14:15], v[34:35], v[36:37], v[14:15] op_sel_hi:[1,0,1]
	s_cbranch_vccz .LBB109_11
.LBB109_7:                              ;   Parent Loop BB109_4 Depth=1
                                        ; =>  This Inner Loop Header: Depth=2
	v_add_nc_u64_e32 v[26:27], s[24:25], v[0:1]
	s_delay_alu instid0(VALU_DEP_1) | instskip(SKIP_2) | instid1(SALU_CYCLE_1)
	v_cmp_gt_i64_e32 vcc_lo, s[36:37], v[26:27]
	v_mov_b32_e32 v26, 0
	s_and_b32 s28, s0, vcc_lo
	s_and_saveexec_b32 s27, s28
	s_cbranch_execz .LBB109_9
; %bb.8:                                ;   in Loop: Header=BB109_7 Depth=2
	flat_load_u16 v26, v[24:25]
	s_wait_loadcnt_dscnt 0x0
	v_cvt_f32_f16_e32 v26, v26
.LBB109_9:                              ;   in Loop: Header=BB109_7 Depth=2
	s_wait_xcnt 0x0
	s_or_b32 exec_lo, exec_lo, s27
	v_add_nc_u64_e32 v[32:33], s[24:25], v[2:3]
	v_mov_b32_e32 v27, 0
	ds_store_b32 v28, v26
	v_cmp_gt_i64_e32 vcc_lo, s[36:37], v[32:33]
	s_and_b32 s28, vcc_lo, s1
	s_delay_alu instid0(SALU_CYCLE_1)
	s_and_saveexec_b32 s27, s28
	s_cbranch_execz .LBB109_6
; %bb.10:                               ;   in Loop: Header=BB109_7 Depth=2
	flat_load_u16 v26, v[22:23]
	s_wait_loadcnt_dscnt 0x0
	v_cvt_f32_f16_e32 v27, v26
	s_branch .LBB109_6
.LBB109_11:                             ;   in Loop: Header=BB109_4 Depth=1
	s_wait_loadcnt 0x0
	v_add_nc_u64_e32 v[20:21], s[18:19], v[20:21]
	s_and_not1_b32 vcc_lo, exec_lo, s39
	s_cbranch_vccnz .LBB109_16
; %bb.12:                               ;   in Loop: Header=BB109_4 Depth=1
	s_and_saveexec_b32 s24, s2
	s_cbranch_execz .LBB109_23
; %bb.13:                               ;   in Loop: Header=BB109_4 Depth=1
	s_delay_alu instid0(VALU_DEP_1) | instskip(NEXT) | instid1(VALU_DEP_1)
	v_lshl_add_u64 v[22:23], v[6:7], 1, v[20:21]
	v_lshl_add_u64 v[24:25], v[4:5], 1, v[22:23]
	s_and_saveexec_b32 s25, s3
	s_cbranch_execnz .LBB109_17
; %bb.14:                               ;   in Loop: Header=BB109_4 Depth=1
	s_or_b32 exec_lo, exec_lo, s25
	s_and_saveexec_b32 s25, s4
	s_cbranch_execnz .LBB109_18
.LBB109_15:                             ;   in Loop: Header=BB109_4 Depth=1
	s_or_b32 exec_lo, exec_lo, s25
	s_delay_alu instid0(SALU_CYCLE_1)
	s_and_b32 exec_lo, exec_lo, s5
	s_cbranch_execnz .LBB109_19
	s_branch .LBB109_23
.LBB109_16:                             ;   in Loop: Header=BB109_4 Depth=1
	s_branch .LBB109_24
.LBB109_17:                             ;   in Loop: Header=BB109_4 Depth=1
	v_fma_mixlo_f16 v26, s38, v18, 0
	flat_store_b16 v[24:25], v26
	s_wait_xcnt 0x0
	s_or_b32 exec_lo, exec_lo, s25
	s_and_saveexec_b32 s25, s4
	s_cbranch_execz .LBB109_15
.LBB109_18:                             ;   in Loop: Header=BB109_4 Depth=1
	v_fma_mixlo_f16 v26, s38, v19, 0
	flat_store_b16 v[24:25], v26 offset:32
	s_wait_xcnt 0x0
	s_or_b32 exec_lo, exec_lo, s25
	s_delay_alu instid0(SALU_CYCLE_1)
	s_and_b32 exec_lo, exec_lo, s5
	s_cbranch_execz .LBB109_23
.LBB109_19:                             ;   in Loop: Header=BB109_4 Depth=1
	v_lshl_add_u64 v[22:23], s[6:7], 1, v[22:23]
	s_delay_alu instid0(VALU_DEP_1)
	v_lshl_add_u64 v[22:23], v[4:5], 1, v[22:23]
	s_and_saveexec_b32 s25, s3
	s_cbranch_execz .LBB109_21
; %bb.20:                               ;   in Loop: Header=BB109_4 Depth=1
	v_fma_mixlo_f16 v24, s38, v14, 0
	flat_store_b16 v[22:23], v24
.LBB109_21:                             ;   in Loop: Header=BB109_4 Depth=1
	s_wait_xcnt 0x0
	s_or_b32 exec_lo, exec_lo, s25
	s_delay_alu instid0(SALU_CYCLE_1)
	s_and_b32 exec_lo, exec_lo, s4
	s_cbranch_execz .LBB109_23
; %bb.22:                               ;   in Loop: Header=BB109_4 Depth=1
	v_fma_mixlo_f16 v24, s38, v15, 0
	flat_store_b16 v[22:23], v24 offset:32
.LBB109_23:                             ;   in Loop: Header=BB109_4 Depth=1
	s_wait_xcnt 0x0
	s_or_b32 exec_lo, exec_lo, s24
	s_cbranch_execnz .LBB109_3
.LBB109_24:                             ;   in Loop: Header=BB109_4 Depth=1
	s_and_saveexec_b32 s24, s2
	s_cbranch_execz .LBB109_2
; %bb.25:                               ;   in Loop: Header=BB109_4 Depth=1
	v_add_nc_u64_e32 v[22:23], s[20:21], v[16:17]
	v_lshlrev_b64_e32 v[16:17], 1, v[4:5]
	v_lshl_add_u64 v[20:21], v[6:7], 1, v[20:21]
	s_delay_alu instid0(VALU_DEP_3) | instskip(NEXT) | instid1(VALU_DEP_2)
	v_lshl_add_u64 v[22:23], v[8:9], 1, v[22:23]
	v_add_nc_u64_e32 v[24:25], v[20:21], v[16:17]
	s_delay_alu instid0(VALU_DEP_2)
	v_add_nc_u64_e32 v[26:27], v[22:23], v[16:17]
	s_and_saveexec_b32 s25, s3
	s_cbranch_execnz .LBB109_28
; %bb.26:                               ;   in Loop: Header=BB109_4 Depth=1
	s_or_b32 exec_lo, exec_lo, s25
	s_and_saveexec_b32 s25, s4
	s_cbranch_execnz .LBB109_29
.LBB109_27:                             ;   in Loop: Header=BB109_4 Depth=1
	s_or_b32 exec_lo, exec_lo, s25
	s_delay_alu instid0(SALU_CYCLE_1)
	s_and_b32 exec_lo, exec_lo, s5
	s_cbranch_execz .LBB109_2
	s_branch .LBB109_30
.LBB109_28:                             ;   in Loop: Header=BB109_4 Depth=1
	flat_load_u16 v33, v[26:27]
	v_mov_b64_e32 v[34:35], s[40:41]
	v_mov_b32_e32 v32, v18
	s_wait_loadcnt_dscnt 0x0
	v_cvt_f32_f16_e32 v33, v33
	s_delay_alu instid0(VALU_DEP_1) | instskip(NEXT) | instid1(VALU_DEP_1)
	v_pk_mul_f32 v[32:33], v[34:35], v[32:33]
	v_add_f32_e32 v18, v32, v33
	s_delay_alu instid0(VALU_DEP_1)
	v_cvt_f16_f32_e32 v18, v18
	flat_store_b16 v[24:25], v18
	s_wait_xcnt 0x0
	s_or_b32 exec_lo, exec_lo, s25
	s_and_saveexec_b32 s25, s4
	s_cbranch_execz .LBB109_27
.LBB109_29:                             ;   in Loop: Header=BB109_4 Depth=1
	flat_load_u16 v26, v[26:27] offset:32
	v_mov_b32_e32 v18, v19
	s_wait_loadcnt_dscnt 0x0
	v_cvt_f32_f16_e32 v19, v26
	s_wait_xcnt 0x0
	v_mov_b64_e32 v[26:27], s[40:41]
	s_delay_alu instid0(VALU_DEP_1) | instskip(NEXT) | instid1(VALU_DEP_1)
	v_pk_mul_f32 v[18:19], v[26:27], v[18:19]
	v_add_f32_e32 v18, v18, v19
	s_delay_alu instid0(VALU_DEP_1) | instskip(SKIP_3) | instid1(SALU_CYCLE_1)
	v_cvt_f16_f32_e32 v18, v18
	flat_store_b16 v[24:25], v18 offset:32
	s_wait_xcnt 0x0
	s_or_b32 exec_lo, exec_lo, s25
	s_and_b32 exec_lo, exec_lo, s5
	s_cbranch_execz .LBB109_2
.LBB109_30:                             ;   in Loop: Header=BB109_4 Depth=1
	v_lshl_add_u64 v[18:19], s[10:11], 1, v[22:23]
	v_lshl_add_u64 v[20:21], s[6:7], 1, v[20:21]
	s_delay_alu instid0(VALU_DEP_2) | instskip(NEXT) | instid1(VALU_DEP_2)
	v_add_nc_u64_e32 v[18:19], v[18:19], v[16:17]
	v_add_nc_u64_e32 v[16:17], v[20:21], v[16:17]
	s_and_saveexec_b32 s25, s3
	s_cbranch_execz .LBB109_32
; %bb.31:                               ;   in Loop: Header=BB109_4 Depth=1
	flat_load_u16 v21, v[18:19]
	v_mov_b64_e32 v[22:23], s[40:41]
	v_mov_b32_e32 v20, v14
	s_wait_loadcnt_dscnt 0x0
	v_cvt_f32_f16_e32 v21, v21
	s_delay_alu instid0(VALU_DEP_1) | instskip(NEXT) | instid1(VALU_DEP_1)
	v_pk_mul_f32 v[20:21], v[22:23], v[20:21]
	v_add_f32_e32 v14, v20, v21
	s_delay_alu instid0(VALU_DEP_1)
	v_cvt_f16_f32_e32 v14, v14
	flat_store_b16 v[16:17], v14
.LBB109_32:                             ;   in Loop: Header=BB109_4 Depth=1
	s_wait_xcnt 0x0
	s_or_b32 exec_lo, exec_lo, s25
	s_delay_alu instid0(SALU_CYCLE_1)
	s_and_b32 exec_lo, exec_lo, s4
	s_cbranch_execz .LBB109_2
; %bb.33:                               ;   in Loop: Header=BB109_4 Depth=1
	flat_load_u16 v18, v[18:19] offset:32
	v_mov_b32_e32 v14, v15
	s_wait_loadcnt_dscnt 0x0
	v_cvt_f32_f16_e32 v15, v18
	s_wait_xcnt 0x0
	v_mov_b64_e32 v[18:19], s[40:41]
	s_delay_alu instid0(VALU_DEP_1) | instskip(NEXT) | instid1(VALU_DEP_1)
	v_pk_mul_f32 v[14:15], v[18:19], v[14:15]
	v_add_f32_e32 v14, v14, v15
	s_delay_alu instid0(VALU_DEP_1)
	v_cvt_f16_f32_e32 v14, v14
	flat_store_b16 v[16:17], v14 offset:32
	s_branch .LBB109_2
.LBB109_34:
	s_endpgm
	.section	.rodata,"a",@progbits
	.p2align	6, 0x0
	.amdhsa_kernel _ZN12_GLOBAL__N_135rocblas_gemm_batched_general_kernelIfLi16ELi16ELi32ELi32ELi8ELi32ELi8ELi8ELi32ELc67ELc84EKPKDF16_S3_KPDF16_EEvlllT_PT11_llS8_llS6_PT12_llPT13_lli
		.amdhsa_group_segment_fixed_size 2048
		.amdhsa_private_segment_fixed_size 0
		.amdhsa_kernarg_size 140
		.amdhsa_user_sgpr_count 2
		.amdhsa_user_sgpr_dispatch_ptr 0
		.amdhsa_user_sgpr_queue_ptr 0
		.amdhsa_user_sgpr_kernarg_segment_ptr 1
		.amdhsa_user_sgpr_dispatch_id 0
		.amdhsa_user_sgpr_kernarg_preload_length 0
		.amdhsa_user_sgpr_kernarg_preload_offset 0
		.amdhsa_user_sgpr_private_segment_size 0
		.amdhsa_wavefront_size32 1
		.amdhsa_uses_dynamic_stack 0
		.amdhsa_enable_private_segment 0
		.amdhsa_system_sgpr_workgroup_id_x 1
		.amdhsa_system_sgpr_workgroup_id_y 1
		.amdhsa_system_sgpr_workgroup_id_z 1
		.amdhsa_system_sgpr_workgroup_info 0
		.amdhsa_system_vgpr_workitem_id 1
		.amdhsa_next_free_vgpr 56
		.amdhsa_next_free_sgpr 42
		.amdhsa_named_barrier_count 0
		.amdhsa_reserve_vcc 1
		.amdhsa_float_round_mode_32 0
		.amdhsa_float_round_mode_16_64 0
		.amdhsa_float_denorm_mode_32 3
		.amdhsa_float_denorm_mode_16_64 3
		.amdhsa_fp16_overflow 0
		.amdhsa_memory_ordered 1
		.amdhsa_forward_progress 1
		.amdhsa_inst_pref_size 15
		.amdhsa_round_robin_scheduling 0
		.amdhsa_exception_fp_ieee_invalid_op 0
		.amdhsa_exception_fp_denorm_src 0
		.amdhsa_exception_fp_ieee_div_zero 0
		.amdhsa_exception_fp_ieee_overflow 0
		.amdhsa_exception_fp_ieee_underflow 0
		.amdhsa_exception_fp_ieee_inexact 0
		.amdhsa_exception_int_div_zero 0
	.end_amdhsa_kernel
	.section	.text._ZN12_GLOBAL__N_135rocblas_gemm_batched_general_kernelIfLi16ELi16ELi32ELi32ELi8ELi32ELi8ELi8ELi32ELc67ELc84EKPKDF16_S3_KPDF16_EEvlllT_PT11_llS8_llS6_PT12_llPT13_lli,"axG",@progbits,_ZN12_GLOBAL__N_135rocblas_gemm_batched_general_kernelIfLi16ELi16ELi32ELi32ELi8ELi32ELi8ELi8ELi32ELc67ELc84EKPKDF16_S3_KPDF16_EEvlllT_PT11_llS8_llS6_PT12_llPT13_lli,comdat
.Lfunc_end109:
	.size	_ZN12_GLOBAL__N_135rocblas_gemm_batched_general_kernelIfLi16ELi16ELi32ELi32ELi8ELi32ELi8ELi8ELi32ELc67ELc84EKPKDF16_S3_KPDF16_EEvlllT_PT11_llS8_llS6_PT12_llPT13_lli, .Lfunc_end109-_ZN12_GLOBAL__N_135rocblas_gemm_batched_general_kernelIfLi16ELi16ELi32ELi32ELi8ELi32ELi8ELi8ELi32ELc67ELc84EKPKDF16_S3_KPDF16_EEvlllT_PT11_llS8_llS6_PT12_llPT13_lli
                                        ; -- End function
	.set _ZN12_GLOBAL__N_135rocblas_gemm_batched_general_kernelIfLi16ELi16ELi32ELi32ELi8ELi32ELi8ELi8ELi32ELc67ELc84EKPKDF16_S3_KPDF16_EEvlllT_PT11_llS8_llS6_PT12_llPT13_lli.num_vgpr, 56
	.set _ZN12_GLOBAL__N_135rocblas_gemm_batched_general_kernelIfLi16ELi16ELi32ELi32ELi8ELi32ELi8ELi8ELi32ELc67ELc84EKPKDF16_S3_KPDF16_EEvlllT_PT11_llS8_llS6_PT12_llPT13_lli.num_agpr, 0
	.set _ZN12_GLOBAL__N_135rocblas_gemm_batched_general_kernelIfLi16ELi16ELi32ELi32ELi8ELi32ELi8ELi8ELi32ELc67ELc84EKPKDF16_S3_KPDF16_EEvlllT_PT11_llS8_llS6_PT12_llPT13_lli.numbered_sgpr, 42
	.set _ZN12_GLOBAL__N_135rocblas_gemm_batched_general_kernelIfLi16ELi16ELi32ELi32ELi8ELi32ELi8ELi8ELi32ELc67ELc84EKPKDF16_S3_KPDF16_EEvlllT_PT11_llS8_llS6_PT12_llPT13_lli.num_named_barrier, 0
	.set _ZN12_GLOBAL__N_135rocblas_gemm_batched_general_kernelIfLi16ELi16ELi32ELi32ELi8ELi32ELi8ELi8ELi32ELc67ELc84EKPKDF16_S3_KPDF16_EEvlllT_PT11_llS8_llS6_PT12_llPT13_lli.private_seg_size, 0
	.set _ZN12_GLOBAL__N_135rocblas_gemm_batched_general_kernelIfLi16ELi16ELi32ELi32ELi8ELi32ELi8ELi8ELi32ELc67ELc84EKPKDF16_S3_KPDF16_EEvlllT_PT11_llS8_llS6_PT12_llPT13_lli.uses_vcc, 1
	.set _ZN12_GLOBAL__N_135rocblas_gemm_batched_general_kernelIfLi16ELi16ELi32ELi32ELi8ELi32ELi8ELi8ELi32ELc67ELc84EKPKDF16_S3_KPDF16_EEvlllT_PT11_llS8_llS6_PT12_llPT13_lli.uses_flat_scratch, 0
	.set _ZN12_GLOBAL__N_135rocblas_gemm_batched_general_kernelIfLi16ELi16ELi32ELi32ELi8ELi32ELi8ELi8ELi32ELc67ELc84EKPKDF16_S3_KPDF16_EEvlllT_PT11_llS8_llS6_PT12_llPT13_lli.has_dyn_sized_stack, 0
	.set _ZN12_GLOBAL__N_135rocblas_gemm_batched_general_kernelIfLi16ELi16ELi32ELi32ELi8ELi32ELi8ELi8ELi32ELc67ELc84EKPKDF16_S3_KPDF16_EEvlllT_PT11_llS8_llS6_PT12_llPT13_lli.has_recursion, 0
	.set _ZN12_GLOBAL__N_135rocblas_gemm_batched_general_kernelIfLi16ELi16ELi32ELi32ELi8ELi32ELi8ELi8ELi32ELc67ELc84EKPKDF16_S3_KPDF16_EEvlllT_PT11_llS8_llS6_PT12_llPT13_lli.has_indirect_call, 0
	.section	.AMDGPU.csdata,"",@progbits
; Kernel info:
; codeLenInByte = 1908
; TotalNumSgprs: 44
; NumVgprs: 56
; ScratchSize: 0
; MemoryBound: 0
; FloatMode: 240
; IeeeMode: 1
; LDSByteSize: 2048 bytes/workgroup (compile time only)
; SGPRBlocks: 0
; VGPRBlocks: 3
; NumSGPRsForWavesPerEU: 44
; NumVGPRsForWavesPerEU: 56
; NamedBarCnt: 0
; Occupancy: 16
; WaveLimiterHint : 1
; COMPUTE_PGM_RSRC2:SCRATCH_EN: 0
; COMPUTE_PGM_RSRC2:USER_SGPR: 2
; COMPUTE_PGM_RSRC2:TRAP_HANDLER: 0
; COMPUTE_PGM_RSRC2:TGID_X_EN: 1
; COMPUTE_PGM_RSRC2:TGID_Y_EN: 1
; COMPUTE_PGM_RSRC2:TGID_Z_EN: 1
; COMPUTE_PGM_RSRC2:TIDIG_COMP_CNT: 1
	.section	.text._ZN12_GLOBAL__N_135rocblas_gemm_batched_general_kernelIfLi16ELi16ELi32ELi32ELi8ELi32ELi8ELi8ELi32ELc78ELc67EKPKDF16_S3_KPDF16_EEvlllT_PT11_llS8_llS6_PT12_llPT13_lli,"axG",@progbits,_ZN12_GLOBAL__N_135rocblas_gemm_batched_general_kernelIfLi16ELi16ELi32ELi32ELi8ELi32ELi8ELi8ELi32ELc78ELc67EKPKDF16_S3_KPDF16_EEvlllT_PT11_llS8_llS6_PT12_llPT13_lli,comdat
	.globl	_ZN12_GLOBAL__N_135rocblas_gemm_batched_general_kernelIfLi16ELi16ELi32ELi32ELi8ELi32ELi8ELi8ELi32ELc78ELc67EKPKDF16_S3_KPDF16_EEvlllT_PT11_llS8_llS6_PT12_llPT13_lli ; -- Begin function _ZN12_GLOBAL__N_135rocblas_gemm_batched_general_kernelIfLi16ELi16ELi32ELi32ELi8ELi32ELi8ELi8ELi32ELc78ELc67EKPKDF16_S3_KPDF16_EEvlllT_PT11_llS8_llS6_PT12_llPT13_lli
	.p2align	8
	.type	_ZN12_GLOBAL__N_135rocblas_gemm_batched_general_kernelIfLi16ELi16ELi32ELi32ELi8ELi32ELi8ELi8ELi32ELc78ELc67EKPKDF16_S3_KPDF16_EEvlllT_PT11_llS8_llS6_PT12_llPT13_lli,@function
_ZN12_GLOBAL__N_135rocblas_gemm_batched_general_kernelIfLi16ELi16ELi32ELi32ELi8ELi32ELi8ELi8ELi32ELc78ELc67EKPKDF16_S3_KPDF16_EEvlllT_PT11_llS8_llS6_PT12_llPT13_lli: ; @_ZN12_GLOBAL__N_135rocblas_gemm_batched_general_kernelIfLi16ELi16ELi32ELi32ELi8ELi32ELi8ELi8ELi32ELc78ELc67EKPKDF16_S3_KPDF16_EEvlllT_PT11_llS8_llS6_PT12_llPT13_lli
; %bb.0:
	s_load_b32 s33, s[0:1], 0x88
	s_bfe_u32 s2, ttmp6, 0x40014
	s_lshr_b32 s3, ttmp7, 16
	s_add_co_i32 s2, s2, 1
	s_bfe_u32 s5, ttmp6, 0x40008
	s_mul_i32 s4, s3, s2
	s_getreg_b32 s2, hwreg(HW_REG_IB_STS2, 6, 4)
	s_add_co_i32 s5, s5, s4
	s_cmp_eq_u32 s2, 0
	s_mov_b32 s35, 0
	s_cselect_b32 s34, s3, s5
	s_wait_kmcnt 0x0
	s_cmp_ge_i32 s34, s33
	s_cbranch_scc1 .LBB110_34
; %bb.1:
	s_clause 0x6
	s_load_b128 s[4:7], s[0:1], 0x0
	s_load_b96 s[36:38], s[0:1], 0x10
	s_load_b256 s[8:15], s[0:1], 0x20
	s_load_b128 s[28:31], s[0:1], 0x40
	s_load_b32 s41, s[0:1], 0x50
	s_load_b128 s[24:27], s[0:1], 0x78
	s_load_b256 s[16:23], s[0:1], 0x58
	v_bfe_u32 v6, v0, 10, 10
	v_and_b32_e32 v8, 0x3ff, v0
	s_wait_xcnt 0x0
	s_bfe_u32 s0, ttmp6, 0x4000c
	s_bfe_u32 s3, ttmp6, 0x40010
	s_add_co_i32 s0, s0, 1
	s_and_b32 s39, ttmp7, 0xffff
	s_add_co_i32 s3, s3, 1
	v_lshl_add_u32 v1, v6, 4, v8
	v_mov_b32_e32 v3, 0
	s_and_b32 s1, ttmp6, 15
	s_mul_i32 s0, ttmp9, s0
	s_mul_i32 s3, s39, s3
	s_bfe_u32 s40, ttmp6, 0x40004
	s_add_co_i32 s1, s1, s0
	s_add_co_i32 s40, s40, s3
	s_cmp_eq_u32 s2, 0
	v_dual_mov_b32 v9, v3 :: v_dual_bitop2_b32 v22, 31, v1 bitop3:0x40
	v_dual_lshrrev_b32 v2, 5, v1 :: v_dual_bitop2_b32 v0, 7, v0 bitop3:0x40
	v_dual_mov_b32 v1, v3 :: v_dual_lshrrev_b32 v10, 3, v1
	v_mov_b32_e32 v11, v3
	s_cselect_b32 s40, s39, s40
	s_cselect_b32 s42, ttmp9, s1
	s_lshl_b32 s44, s40, 5
	s_mov_b32 s45, s35
	s_wait_kmcnt 0x0
	v_mul_u64_e32 v[12:13], s[28:29], v[0:1]
	v_add_nc_u64_e32 v[14:15], s[44:45], v[10:11]
	v_dual_lshlrev_b32 v11, 2, v0 :: v_dual_lshlrev_b32 v18, 2, v22
	v_mul_u64_e32 v[16:17], s[10:11], v[2:3]
	v_dual_mov_b32 v7, v3 :: v_dual_lshlrev_b32 v30, 2, v8
	s_ashr_i32 s43, s42, 31
	s_delay_alu instid0(VALU_DEP_3) | instskip(SKIP_1) | instid1(VALU_DEP_2)
	v_lshl_or_b32 v28, v2, 7, v18
	s_lshl_b64 s[2:3], s[42:43], 5
	v_add_nc_u64_e32 v[18:19], s[44:45], v[6:7]
	v_dual_mov_b32 v5, s3 :: v_dual_bitop2_b32 v4, s2, v22 bitop3:0x54
	v_lshl_add_u32 v31, v6, 5, 0x400
	v_cmp_gt_i64_e64 s1, s[6:7], v[14:15]
	s_cmp_eq_f32 s41, 0
	v_lshl_or_b32 v11, v10, 5, v11
	v_cmp_gt_i64_e64 s0, s[4:5], v[4:5]
	v_add_nc_u64_e32 v[4:5], s[2:3], v[8:9]
	v_mul_u64_e32 v[6:7], s[24:25], v[18:19]
	v_mul_u64_e32 v[8:9], s[18:19], v[18:19]
	v_add_nc_u64_e32 v[20:21], 16, v[18:19]
	s_cselect_b32 s39, -1, 0
	v_cmp_gt_i64_e64 s2, s[6:7], v[18:19]
	s_lshl_b32 s44, s40, 6
	v_add_nc_u64_e32 v[14:15], 16, v[4:5]
	v_cmp_gt_i64_e64 s3, s[4:5], v[4:5]
	s_lshl_b64 s[30:31], s[30:31], 1
	s_lshl_b64 s[12:13], s[12:13], 1
	s_add_nc_u64 s[30:31], s[30:31], s[44:45]
	v_add_nc_u32_e32 v29, 0x400, v11
	v_dual_mov_b32 v11, v3 :: v_dual_lshlrev_b32 v10, 1, v10
	v_cmp_gt_i64_e64 s4, s[4:5], v[14:15]
	v_cmp_gt_i64_e64 s5, s[6:7], v[20:21]
	s_lshl_b64 s[6:7], s[24:25], 4
	s_lshl_b64 s[24:25], s[42:43], 6
	v_lshl_add_u64 v[12:13], v[12:13], 1, s[30:31]
	s_add_nc_u64 s[12:13], s[12:13], s[24:25]
	s_mov_b32 s40, s38
	v_lshl_add_u64 v[14:15], v[16:17], 1, s[12:13]
	v_dual_mov_b32 v17, v3 :: v_dual_lshlrev_b32 v16, 1, v22
	s_lshl_b64 s[12:13], s[18:19], 4
	v_add_nc_u64_e32 v[10:11], v[12:13], v[10:11]
	s_lshl_b64 s[18:19], s[28:29], 4
	v_cmp_gt_i64_e64 s28, s[36:37], 0
	v_add_nc_u64_e32 v[12:13], v[14:15], v[16:17]
	s_lshl_b64 s[10:11], s[10:11], 4
	s_lshl_b64 s[24:25], s[26:27], 1
	;; [unrolled: 1-line block ×3, first 2 shown]
	s_branch .LBB110_4
.LBB110_2:                              ;   in Loop: Header=BB110_4 Depth=1
	s_wait_xcnt 0x0
	s_or_b32 exec_lo, exec_lo, s26
.LBB110_3:                              ;   in Loop: Header=BB110_4 Depth=1
	s_add_co_i32 s34, s34, 0x10000
	s_delay_alu instid0(SALU_CYCLE_1)
	s_cmp_lt_i32 s34, s33
	s_cbranch_scc0 .LBB110_34
.LBB110_4:                              ; =>This Loop Header: Depth=1
                                        ;     Child Loop BB110_7 Depth 2
	v_dual_mov_b32 v14, s34 :: v_dual_mov_b32 v19, 0
	v_dual_mov_b32 v18, 0 :: v_dual_mov_b32 v15, 0
	s_and_not1_b32 vcc_lo, exec_lo, s28
	s_clause 0x1
	global_load_b64 v[16:17], v14, s[16:17] scale_offset
	global_load_b64 v[20:21], v14, s[22:23] scale_offset
	s_wait_xcnt 0x0
	v_mov_b32_e32 v14, 0
	s_cbranch_vccnz .LBB110_11
; %bb.5:                                ;   in Loop: Header=BB110_4 Depth=1
	s_lshl_b64 s[26:27], s[34:35], 3
	v_mov_b32_e32 v18, 0
	s_add_nc_u64 s[30:31], s[14:15], s[26:27]
	s_add_nc_u64 s[26:27], s[8:9], s[26:27]
	s_clause 0x1
	global_load_b64 v[14:15], v3, s[30:31]
	global_load_b64 v[24:25], v3, s[26:27]
	s_wait_xcnt 0x0
	s_mov_b64 s[26:27], 0
	v_mov_b32_e32 v19, v18
	s_wait_loadcnt 0x1
	v_add_nc_u64_e32 v[22:23], v[14:15], v[10:11]
	s_wait_loadcnt 0x0
	v_add_nc_u64_e32 v[24:25], v[24:25], v[12:13]
	v_dual_mov_b32 v14, v18 :: v_dual_mov_b32 v15, v18
	s_branch .LBB110_7
.LBB110_6:                              ;   in Loop: Header=BB110_7 Depth=2
	s_wait_xcnt 0x0
	s_or_b32 exec_lo, exec_lo, s29
	ds_store_b32 v29, v27
	s_wait_dscnt 0x0
	s_barrier_signal -1
	s_barrier_wait -1
	ds_load_b128 v[32:35], v31
	ds_load_2addr_b32 v[26:27], v30 offset1:16
	ds_load_b128 v[36:39], v31 offset:512
	ds_load_2addr_b32 v[48:49], v30 offset0:32 offset1:48
	ds_load_2addr_b32 v[50:51], v30 offset0:64 offset1:80
	;; [unrolled: 1-line block ×3, first 2 shown]
	ds_load_b128 v[40:43], v31 offset:16
	ds_load_2addr_b32 v[54:55], v30 offset0:128 offset1:144
	ds_load_b128 v[44:47], v31 offset:528
	s_add_nc_u64 s[26:27], s[26:27], 8
	v_add_nc_u64_e32 v[22:23], s[18:19], v[22:23]
	v_cmp_lt_i64_e64 s29, s[26:27], s[36:37]
	v_add_nc_u64_e32 v[24:25], s[10:11], v[24:25]
	s_and_b32 vcc_lo, exec_lo, s29
	s_wait_dscnt 0x7
	v_pk_fma_f32 v[18:19], v[26:27], v[32:33], v[18:19] op_sel_hi:[1,0,1]
	s_wait_dscnt 0x6
	v_pk_fma_f32 v[14:15], v[26:27], v[36:37], v[14:15] op_sel_hi:[1,0,1]
	ds_load_2addr_b32 v[26:27], v30 offset0:160 offset1:176
	s_wait_dscnt 0x6
	v_pk_fma_f32 v[18:19], v[48:49], v[32:33], v[18:19] op_sel:[0,1,0]
	v_pk_fma_f32 v[14:15], v[48:49], v[36:37], v[14:15] op_sel:[0,1,0]
	ds_load_2addr_b32 v[32:33], v30 offset0:192 offset1:208
	v_dual_mov_b32 v36, v35 :: v_dual_mov_b32 v48, v39
	s_wait_dscnt 0x6
	v_pk_fma_f32 v[18:19], v[50:51], v[34:35], v[18:19] op_sel_hi:[1,0,1]
	v_pk_fma_f32 v[14:15], v[50:51], v[38:39], v[14:15] op_sel_hi:[1,0,1]
	ds_load_2addr_b32 v[34:35], v30 offset0:224 offset1:240
	s_wait_dscnt 0x0
	s_barrier_signal -1
	v_pk_fma_f32 v[18:19], v[52:53], v[36:37], v[18:19] op_sel_hi:[1,0,1]
	v_pk_fma_f32 v[14:15], v[52:53], v[48:49], v[14:15] op_sel_hi:[1,0,1]
	s_barrier_wait -1
	v_mov_b32_e32 v36, v47
	s_delay_alu instid0(VALU_DEP_3) | instskip(NEXT) | instid1(VALU_DEP_3)
	v_pk_fma_f32 v[18:19], v[54:55], v[40:41], v[18:19] op_sel_hi:[1,0,1]
	v_pk_fma_f32 v[14:15], v[54:55], v[44:45], v[14:15] op_sel_hi:[1,0,1]
	s_delay_alu instid0(VALU_DEP_2) | instskip(NEXT) | instid1(VALU_DEP_2)
	v_pk_fma_f32 v[18:19], v[26:27], v[40:41], v[18:19] op_sel:[0,1,0]
	v_pk_fma_f32 v[14:15], v[26:27], v[44:45], v[14:15] op_sel:[0,1,0]
	v_mov_b32_e32 v26, v43
	s_delay_alu instid0(VALU_DEP_3) | instskip(NEXT) | instid1(VALU_DEP_3)
	v_pk_fma_f32 v[18:19], v[32:33], v[42:43], v[18:19] op_sel_hi:[1,0,1]
	v_pk_fma_f32 v[14:15], v[32:33], v[46:47], v[14:15] op_sel_hi:[1,0,1]
	s_delay_alu instid0(VALU_DEP_2) | instskip(NEXT) | instid1(VALU_DEP_2)
	v_pk_fma_f32 v[18:19], v[34:35], v[26:27], v[18:19] op_sel_hi:[1,0,1]
	v_pk_fma_f32 v[14:15], v[34:35], v[36:37], v[14:15] op_sel_hi:[1,0,1]
	s_cbranch_vccz .LBB110_11
.LBB110_7:                              ;   Parent Loop BB110_4 Depth=1
                                        ; =>  This Inner Loop Header: Depth=2
	v_add_nc_u64_e32 v[26:27], s[26:27], v[2:3]
	s_delay_alu instid0(VALU_DEP_1) | instskip(SKIP_2) | instid1(SALU_CYCLE_1)
	v_cmp_gt_i64_e32 vcc_lo, s[36:37], v[26:27]
	v_mov_b32_e32 v26, 0
	s_and_b32 s30, s0, vcc_lo
	s_and_saveexec_b32 s29, s30
	s_cbranch_execz .LBB110_9
; %bb.8:                                ;   in Loop: Header=BB110_7 Depth=2
	flat_load_u16 v26, v[24:25]
	s_wait_loadcnt_dscnt 0x0
	v_cvt_f32_f16_e32 v26, v26
.LBB110_9:                              ;   in Loop: Header=BB110_7 Depth=2
	s_wait_xcnt 0x0
	s_or_b32 exec_lo, exec_lo, s29
	v_add_nc_u64_e32 v[32:33], s[26:27], v[0:1]
	v_mov_b32_e32 v27, 0
	ds_store_b32 v28, v26
	v_cmp_gt_i64_e32 vcc_lo, s[36:37], v[32:33]
	s_and_b32 s30, vcc_lo, s1
	s_delay_alu instid0(SALU_CYCLE_1)
	s_and_saveexec_b32 s29, s30
	s_cbranch_execz .LBB110_6
; %bb.10:                               ;   in Loop: Header=BB110_7 Depth=2
	flat_load_u16 v26, v[22:23]
	s_wait_loadcnt_dscnt 0x0
	v_cvt_f32_f16_e32 v27, v26
	s_branch .LBB110_6
.LBB110_11:                             ;   in Loop: Header=BB110_4 Depth=1
	s_wait_loadcnt 0x0
	v_add_nc_u64_e32 v[20:21], s[24:25], v[20:21]
	s_and_not1_b32 vcc_lo, exec_lo, s39
	s_cbranch_vccnz .LBB110_16
; %bb.12:                               ;   in Loop: Header=BB110_4 Depth=1
	s_and_saveexec_b32 s26, s2
	s_cbranch_execz .LBB110_23
; %bb.13:                               ;   in Loop: Header=BB110_4 Depth=1
	s_delay_alu instid0(VALU_DEP_1) | instskip(NEXT) | instid1(VALU_DEP_1)
	v_lshl_add_u64 v[22:23], v[6:7], 1, v[20:21]
	v_lshl_add_u64 v[24:25], v[4:5], 1, v[22:23]
	s_and_saveexec_b32 s27, s3
	s_cbranch_execnz .LBB110_17
; %bb.14:                               ;   in Loop: Header=BB110_4 Depth=1
	s_or_b32 exec_lo, exec_lo, s27
	s_and_saveexec_b32 s27, s4
	s_cbranch_execnz .LBB110_18
.LBB110_15:                             ;   in Loop: Header=BB110_4 Depth=1
	s_or_b32 exec_lo, exec_lo, s27
	s_delay_alu instid0(SALU_CYCLE_1)
	s_and_b32 exec_lo, exec_lo, s5
	s_cbranch_execnz .LBB110_19
	s_branch .LBB110_23
.LBB110_16:                             ;   in Loop: Header=BB110_4 Depth=1
	s_branch .LBB110_24
.LBB110_17:                             ;   in Loop: Header=BB110_4 Depth=1
	v_fma_mixlo_f16 v26, s38, v18, 0
	flat_store_b16 v[24:25], v26
	s_wait_xcnt 0x0
	s_or_b32 exec_lo, exec_lo, s27
	s_and_saveexec_b32 s27, s4
	s_cbranch_execz .LBB110_15
.LBB110_18:                             ;   in Loop: Header=BB110_4 Depth=1
	v_fma_mixlo_f16 v26, s38, v19, 0
	flat_store_b16 v[24:25], v26 offset:32
	s_wait_xcnt 0x0
	s_or_b32 exec_lo, exec_lo, s27
	s_delay_alu instid0(SALU_CYCLE_1)
	s_and_b32 exec_lo, exec_lo, s5
	s_cbranch_execz .LBB110_23
.LBB110_19:                             ;   in Loop: Header=BB110_4 Depth=1
	v_lshl_add_u64 v[22:23], s[6:7], 1, v[22:23]
	s_delay_alu instid0(VALU_DEP_1)
	v_lshl_add_u64 v[22:23], v[4:5], 1, v[22:23]
	s_and_saveexec_b32 s27, s3
	s_cbranch_execz .LBB110_21
; %bb.20:                               ;   in Loop: Header=BB110_4 Depth=1
	v_fma_mixlo_f16 v24, s38, v14, 0
	flat_store_b16 v[22:23], v24
.LBB110_21:                             ;   in Loop: Header=BB110_4 Depth=1
	s_wait_xcnt 0x0
	s_or_b32 exec_lo, exec_lo, s27
	s_delay_alu instid0(SALU_CYCLE_1)
	s_and_b32 exec_lo, exec_lo, s4
	s_cbranch_execz .LBB110_23
; %bb.22:                               ;   in Loop: Header=BB110_4 Depth=1
	v_fma_mixlo_f16 v24, s38, v15, 0
	flat_store_b16 v[22:23], v24 offset:32
.LBB110_23:                             ;   in Loop: Header=BB110_4 Depth=1
	s_wait_xcnt 0x0
	s_or_b32 exec_lo, exec_lo, s26
	s_cbranch_execnz .LBB110_3
.LBB110_24:                             ;   in Loop: Header=BB110_4 Depth=1
	s_and_saveexec_b32 s26, s2
	s_cbranch_execz .LBB110_2
; %bb.25:                               ;   in Loop: Header=BB110_4 Depth=1
	v_add_nc_u64_e32 v[22:23], s[20:21], v[16:17]
	v_lshlrev_b64_e32 v[16:17], 1, v[4:5]
	v_lshl_add_u64 v[20:21], v[6:7], 1, v[20:21]
	s_delay_alu instid0(VALU_DEP_3) | instskip(NEXT) | instid1(VALU_DEP_2)
	v_lshl_add_u64 v[22:23], v[8:9], 1, v[22:23]
	v_add_nc_u64_e32 v[24:25], v[20:21], v[16:17]
	s_delay_alu instid0(VALU_DEP_2)
	v_add_nc_u64_e32 v[26:27], v[22:23], v[16:17]
	s_and_saveexec_b32 s27, s3
	s_cbranch_execnz .LBB110_28
; %bb.26:                               ;   in Loop: Header=BB110_4 Depth=1
	s_or_b32 exec_lo, exec_lo, s27
	s_and_saveexec_b32 s27, s4
	s_cbranch_execnz .LBB110_29
.LBB110_27:                             ;   in Loop: Header=BB110_4 Depth=1
	s_or_b32 exec_lo, exec_lo, s27
	s_delay_alu instid0(SALU_CYCLE_1)
	s_and_b32 exec_lo, exec_lo, s5
	s_cbranch_execz .LBB110_2
	s_branch .LBB110_30
.LBB110_28:                             ;   in Loop: Header=BB110_4 Depth=1
	flat_load_u16 v33, v[26:27]
	v_mov_b64_e32 v[34:35], s[40:41]
	v_mov_b32_e32 v32, v18
	s_wait_loadcnt_dscnt 0x0
	v_cvt_f32_f16_e32 v33, v33
	s_delay_alu instid0(VALU_DEP_1) | instskip(NEXT) | instid1(VALU_DEP_1)
	v_pk_mul_f32 v[32:33], v[34:35], v[32:33]
	v_add_f32_e32 v18, v32, v33
	s_delay_alu instid0(VALU_DEP_1)
	v_cvt_f16_f32_e32 v18, v18
	flat_store_b16 v[24:25], v18
	s_wait_xcnt 0x0
	s_or_b32 exec_lo, exec_lo, s27
	s_and_saveexec_b32 s27, s4
	s_cbranch_execz .LBB110_27
.LBB110_29:                             ;   in Loop: Header=BB110_4 Depth=1
	flat_load_u16 v26, v[26:27] offset:32
	v_mov_b32_e32 v18, v19
	s_wait_loadcnt_dscnt 0x0
	v_cvt_f32_f16_e32 v19, v26
	s_wait_xcnt 0x0
	v_mov_b64_e32 v[26:27], s[40:41]
	s_delay_alu instid0(VALU_DEP_1) | instskip(NEXT) | instid1(VALU_DEP_1)
	v_pk_mul_f32 v[18:19], v[26:27], v[18:19]
	v_add_f32_e32 v18, v18, v19
	s_delay_alu instid0(VALU_DEP_1) | instskip(SKIP_3) | instid1(SALU_CYCLE_1)
	v_cvt_f16_f32_e32 v18, v18
	flat_store_b16 v[24:25], v18 offset:32
	s_wait_xcnt 0x0
	s_or_b32 exec_lo, exec_lo, s27
	s_and_b32 exec_lo, exec_lo, s5
	s_cbranch_execz .LBB110_2
.LBB110_30:                             ;   in Loop: Header=BB110_4 Depth=1
	v_lshl_add_u64 v[18:19], s[12:13], 1, v[22:23]
	v_lshl_add_u64 v[20:21], s[6:7], 1, v[20:21]
	s_delay_alu instid0(VALU_DEP_2) | instskip(NEXT) | instid1(VALU_DEP_2)
	v_add_nc_u64_e32 v[18:19], v[18:19], v[16:17]
	v_add_nc_u64_e32 v[16:17], v[20:21], v[16:17]
	s_and_saveexec_b32 s27, s3
	s_cbranch_execz .LBB110_32
; %bb.31:                               ;   in Loop: Header=BB110_4 Depth=1
	flat_load_u16 v21, v[18:19]
	v_mov_b64_e32 v[22:23], s[40:41]
	v_mov_b32_e32 v20, v14
	s_wait_loadcnt_dscnt 0x0
	v_cvt_f32_f16_e32 v21, v21
	s_delay_alu instid0(VALU_DEP_1) | instskip(NEXT) | instid1(VALU_DEP_1)
	v_pk_mul_f32 v[20:21], v[22:23], v[20:21]
	v_add_f32_e32 v14, v20, v21
	s_delay_alu instid0(VALU_DEP_1)
	v_cvt_f16_f32_e32 v14, v14
	flat_store_b16 v[16:17], v14
.LBB110_32:                             ;   in Loop: Header=BB110_4 Depth=1
	s_wait_xcnt 0x0
	s_or_b32 exec_lo, exec_lo, s27
	s_delay_alu instid0(SALU_CYCLE_1)
	s_and_b32 exec_lo, exec_lo, s4
	s_cbranch_execz .LBB110_2
; %bb.33:                               ;   in Loop: Header=BB110_4 Depth=1
	flat_load_u16 v18, v[18:19] offset:32
	v_mov_b32_e32 v14, v15
	s_wait_loadcnt_dscnt 0x0
	v_cvt_f32_f16_e32 v15, v18
	s_wait_xcnt 0x0
	v_mov_b64_e32 v[18:19], s[40:41]
	s_delay_alu instid0(VALU_DEP_1) | instskip(NEXT) | instid1(VALU_DEP_1)
	v_pk_mul_f32 v[14:15], v[18:19], v[14:15]
	v_add_f32_e32 v14, v14, v15
	s_delay_alu instid0(VALU_DEP_1)
	v_cvt_f16_f32_e32 v14, v14
	flat_store_b16 v[16:17], v14 offset:32
	s_branch .LBB110_2
.LBB110_34:
	s_endpgm
	.section	.rodata,"a",@progbits
	.p2align	6, 0x0
	.amdhsa_kernel _ZN12_GLOBAL__N_135rocblas_gemm_batched_general_kernelIfLi16ELi16ELi32ELi32ELi8ELi32ELi8ELi8ELi32ELc78ELc67EKPKDF16_S3_KPDF16_EEvlllT_PT11_llS8_llS6_PT12_llPT13_lli
		.amdhsa_group_segment_fixed_size 2048
		.amdhsa_private_segment_fixed_size 0
		.amdhsa_kernarg_size 140
		.amdhsa_user_sgpr_count 2
		.amdhsa_user_sgpr_dispatch_ptr 0
		.amdhsa_user_sgpr_queue_ptr 0
		.amdhsa_user_sgpr_kernarg_segment_ptr 1
		.amdhsa_user_sgpr_dispatch_id 0
		.amdhsa_user_sgpr_kernarg_preload_length 0
		.amdhsa_user_sgpr_kernarg_preload_offset 0
		.amdhsa_user_sgpr_private_segment_size 0
		.amdhsa_wavefront_size32 1
		.amdhsa_uses_dynamic_stack 0
		.amdhsa_enable_private_segment 0
		.amdhsa_system_sgpr_workgroup_id_x 1
		.amdhsa_system_sgpr_workgroup_id_y 1
		.amdhsa_system_sgpr_workgroup_id_z 1
		.amdhsa_system_sgpr_workgroup_info 0
		.amdhsa_system_vgpr_workitem_id 1
		.amdhsa_next_free_vgpr 56
		.amdhsa_next_free_sgpr 46
		.amdhsa_named_barrier_count 0
		.amdhsa_reserve_vcc 1
		.amdhsa_float_round_mode_32 0
		.amdhsa_float_round_mode_16_64 0
		.amdhsa_float_denorm_mode_32 3
		.amdhsa_float_denorm_mode_16_64 3
		.amdhsa_fp16_overflow 0
		.amdhsa_memory_ordered 1
		.amdhsa_forward_progress 1
		.amdhsa_inst_pref_size 15
		.amdhsa_round_robin_scheduling 0
		.amdhsa_exception_fp_ieee_invalid_op 0
		.amdhsa_exception_fp_denorm_src 0
		.amdhsa_exception_fp_ieee_div_zero 0
		.amdhsa_exception_fp_ieee_overflow 0
		.amdhsa_exception_fp_ieee_underflow 0
		.amdhsa_exception_fp_ieee_inexact 0
		.amdhsa_exception_int_div_zero 0
	.end_amdhsa_kernel
	.section	.text._ZN12_GLOBAL__N_135rocblas_gemm_batched_general_kernelIfLi16ELi16ELi32ELi32ELi8ELi32ELi8ELi8ELi32ELc78ELc67EKPKDF16_S3_KPDF16_EEvlllT_PT11_llS8_llS6_PT12_llPT13_lli,"axG",@progbits,_ZN12_GLOBAL__N_135rocblas_gemm_batched_general_kernelIfLi16ELi16ELi32ELi32ELi8ELi32ELi8ELi8ELi32ELc78ELc67EKPKDF16_S3_KPDF16_EEvlllT_PT11_llS8_llS6_PT12_llPT13_lli,comdat
.Lfunc_end110:
	.size	_ZN12_GLOBAL__N_135rocblas_gemm_batched_general_kernelIfLi16ELi16ELi32ELi32ELi8ELi32ELi8ELi8ELi32ELc78ELc67EKPKDF16_S3_KPDF16_EEvlllT_PT11_llS8_llS6_PT12_llPT13_lli, .Lfunc_end110-_ZN12_GLOBAL__N_135rocblas_gemm_batched_general_kernelIfLi16ELi16ELi32ELi32ELi8ELi32ELi8ELi8ELi32ELc78ELc67EKPKDF16_S3_KPDF16_EEvlllT_PT11_llS8_llS6_PT12_llPT13_lli
                                        ; -- End function
	.set _ZN12_GLOBAL__N_135rocblas_gemm_batched_general_kernelIfLi16ELi16ELi32ELi32ELi8ELi32ELi8ELi8ELi32ELc78ELc67EKPKDF16_S3_KPDF16_EEvlllT_PT11_llS8_llS6_PT12_llPT13_lli.num_vgpr, 56
	.set _ZN12_GLOBAL__N_135rocblas_gemm_batched_general_kernelIfLi16ELi16ELi32ELi32ELi8ELi32ELi8ELi8ELi32ELc78ELc67EKPKDF16_S3_KPDF16_EEvlllT_PT11_llS8_llS6_PT12_llPT13_lli.num_agpr, 0
	.set _ZN12_GLOBAL__N_135rocblas_gemm_batched_general_kernelIfLi16ELi16ELi32ELi32ELi8ELi32ELi8ELi8ELi32ELc78ELc67EKPKDF16_S3_KPDF16_EEvlllT_PT11_llS8_llS6_PT12_llPT13_lli.numbered_sgpr, 46
	.set _ZN12_GLOBAL__N_135rocblas_gemm_batched_general_kernelIfLi16ELi16ELi32ELi32ELi8ELi32ELi8ELi8ELi32ELc78ELc67EKPKDF16_S3_KPDF16_EEvlllT_PT11_llS8_llS6_PT12_llPT13_lli.num_named_barrier, 0
	.set _ZN12_GLOBAL__N_135rocblas_gemm_batched_general_kernelIfLi16ELi16ELi32ELi32ELi8ELi32ELi8ELi8ELi32ELc78ELc67EKPKDF16_S3_KPDF16_EEvlllT_PT11_llS8_llS6_PT12_llPT13_lli.private_seg_size, 0
	.set _ZN12_GLOBAL__N_135rocblas_gemm_batched_general_kernelIfLi16ELi16ELi32ELi32ELi8ELi32ELi8ELi8ELi32ELc78ELc67EKPKDF16_S3_KPDF16_EEvlllT_PT11_llS8_llS6_PT12_llPT13_lli.uses_vcc, 1
	.set _ZN12_GLOBAL__N_135rocblas_gemm_batched_general_kernelIfLi16ELi16ELi32ELi32ELi8ELi32ELi8ELi8ELi32ELc78ELc67EKPKDF16_S3_KPDF16_EEvlllT_PT11_llS8_llS6_PT12_llPT13_lli.uses_flat_scratch, 0
	.set _ZN12_GLOBAL__N_135rocblas_gemm_batched_general_kernelIfLi16ELi16ELi32ELi32ELi8ELi32ELi8ELi8ELi32ELc78ELc67EKPKDF16_S3_KPDF16_EEvlllT_PT11_llS8_llS6_PT12_llPT13_lli.has_dyn_sized_stack, 0
	.set _ZN12_GLOBAL__N_135rocblas_gemm_batched_general_kernelIfLi16ELi16ELi32ELi32ELi8ELi32ELi8ELi8ELi32ELc78ELc67EKPKDF16_S3_KPDF16_EEvlllT_PT11_llS8_llS6_PT12_llPT13_lli.has_recursion, 0
	.set _ZN12_GLOBAL__N_135rocblas_gemm_batched_general_kernelIfLi16ELi16ELi32ELi32ELi8ELi32ELi8ELi8ELi32ELc78ELc67EKPKDF16_S3_KPDF16_EEvlllT_PT11_llS8_llS6_PT12_llPT13_lli.has_indirect_call, 0
	.section	.AMDGPU.csdata,"",@progbits
; Kernel info:
; codeLenInByte = 1900
; TotalNumSgprs: 48
; NumVgprs: 56
; ScratchSize: 0
; MemoryBound: 0
; FloatMode: 240
; IeeeMode: 1
; LDSByteSize: 2048 bytes/workgroup (compile time only)
; SGPRBlocks: 0
; VGPRBlocks: 3
; NumSGPRsForWavesPerEU: 48
; NumVGPRsForWavesPerEU: 56
; NamedBarCnt: 0
; Occupancy: 16
; WaveLimiterHint : 1
; COMPUTE_PGM_RSRC2:SCRATCH_EN: 0
; COMPUTE_PGM_RSRC2:USER_SGPR: 2
; COMPUTE_PGM_RSRC2:TRAP_HANDLER: 0
; COMPUTE_PGM_RSRC2:TGID_X_EN: 1
; COMPUTE_PGM_RSRC2:TGID_Y_EN: 1
; COMPUTE_PGM_RSRC2:TGID_Z_EN: 1
; COMPUTE_PGM_RSRC2:TIDIG_COMP_CNT: 1
	.section	.text._ZN12_GLOBAL__N_135rocblas_gemm_batched_general_kernelIfLi16ELi16ELi32ELi32ELi8ELi32ELi8ELi8ELi32ELc84ELc67EKPKDF16_S3_KPDF16_EEvlllT_PT11_llS8_llS6_PT12_llPT13_lli,"axG",@progbits,_ZN12_GLOBAL__N_135rocblas_gemm_batched_general_kernelIfLi16ELi16ELi32ELi32ELi8ELi32ELi8ELi8ELi32ELc84ELc67EKPKDF16_S3_KPDF16_EEvlllT_PT11_llS8_llS6_PT12_llPT13_lli,comdat
	.globl	_ZN12_GLOBAL__N_135rocblas_gemm_batched_general_kernelIfLi16ELi16ELi32ELi32ELi8ELi32ELi8ELi8ELi32ELc84ELc67EKPKDF16_S3_KPDF16_EEvlllT_PT11_llS8_llS6_PT12_llPT13_lli ; -- Begin function _ZN12_GLOBAL__N_135rocblas_gemm_batched_general_kernelIfLi16ELi16ELi32ELi32ELi8ELi32ELi8ELi8ELi32ELc84ELc67EKPKDF16_S3_KPDF16_EEvlllT_PT11_llS8_llS6_PT12_llPT13_lli
	.p2align	8
	.type	_ZN12_GLOBAL__N_135rocblas_gemm_batched_general_kernelIfLi16ELi16ELi32ELi32ELi8ELi32ELi8ELi8ELi32ELc84ELc67EKPKDF16_S3_KPDF16_EEvlllT_PT11_llS8_llS6_PT12_llPT13_lli,@function
_ZN12_GLOBAL__N_135rocblas_gemm_batched_general_kernelIfLi16ELi16ELi32ELi32ELi8ELi32ELi8ELi8ELi32ELc84ELc67EKPKDF16_S3_KPDF16_EEvlllT_PT11_llS8_llS6_PT12_llPT13_lli: ; @_ZN12_GLOBAL__N_135rocblas_gemm_batched_general_kernelIfLi16ELi16ELi32ELi32ELi8ELi32ELi8ELi8ELi32ELc84ELc67EKPKDF16_S3_KPDF16_EEvlllT_PT11_llS8_llS6_PT12_llPT13_lli
; %bb.0:
	s_load_b32 s33, s[0:1], 0x88
	s_bfe_u32 s2, ttmp6, 0x40014
	s_lshr_b32 s3, ttmp7, 16
	s_add_co_i32 s2, s2, 1
	s_bfe_u32 s5, ttmp6, 0x40008
	s_mul_i32 s4, s3, s2
	s_getreg_b32 s2, hwreg(HW_REG_IB_STS2, 6, 4)
	s_add_co_i32 s5, s5, s4
	s_cmp_eq_u32 s2, 0
	s_mov_b32 s35, 0
	s_cselect_b32 s34, s3, s5
	s_wait_kmcnt 0x0
	s_cmp_ge_i32 s34, s33
	s_cbranch_scc1 .LBB111_34
; %bb.1:
	v_bfe_u32 v10, v0, 10, 10
	v_and_b32_e32 v12, 0x3ff, v0
	s_clause 0x6
	s_load_b128 s[4:7], s[0:1], 0x0
	s_load_b96 s[36:38], s[0:1], 0x10
	s_load_b256 s[8:15], s[0:1], 0x20
	s_load_b128 s[24:27], s[0:1], 0x40
	s_load_b32 s41, s[0:1], 0x50
	s_load_b128 s[28:31], s[0:1], 0x78
	s_load_b256 s[16:23], s[0:1], 0x58
	s_wait_xcnt 0x0
	s_bfe_u32 s0, ttmp6, 0x4000c
	s_bfe_u32 s3, ttmp6, 0x40010
	s_add_co_i32 s0, s0, 1
	s_and_b32 s39, ttmp7, 0xffff
	s_add_co_i32 s3, s3, 1
	s_and_b32 s1, ttmp6, 15
	s_mul_i32 s0, ttmp9, s0
	s_mul_i32 s3, s39, s3
	s_bfe_u32 s40, ttmp6, 0x40004
	v_lshl_add_u32 v6, v10, 4, v12
	s_add_co_i32 s1, s1, s0
	s_add_co_i32 s40, s40, s3
	s_cmp_eq_u32 s2, 0
	s_delay_alu instid0(VALU_DEP_1) | instskip(SKIP_3) | instid1(VALU_DEP_1)
	v_dual_mov_b32 v1, 0 :: v_dual_bitop2_b32 v8, 31, v6 bitop3:0x40
	s_cselect_b32 s0, ttmp9, s1
	s_cselect_b32 s40, s39, s40
	s_ashr_i32 s1, s0, 31
	v_dual_mov_b32 v11, v1 :: v_dual_bitop2_b32 v2, 7, v0 bitop3:0x40
	s_lshl_b64 s[2:3], s[0:1], 5
	v_dual_mov_b32 v3, v1 :: v_dual_lshrrev_b32 v14, 3, v6
	v_dual_mov_b32 v15, v1 :: v_dual_bitop2_b32 v4, s2, v8 bitop3:0x54
	s_delay_alu instid0(VALU_DEP_3) | instskip(SKIP_1) | instid1(VALU_DEP_3)
	v_dual_mov_b32 v5, s3 :: v_dual_lshlrev_b32 v9, 2, v2
	s_wait_kmcnt 0x0
	v_mul_u64_e32 v[16:17], s[24:25], v[2:3]
	s_lshl_b32 s0, s40, 5
	s_mov_b32 s1, s35
	v_mul_u64_e32 v[18:19], s[10:11], v[4:5]
	v_dual_lshrrev_b32 v0, 5, v6 :: v_dual_lshlrev_b32 v8, 2, v8
	v_add_nc_u64_e32 v[6:7], s[0:1], v[14:15]
	v_add_nc_u64_e32 v[20:21], s[0:1], v[10:11]
	v_lshl_or_b32 v9, v14, 5, v9
	v_dual_mov_b32 v13, v1 :: v_dual_lshlrev_b32 v30, 2, v12
	v_lshl_or_b32 v28, v0, 7, v8
	v_cmp_gt_i64_e64 s0, s[4:5], v[4:5]
	v_cmp_gt_i64_e64 s1, s[6:7], v[6:7]
	v_add_nc_u32_e32 v29, 0x400, v9
	v_mul_u64_e32 v[6:7], s[28:29], v[20:21]
	v_mul_u64_e32 v[8:9], s[18:19], v[20:21]
	v_add_nc_u64_e32 v[4:5], s[2:3], v[12:13]
	v_lshl_add_u32 v31, v10, 5, 0x400
	v_add_nc_u64_e32 v[12:13], 16, v[20:21]
	s_cmp_eq_f32 s41, 0
	s_mov_b32 s11, s35
	v_cmp_gt_i64_e64 s2, s[6:7], v[20:21]
	s_delay_alu instid0(VALU_DEP_4)
	v_add_nc_u64_e32 v[10:11], 16, v[4:5]
	s_cselect_b32 s39, -1, 0
	s_lshl_b32 s10, s40, 6
	s_lshl_b64 s[26:27], s[26:27], 1
	v_cmp_gt_i64_e64 s3, s[4:5], v[4:5]
	s_add_nc_u64 s[10:11], s[26:27], s[10:11]
	v_cmp_gt_i64_e64 s26, s[36:37], 0
	v_cmp_gt_i64_e64 s4, s[4:5], v[10:11]
	;; [unrolled: 1-line block ×3, first 2 shown]
	s_lshl_b64 s[6:7], s[12:13], 1
	v_lshl_add_u64 v[10:11], v[16:17], 1, s[10:11]
	v_dual_mov_b32 v13, v1 :: v_dual_lshlrev_b32 v12, 1, v14
	v_lshl_add_u64 v[14:15], v[18:19], 1, s[6:7]
	v_dual_mov_b32 v17, v1 :: v_dual_lshlrev_b32 v16, 1, v0
	s_lshl_b64 s[6:7], s[28:29], 4
	s_delay_alu instid0(VALU_DEP_3)
	v_add_nc_u64_e32 v[10:11], v[10:11], v[12:13]
	s_mov_b32 s40, s38
	s_lshl_b64 s[10:11], s[18:19], 4
	v_add_nc_u64_e32 v[12:13], v[14:15], v[16:17]
	s_lshl_b64 s[12:13], s[24:25], 4
	s_lshl_b64 s[18:19], s[30:31], 1
	;; [unrolled: 1-line block ×3, first 2 shown]
	s_branch .LBB111_4
.LBB111_2:                              ;   in Loop: Header=BB111_4 Depth=1
	s_wait_xcnt 0x0
	s_or_b32 exec_lo, exec_lo, s24
.LBB111_3:                              ;   in Loop: Header=BB111_4 Depth=1
	s_add_co_i32 s34, s34, 0x10000
	s_delay_alu instid0(SALU_CYCLE_1)
	s_cmp_lt_i32 s34, s33
	s_cbranch_scc0 .LBB111_34
.LBB111_4:                              ; =>This Loop Header: Depth=1
                                        ;     Child Loop BB111_7 Depth 2
	v_dual_mov_b32 v14, s34 :: v_dual_mov_b32 v19, 0
	v_dual_mov_b32 v18, 0 :: v_dual_mov_b32 v15, 0
	s_and_not1_b32 vcc_lo, exec_lo, s26
	s_clause 0x1
	global_load_b64 v[16:17], v14, s[16:17] scale_offset
	global_load_b64 v[20:21], v14, s[22:23] scale_offset
	s_wait_xcnt 0x0
	v_mov_b32_e32 v14, 0
	s_cbranch_vccnz .LBB111_11
; %bb.5:                                ;   in Loop: Header=BB111_4 Depth=1
	s_lshl_b64 s[24:25], s[34:35], 3
	v_mov_b32_e32 v18, 0
	s_add_nc_u64 s[28:29], s[14:15], s[24:25]
	s_add_nc_u64 s[24:25], s[8:9], s[24:25]
	s_clause 0x1
	global_load_b64 v[14:15], v1, s[28:29]
	global_load_b64 v[24:25], v1, s[24:25]
	s_wait_xcnt 0x0
	s_mov_b64 s[24:25], 0
	v_mov_b32_e32 v19, v18
	s_wait_loadcnt 0x1
	v_add_nc_u64_e32 v[22:23], v[14:15], v[10:11]
	s_wait_loadcnt 0x0
	v_add_nc_u64_e32 v[24:25], v[24:25], v[12:13]
	v_dual_mov_b32 v14, v18 :: v_dual_mov_b32 v15, v18
	s_branch .LBB111_7
.LBB111_6:                              ;   in Loop: Header=BB111_7 Depth=2
	s_wait_xcnt 0x0
	s_or_b32 exec_lo, exec_lo, s27
	ds_store_b32 v29, v27
	s_wait_dscnt 0x0
	s_barrier_signal -1
	s_barrier_wait -1
	ds_load_b128 v[32:35], v31
	ds_load_2addr_b32 v[26:27], v30 offset1:16
	ds_load_b128 v[36:39], v31 offset:512
	ds_load_2addr_b32 v[48:49], v30 offset0:32 offset1:48
	ds_load_2addr_b32 v[50:51], v30 offset0:64 offset1:80
	;; [unrolled: 1-line block ×3, first 2 shown]
	ds_load_b128 v[40:43], v31 offset:16
	ds_load_2addr_b32 v[54:55], v30 offset0:128 offset1:144
	ds_load_b128 v[44:47], v31 offset:528
	s_add_nc_u64 s[24:25], s[24:25], 8
	v_add_nc_u64_e32 v[22:23], s[12:13], v[22:23]
	v_cmp_lt_i64_e64 s27, s[24:25], s[36:37]
	v_add_nc_u64_e32 v[24:25], 16, v[24:25]
	s_and_b32 vcc_lo, exec_lo, s27
	s_wait_dscnt 0x7
	v_pk_fma_f32 v[18:19], v[26:27], v[32:33], v[18:19] op_sel_hi:[1,0,1]
	s_wait_dscnt 0x6
	v_pk_fma_f32 v[14:15], v[26:27], v[36:37], v[14:15] op_sel_hi:[1,0,1]
	ds_load_2addr_b32 v[26:27], v30 offset0:160 offset1:176
	s_wait_dscnt 0x6
	v_pk_fma_f32 v[18:19], v[48:49], v[32:33], v[18:19] op_sel:[0,1,0]
	v_pk_fma_f32 v[14:15], v[48:49], v[36:37], v[14:15] op_sel:[0,1,0]
	ds_load_2addr_b32 v[32:33], v30 offset0:192 offset1:208
	v_dual_mov_b32 v36, v35 :: v_dual_mov_b32 v48, v39
	s_wait_dscnt 0x6
	v_pk_fma_f32 v[18:19], v[50:51], v[34:35], v[18:19] op_sel_hi:[1,0,1]
	v_pk_fma_f32 v[14:15], v[50:51], v[38:39], v[14:15] op_sel_hi:[1,0,1]
	ds_load_2addr_b32 v[34:35], v30 offset0:224 offset1:240
	s_wait_dscnt 0x0
	s_barrier_signal -1
	v_pk_fma_f32 v[18:19], v[52:53], v[36:37], v[18:19] op_sel_hi:[1,0,1]
	v_pk_fma_f32 v[14:15], v[52:53], v[48:49], v[14:15] op_sel_hi:[1,0,1]
	s_barrier_wait -1
	v_mov_b32_e32 v36, v47
	s_delay_alu instid0(VALU_DEP_3) | instskip(NEXT) | instid1(VALU_DEP_3)
	v_pk_fma_f32 v[18:19], v[54:55], v[40:41], v[18:19] op_sel_hi:[1,0,1]
	v_pk_fma_f32 v[14:15], v[54:55], v[44:45], v[14:15] op_sel_hi:[1,0,1]
	s_delay_alu instid0(VALU_DEP_2) | instskip(NEXT) | instid1(VALU_DEP_2)
	v_pk_fma_f32 v[18:19], v[26:27], v[40:41], v[18:19] op_sel:[0,1,0]
	v_pk_fma_f32 v[14:15], v[26:27], v[44:45], v[14:15] op_sel:[0,1,0]
	v_mov_b32_e32 v26, v43
	s_delay_alu instid0(VALU_DEP_3) | instskip(NEXT) | instid1(VALU_DEP_3)
	v_pk_fma_f32 v[18:19], v[32:33], v[42:43], v[18:19] op_sel_hi:[1,0,1]
	v_pk_fma_f32 v[14:15], v[32:33], v[46:47], v[14:15] op_sel_hi:[1,0,1]
	s_delay_alu instid0(VALU_DEP_2) | instskip(NEXT) | instid1(VALU_DEP_2)
	v_pk_fma_f32 v[18:19], v[34:35], v[26:27], v[18:19] op_sel_hi:[1,0,1]
	v_pk_fma_f32 v[14:15], v[34:35], v[36:37], v[14:15] op_sel_hi:[1,0,1]
	s_cbranch_vccz .LBB111_11
.LBB111_7:                              ;   Parent Loop BB111_4 Depth=1
                                        ; =>  This Inner Loop Header: Depth=2
	v_add_nc_u64_e32 v[26:27], s[24:25], v[0:1]
	s_delay_alu instid0(VALU_DEP_1) | instskip(SKIP_2) | instid1(SALU_CYCLE_1)
	v_cmp_gt_i64_e32 vcc_lo, s[36:37], v[26:27]
	v_mov_b32_e32 v26, 0
	s_and_b32 s28, s0, vcc_lo
	s_and_saveexec_b32 s27, s28
	s_cbranch_execz .LBB111_9
; %bb.8:                                ;   in Loop: Header=BB111_7 Depth=2
	flat_load_u16 v26, v[24:25]
	s_wait_loadcnt_dscnt 0x0
	v_cvt_f32_f16_e32 v26, v26
.LBB111_9:                              ;   in Loop: Header=BB111_7 Depth=2
	s_wait_xcnt 0x0
	s_or_b32 exec_lo, exec_lo, s27
	v_add_nc_u64_e32 v[32:33], s[24:25], v[2:3]
	v_mov_b32_e32 v27, 0
	ds_store_b32 v28, v26
	v_cmp_gt_i64_e32 vcc_lo, s[36:37], v[32:33]
	s_and_b32 s28, vcc_lo, s1
	s_delay_alu instid0(SALU_CYCLE_1)
	s_and_saveexec_b32 s27, s28
	s_cbranch_execz .LBB111_6
; %bb.10:                               ;   in Loop: Header=BB111_7 Depth=2
	flat_load_u16 v26, v[22:23]
	s_wait_loadcnt_dscnt 0x0
	v_cvt_f32_f16_e32 v27, v26
	s_branch .LBB111_6
.LBB111_11:                             ;   in Loop: Header=BB111_4 Depth=1
	s_wait_loadcnt 0x0
	v_add_nc_u64_e32 v[20:21], s[18:19], v[20:21]
	s_and_not1_b32 vcc_lo, exec_lo, s39
	s_cbranch_vccnz .LBB111_16
; %bb.12:                               ;   in Loop: Header=BB111_4 Depth=1
	s_and_saveexec_b32 s24, s2
	s_cbranch_execz .LBB111_23
; %bb.13:                               ;   in Loop: Header=BB111_4 Depth=1
	s_delay_alu instid0(VALU_DEP_1) | instskip(NEXT) | instid1(VALU_DEP_1)
	v_lshl_add_u64 v[22:23], v[6:7], 1, v[20:21]
	v_lshl_add_u64 v[24:25], v[4:5], 1, v[22:23]
	s_and_saveexec_b32 s25, s3
	s_cbranch_execnz .LBB111_17
; %bb.14:                               ;   in Loop: Header=BB111_4 Depth=1
	s_or_b32 exec_lo, exec_lo, s25
	s_and_saveexec_b32 s25, s4
	s_cbranch_execnz .LBB111_18
.LBB111_15:                             ;   in Loop: Header=BB111_4 Depth=1
	s_or_b32 exec_lo, exec_lo, s25
	s_delay_alu instid0(SALU_CYCLE_1)
	s_and_b32 exec_lo, exec_lo, s5
	s_cbranch_execnz .LBB111_19
	s_branch .LBB111_23
.LBB111_16:                             ;   in Loop: Header=BB111_4 Depth=1
	s_branch .LBB111_24
.LBB111_17:                             ;   in Loop: Header=BB111_4 Depth=1
	v_fma_mixlo_f16 v26, s38, v18, 0
	flat_store_b16 v[24:25], v26
	s_wait_xcnt 0x0
	s_or_b32 exec_lo, exec_lo, s25
	s_and_saveexec_b32 s25, s4
	s_cbranch_execz .LBB111_15
.LBB111_18:                             ;   in Loop: Header=BB111_4 Depth=1
	v_fma_mixlo_f16 v26, s38, v19, 0
	flat_store_b16 v[24:25], v26 offset:32
	s_wait_xcnt 0x0
	s_or_b32 exec_lo, exec_lo, s25
	s_delay_alu instid0(SALU_CYCLE_1)
	s_and_b32 exec_lo, exec_lo, s5
	s_cbranch_execz .LBB111_23
.LBB111_19:                             ;   in Loop: Header=BB111_4 Depth=1
	v_lshl_add_u64 v[22:23], s[6:7], 1, v[22:23]
	s_delay_alu instid0(VALU_DEP_1)
	v_lshl_add_u64 v[22:23], v[4:5], 1, v[22:23]
	s_and_saveexec_b32 s25, s3
	s_cbranch_execz .LBB111_21
; %bb.20:                               ;   in Loop: Header=BB111_4 Depth=1
	v_fma_mixlo_f16 v24, s38, v14, 0
	flat_store_b16 v[22:23], v24
.LBB111_21:                             ;   in Loop: Header=BB111_4 Depth=1
	s_wait_xcnt 0x0
	s_or_b32 exec_lo, exec_lo, s25
	s_delay_alu instid0(SALU_CYCLE_1)
	s_and_b32 exec_lo, exec_lo, s4
	s_cbranch_execz .LBB111_23
; %bb.22:                               ;   in Loop: Header=BB111_4 Depth=1
	v_fma_mixlo_f16 v24, s38, v15, 0
	flat_store_b16 v[22:23], v24 offset:32
.LBB111_23:                             ;   in Loop: Header=BB111_4 Depth=1
	s_wait_xcnt 0x0
	s_or_b32 exec_lo, exec_lo, s24
	s_cbranch_execnz .LBB111_3
.LBB111_24:                             ;   in Loop: Header=BB111_4 Depth=1
	s_and_saveexec_b32 s24, s2
	s_cbranch_execz .LBB111_2
; %bb.25:                               ;   in Loop: Header=BB111_4 Depth=1
	v_add_nc_u64_e32 v[22:23], s[20:21], v[16:17]
	v_lshlrev_b64_e32 v[16:17], 1, v[4:5]
	v_lshl_add_u64 v[20:21], v[6:7], 1, v[20:21]
	s_delay_alu instid0(VALU_DEP_3) | instskip(NEXT) | instid1(VALU_DEP_2)
	v_lshl_add_u64 v[22:23], v[8:9], 1, v[22:23]
	v_add_nc_u64_e32 v[24:25], v[20:21], v[16:17]
	s_delay_alu instid0(VALU_DEP_2)
	v_add_nc_u64_e32 v[26:27], v[22:23], v[16:17]
	s_and_saveexec_b32 s25, s3
	s_cbranch_execnz .LBB111_28
; %bb.26:                               ;   in Loop: Header=BB111_4 Depth=1
	s_or_b32 exec_lo, exec_lo, s25
	s_and_saveexec_b32 s25, s4
	s_cbranch_execnz .LBB111_29
.LBB111_27:                             ;   in Loop: Header=BB111_4 Depth=1
	s_or_b32 exec_lo, exec_lo, s25
	s_delay_alu instid0(SALU_CYCLE_1)
	s_and_b32 exec_lo, exec_lo, s5
	s_cbranch_execz .LBB111_2
	s_branch .LBB111_30
.LBB111_28:                             ;   in Loop: Header=BB111_4 Depth=1
	flat_load_u16 v33, v[26:27]
	v_mov_b64_e32 v[34:35], s[40:41]
	v_mov_b32_e32 v32, v18
	s_wait_loadcnt_dscnt 0x0
	v_cvt_f32_f16_e32 v33, v33
	s_delay_alu instid0(VALU_DEP_1) | instskip(NEXT) | instid1(VALU_DEP_1)
	v_pk_mul_f32 v[32:33], v[34:35], v[32:33]
	v_add_f32_e32 v18, v32, v33
	s_delay_alu instid0(VALU_DEP_1)
	v_cvt_f16_f32_e32 v18, v18
	flat_store_b16 v[24:25], v18
	s_wait_xcnt 0x0
	s_or_b32 exec_lo, exec_lo, s25
	s_and_saveexec_b32 s25, s4
	s_cbranch_execz .LBB111_27
.LBB111_29:                             ;   in Loop: Header=BB111_4 Depth=1
	flat_load_u16 v26, v[26:27] offset:32
	v_mov_b32_e32 v18, v19
	s_wait_loadcnt_dscnt 0x0
	v_cvt_f32_f16_e32 v19, v26
	s_wait_xcnt 0x0
	v_mov_b64_e32 v[26:27], s[40:41]
	s_delay_alu instid0(VALU_DEP_1) | instskip(NEXT) | instid1(VALU_DEP_1)
	v_pk_mul_f32 v[18:19], v[26:27], v[18:19]
	v_add_f32_e32 v18, v18, v19
	s_delay_alu instid0(VALU_DEP_1) | instskip(SKIP_3) | instid1(SALU_CYCLE_1)
	v_cvt_f16_f32_e32 v18, v18
	flat_store_b16 v[24:25], v18 offset:32
	s_wait_xcnt 0x0
	s_or_b32 exec_lo, exec_lo, s25
	s_and_b32 exec_lo, exec_lo, s5
	s_cbranch_execz .LBB111_2
.LBB111_30:                             ;   in Loop: Header=BB111_4 Depth=1
	v_lshl_add_u64 v[18:19], s[10:11], 1, v[22:23]
	v_lshl_add_u64 v[20:21], s[6:7], 1, v[20:21]
	s_delay_alu instid0(VALU_DEP_2) | instskip(NEXT) | instid1(VALU_DEP_2)
	v_add_nc_u64_e32 v[18:19], v[18:19], v[16:17]
	v_add_nc_u64_e32 v[16:17], v[20:21], v[16:17]
	s_and_saveexec_b32 s25, s3
	s_cbranch_execz .LBB111_32
; %bb.31:                               ;   in Loop: Header=BB111_4 Depth=1
	flat_load_u16 v21, v[18:19]
	v_mov_b64_e32 v[22:23], s[40:41]
	v_mov_b32_e32 v20, v14
	s_wait_loadcnt_dscnt 0x0
	v_cvt_f32_f16_e32 v21, v21
	s_delay_alu instid0(VALU_DEP_1) | instskip(NEXT) | instid1(VALU_DEP_1)
	v_pk_mul_f32 v[20:21], v[22:23], v[20:21]
	v_add_f32_e32 v14, v20, v21
	s_delay_alu instid0(VALU_DEP_1)
	v_cvt_f16_f32_e32 v14, v14
	flat_store_b16 v[16:17], v14
.LBB111_32:                             ;   in Loop: Header=BB111_4 Depth=1
	s_wait_xcnt 0x0
	s_or_b32 exec_lo, exec_lo, s25
	s_delay_alu instid0(SALU_CYCLE_1)
	s_and_b32 exec_lo, exec_lo, s4
	s_cbranch_execz .LBB111_2
; %bb.33:                               ;   in Loop: Header=BB111_4 Depth=1
	flat_load_u16 v18, v[18:19] offset:32
	v_mov_b32_e32 v14, v15
	s_wait_loadcnt_dscnt 0x0
	v_cvt_f32_f16_e32 v15, v18
	s_wait_xcnt 0x0
	v_mov_b64_e32 v[18:19], s[40:41]
	s_delay_alu instid0(VALU_DEP_1) | instskip(NEXT) | instid1(VALU_DEP_1)
	v_pk_mul_f32 v[14:15], v[18:19], v[14:15]
	v_add_f32_e32 v14, v14, v15
	s_delay_alu instid0(VALU_DEP_1)
	v_cvt_f16_f32_e32 v14, v14
	flat_store_b16 v[16:17], v14 offset:32
	s_branch .LBB111_2
.LBB111_34:
	s_endpgm
	.section	.rodata,"a",@progbits
	.p2align	6, 0x0
	.amdhsa_kernel _ZN12_GLOBAL__N_135rocblas_gemm_batched_general_kernelIfLi16ELi16ELi32ELi32ELi8ELi32ELi8ELi8ELi32ELc84ELc67EKPKDF16_S3_KPDF16_EEvlllT_PT11_llS8_llS6_PT12_llPT13_lli
		.amdhsa_group_segment_fixed_size 2048
		.amdhsa_private_segment_fixed_size 0
		.amdhsa_kernarg_size 140
		.amdhsa_user_sgpr_count 2
		.amdhsa_user_sgpr_dispatch_ptr 0
		.amdhsa_user_sgpr_queue_ptr 0
		.amdhsa_user_sgpr_kernarg_segment_ptr 1
		.amdhsa_user_sgpr_dispatch_id 0
		.amdhsa_user_sgpr_kernarg_preload_length 0
		.amdhsa_user_sgpr_kernarg_preload_offset 0
		.amdhsa_user_sgpr_private_segment_size 0
		.amdhsa_wavefront_size32 1
		.amdhsa_uses_dynamic_stack 0
		.amdhsa_enable_private_segment 0
		.amdhsa_system_sgpr_workgroup_id_x 1
		.amdhsa_system_sgpr_workgroup_id_y 1
		.amdhsa_system_sgpr_workgroup_id_z 1
		.amdhsa_system_sgpr_workgroup_info 0
		.amdhsa_system_vgpr_workitem_id 1
		.amdhsa_next_free_vgpr 56
		.amdhsa_next_free_sgpr 42
		.amdhsa_named_barrier_count 0
		.amdhsa_reserve_vcc 1
		.amdhsa_float_round_mode_32 0
		.amdhsa_float_round_mode_16_64 0
		.amdhsa_float_denorm_mode_32 3
		.amdhsa_float_denorm_mode_16_64 3
		.amdhsa_fp16_overflow 0
		.amdhsa_memory_ordered 1
		.amdhsa_forward_progress 1
		.amdhsa_inst_pref_size 15
		.amdhsa_round_robin_scheduling 0
		.amdhsa_exception_fp_ieee_invalid_op 0
		.amdhsa_exception_fp_denorm_src 0
		.amdhsa_exception_fp_ieee_div_zero 0
		.amdhsa_exception_fp_ieee_overflow 0
		.amdhsa_exception_fp_ieee_underflow 0
		.amdhsa_exception_fp_ieee_inexact 0
		.amdhsa_exception_int_div_zero 0
	.end_amdhsa_kernel
	.section	.text._ZN12_GLOBAL__N_135rocblas_gemm_batched_general_kernelIfLi16ELi16ELi32ELi32ELi8ELi32ELi8ELi8ELi32ELc84ELc67EKPKDF16_S3_KPDF16_EEvlllT_PT11_llS8_llS6_PT12_llPT13_lli,"axG",@progbits,_ZN12_GLOBAL__N_135rocblas_gemm_batched_general_kernelIfLi16ELi16ELi32ELi32ELi8ELi32ELi8ELi8ELi32ELc84ELc67EKPKDF16_S3_KPDF16_EEvlllT_PT11_llS8_llS6_PT12_llPT13_lli,comdat
.Lfunc_end111:
	.size	_ZN12_GLOBAL__N_135rocblas_gemm_batched_general_kernelIfLi16ELi16ELi32ELi32ELi8ELi32ELi8ELi8ELi32ELc84ELc67EKPKDF16_S3_KPDF16_EEvlllT_PT11_llS8_llS6_PT12_llPT13_lli, .Lfunc_end111-_ZN12_GLOBAL__N_135rocblas_gemm_batched_general_kernelIfLi16ELi16ELi32ELi32ELi8ELi32ELi8ELi8ELi32ELc84ELc67EKPKDF16_S3_KPDF16_EEvlllT_PT11_llS8_llS6_PT12_llPT13_lli
                                        ; -- End function
	.set _ZN12_GLOBAL__N_135rocblas_gemm_batched_general_kernelIfLi16ELi16ELi32ELi32ELi8ELi32ELi8ELi8ELi32ELc84ELc67EKPKDF16_S3_KPDF16_EEvlllT_PT11_llS8_llS6_PT12_llPT13_lli.num_vgpr, 56
	.set _ZN12_GLOBAL__N_135rocblas_gemm_batched_general_kernelIfLi16ELi16ELi32ELi32ELi8ELi32ELi8ELi8ELi32ELc84ELc67EKPKDF16_S3_KPDF16_EEvlllT_PT11_llS8_llS6_PT12_llPT13_lli.num_agpr, 0
	.set _ZN12_GLOBAL__N_135rocblas_gemm_batched_general_kernelIfLi16ELi16ELi32ELi32ELi8ELi32ELi8ELi8ELi32ELc84ELc67EKPKDF16_S3_KPDF16_EEvlllT_PT11_llS8_llS6_PT12_llPT13_lli.numbered_sgpr, 42
	.set _ZN12_GLOBAL__N_135rocblas_gemm_batched_general_kernelIfLi16ELi16ELi32ELi32ELi8ELi32ELi8ELi8ELi32ELc84ELc67EKPKDF16_S3_KPDF16_EEvlllT_PT11_llS8_llS6_PT12_llPT13_lli.num_named_barrier, 0
	.set _ZN12_GLOBAL__N_135rocblas_gemm_batched_general_kernelIfLi16ELi16ELi32ELi32ELi8ELi32ELi8ELi8ELi32ELc84ELc67EKPKDF16_S3_KPDF16_EEvlllT_PT11_llS8_llS6_PT12_llPT13_lli.private_seg_size, 0
	.set _ZN12_GLOBAL__N_135rocblas_gemm_batched_general_kernelIfLi16ELi16ELi32ELi32ELi8ELi32ELi8ELi8ELi32ELc84ELc67EKPKDF16_S3_KPDF16_EEvlllT_PT11_llS8_llS6_PT12_llPT13_lli.uses_vcc, 1
	.set _ZN12_GLOBAL__N_135rocblas_gemm_batched_general_kernelIfLi16ELi16ELi32ELi32ELi8ELi32ELi8ELi8ELi32ELc84ELc67EKPKDF16_S3_KPDF16_EEvlllT_PT11_llS8_llS6_PT12_llPT13_lli.uses_flat_scratch, 0
	.set _ZN12_GLOBAL__N_135rocblas_gemm_batched_general_kernelIfLi16ELi16ELi32ELi32ELi8ELi32ELi8ELi8ELi32ELc84ELc67EKPKDF16_S3_KPDF16_EEvlllT_PT11_llS8_llS6_PT12_llPT13_lli.has_dyn_sized_stack, 0
	.set _ZN12_GLOBAL__N_135rocblas_gemm_batched_general_kernelIfLi16ELi16ELi32ELi32ELi8ELi32ELi8ELi8ELi32ELc84ELc67EKPKDF16_S3_KPDF16_EEvlllT_PT11_llS8_llS6_PT12_llPT13_lli.has_recursion, 0
	.set _ZN12_GLOBAL__N_135rocblas_gemm_batched_general_kernelIfLi16ELi16ELi32ELi32ELi8ELi32ELi8ELi8ELi32ELc84ELc67EKPKDF16_S3_KPDF16_EEvlllT_PT11_llS8_llS6_PT12_llPT13_lli.has_indirect_call, 0
	.section	.AMDGPU.csdata,"",@progbits
; Kernel info:
; codeLenInByte = 1908
; TotalNumSgprs: 44
; NumVgprs: 56
; ScratchSize: 0
; MemoryBound: 0
; FloatMode: 240
; IeeeMode: 1
; LDSByteSize: 2048 bytes/workgroup (compile time only)
; SGPRBlocks: 0
; VGPRBlocks: 3
; NumSGPRsForWavesPerEU: 44
; NumVGPRsForWavesPerEU: 56
; NamedBarCnt: 0
; Occupancy: 16
; WaveLimiterHint : 1
; COMPUTE_PGM_RSRC2:SCRATCH_EN: 0
; COMPUTE_PGM_RSRC2:USER_SGPR: 2
; COMPUTE_PGM_RSRC2:TRAP_HANDLER: 0
; COMPUTE_PGM_RSRC2:TGID_X_EN: 1
; COMPUTE_PGM_RSRC2:TGID_Y_EN: 1
; COMPUTE_PGM_RSRC2:TGID_Z_EN: 1
; COMPUTE_PGM_RSRC2:TIDIG_COMP_CNT: 1
	.section	.text._ZN12_GLOBAL__N_127rocblas_gemm_batched_kernelIfLi16ELi16ELi64ELi64ELi4ELi64ELi4ELi4ELi64ELc78ELc78EKPKDF16_KPKfKPfEEvlllT_PT11_llSB_llS9_PT12_llPT13_lli,"axG",@progbits,_ZN12_GLOBAL__N_127rocblas_gemm_batched_kernelIfLi16ELi16ELi64ELi64ELi4ELi64ELi4ELi4ELi64ELc78ELc78EKPKDF16_KPKfKPfEEvlllT_PT11_llSB_llS9_PT12_llPT13_lli,comdat
	.globl	_ZN12_GLOBAL__N_127rocblas_gemm_batched_kernelIfLi16ELi16ELi64ELi64ELi4ELi64ELi4ELi4ELi64ELc78ELc78EKPKDF16_KPKfKPfEEvlllT_PT11_llSB_llS9_PT12_llPT13_lli ; -- Begin function _ZN12_GLOBAL__N_127rocblas_gemm_batched_kernelIfLi16ELi16ELi64ELi64ELi4ELi64ELi4ELi4ELi64ELc78ELc78EKPKDF16_KPKfKPfEEvlllT_PT11_llSB_llS9_PT12_llPT13_lli
	.p2align	8
	.type	_ZN12_GLOBAL__N_127rocblas_gemm_batched_kernelIfLi16ELi16ELi64ELi64ELi4ELi64ELi4ELi4ELi64ELc78ELc78EKPKDF16_KPKfKPfEEvlllT_PT11_llSB_llS9_PT12_llPT13_lli,@function
_ZN12_GLOBAL__N_127rocblas_gemm_batched_kernelIfLi16ELi16ELi64ELi64ELi4ELi64ELi4ELi4ELi64ELc78ELc78EKPKDF16_KPKfKPfEEvlllT_PT11_llSB_llS9_PT12_llPT13_lli: ; @_ZN12_GLOBAL__N_127rocblas_gemm_batched_kernelIfLi16ELi16ELi64ELi64ELi4ELi64ELi4ELi4ELi64ELc78ELc78EKPKDF16_KPKfKPfEEvlllT_PT11_llSB_llS9_PT12_llPT13_lli
; %bb.0:
	s_load_b32 s31, s[0:1], 0x88
	s_bfe_u32 s2, ttmp6, 0x40014
	s_lshr_b32 s3, ttmp7, 16
	s_add_co_i32 s2, s2, 1
	s_bfe_u32 s4, ttmp6, 0x40008
	s_mul_i32 s2, s3, s2
	s_getreg_b32 s12, hwreg(HW_REG_IB_STS2, 6, 4)
	s_add_co_i32 s4, s4, s2
	s_cmp_eq_u32 s12, 0
	s_cselect_b32 s2, s3, s4
	s_mov_b32 s3, 0
	s_wait_kmcnt 0x0
	s_cmp_ge_i32 s2, s31
	s_cbranch_scc1 .LBB112_10
; %bb.1:
	v_bfe_u32 v2, v0, 10, 10
	v_mov_b32_e32 v3, 0
	v_and_b32_e32 v6, 0x3ff, v0
	s_clause 0x1
	s_load_b256 s[4:11], s[0:1], 0x20
	s_load_b128 s[20:23], s[0:1], 0x40
	s_bfe_u32 s14, ttmp6, 0x4000c
	v_lshlrev_b32_e32 v16, 4, v2
	s_bfe_u32 s16, ttmp6, 0x40010
	s_and_b32 s15, ttmp7, 0xffff
	s_add_co_i32 s14, s14, 1
	s_add_co_i32 s16, s16, 1
	v_dual_mov_b32 v9, v3 :: v_dual_add_nc_u32 v14, v16, v6
	s_and_b32 s13, ttmp6, 15
	s_mul_i32 s14, ttmp9, s14
	s_mul_i32 s16, s15, s16
	s_bfe_u32 s17, ttmp6, 0x40004
	s_add_co_i32 s13, s13, s14
	s_add_co_i32 s17, s17, s16
	s_cmp_eq_u32 s12, 0
	v_dual_lshrrev_b32 v8, 2, v14 :: v_dual_lshrrev_b32 v18, 6, v14
	s_cselect_b32 s12, s15, s17
	s_cselect_b32 s28, ttmp9, s13
	s_lshl_b32 s34, s12, 6
	s_mov_b32 s35, s3
	s_clause 0x1
	s_load_b128 s[24:27], s[0:1], 0x78
	s_load_b256 s[12:19], s[0:1], 0x58
	v_add_nc_u64_e32 v[4:5], s[34:35], v[8:9]
	s_ashr_i32 s29, s28, 31
	s_load_b32 s33, s[0:1], 0x50
	s_lshl_b64 s[36:37], s[28:29], 6
	s_load_b96 s[28:30], s[0:1], 0x10
	s_wait_kmcnt 0x0
	v_mad_nc_u64_u32 v[12:13], s6, v18, s[36:37]
	v_mov_b32_e32 v7, v3
	v_mul_u64_e32 v[10:11], s[20:21], v[4:5]
	v_add_nc_u64_e32 v[4:5], s[34:35], v[2:3]
	v_dual_mov_b32 v15, v3 :: v_dual_bitop2_b32 v2, 3, v0 bitop3:0x40
	v_and_b32_e32 v14, 63, v14
	v_lshlrev_b32_e32 v36, 2, v6
	v_add_nc_u32_e32 v37, 0x400, v16
	s_delay_alu instid0(VALU_DEP_4)
	v_lshlrev_b32_e32 v9, 2, v2
	v_add_nc_u64_e32 v[16:17], s[36:37], v[6:7]
	v_mad_u32 v13, s7, v18, v13
	v_lshlrev_b32_e32 v2, 1, v2
	v_mul_u64_e32 v[0:1], s[24:25], v[4:5]
	v_mul_u64_e32 v[4:5], s[14:15], v[4:5]
	v_lshlrev_b32_e32 v19, 2, v14
	s_cmp_eq_f32 s33, 0
	v_cmp_gt_i64_e64 s0, s[28:29], 0
	s_delay_alu instid0(VALU_DEP_2)
	v_lshl_or_b32 v38, v18, 8, v19
	s_cselect_b32 s1, -1, 0
	v_add_nc_u64_e32 v[6:7], v[12:13], v[14:15]
	s_lshl_b64 s[22:23], s[22:23], 1
	v_lshl_or_b32 v12, v8, 4, v9
	s_lshl_b64 s[20:21], s[24:25], 4
	v_cndmask_b32_e64 v13, 0, 1, s0
	s_lshl_b64 s[24:25], s[14:15], 4
	s_lshl_b64 s[6:7], s[6:7], 3
	v_lshlrev_b64_e32 v[6:7], 1, v[6:7]
	v_add_nc_u32_e32 v39, 0x400, v12
	v_cmp_ne_u32_e64 s0, 1, v13
	s_lshl_b64 s[14:15], s[20:21], 2
	s_lshl_b64 s[16:17], s[16:17], 2
	v_lshl_add_u64 v[8:9], v[10:11], 1, s[22:23]
	v_lshlrev_b64_e32 v[10:11], 2, v[16:17]
	v_lshl_add_u64 v[6:7], s[8:9], 1, v[6:7]
	s_lshl_b64 s[8:9], s[26:27], 2
	s_lshl_b64 s[20:21], s[24:25], 2
	v_add_nc_u64_e32 v[8:9], v[8:9], v[2:3]
	s_branch .LBB112_3
.LBB112_2:                              ;   in Loop: Header=BB112_3 Depth=1
	s_add_co_i32 s2, s2, 0x10000
	s_delay_alu instid0(SALU_CYCLE_1)
	s_cmp_lt_i32 s2, s31
	s_cbranch_scc0 .LBB112_10
.LBB112_3:                              ; =>This Loop Header: Depth=1
                                        ;     Child Loop BB112_5 Depth 2
	s_wait_xcnt 0x0
	v_dual_mov_b32 v2, s2 :: v_dual_mov_b32 v29, 0
	v_dual_mov_b32 v28, 0 :: v_dual_mov_b32 v27, 0
	;; [unrolled: 1-line block ×3, first 2 shown]
	s_clause 0x1
	global_load_b64 v[20:21], v2, s[12:13] scale_offset
	global_load_b64 v[30:31], v2, s[18:19] scale_offset
	v_dual_mov_b32 v24, 0 :: v_dual_mov_b32 v23, 0
	v_dual_mov_b32 v22, 0 :: v_dual_mov_b32 v19, 0
	;; [unrolled: 1-line block ×5, first 2 shown]
	v_mov_b32_e32 v12, 0
	s_and_b32 vcc_lo, exec_lo, s0
	s_cbranch_vccnz .LBB112_6
; %bb.4:                                ;   in Loop: Header=BB112_3 Depth=1
	s_lshl_b64 s[22:23], s[2:3], 3
	v_mov_b32_e32 v12, 0
	s_add_nc_u64 s[24:25], s[10:11], s[22:23]
	s_add_nc_u64 s[22:23], s[4:5], s[22:23]
	s_clause 0x1
	global_load_b64 v[28:29], v3, s[24:25]
	global_load_b64 v[34:35], v3, s[22:23]
	s_wait_xcnt 0x0
	s_mov_b64 s[22:23], 0
	v_dual_mov_b32 v13, v12 :: v_dual_mov_b32 v14, v12
	v_dual_mov_b32 v15, v12 :: v_dual_mov_b32 v16, v12
	;; [unrolled: 1-line block ×6, first 2 shown]
	v_mov_b32_e32 v27, v12
	s_wait_loadcnt 0x1
	v_add_nc_u64_e32 v[32:33], v[28:29], v[8:9]
	s_wait_loadcnt 0x0
	v_add_nc_u64_e32 v[34:35], v[34:35], v[6:7]
	v_dual_mov_b32 v28, v12 :: v_dual_mov_b32 v29, v12
.LBB112_5:                              ;   Parent Loop BB112_3 Depth=1
                                        ; =>  This Inner Loop Header: Depth=2
	flat_load_u16 v2, v[34:35]
	flat_load_u16 v40, v[32:33]
	s_add_nc_u64 s[22:23], s[22:23], 4
	s_wait_xcnt 0x0
	v_add_nc_u64_e32 v[32:33], 8, v[32:33]
	v_cmp_lt_i64_e64 s24, s[22:23], s[28:29]
	v_add_nc_u64_e32 v[34:35], s[6:7], v[34:35]
	s_and_b32 vcc_lo, exec_lo, s24
	s_wait_loadcnt_dscnt 0x101
	v_cvt_f32_f16_e32 v2, v2
	s_wait_loadcnt_dscnt 0x0
	v_cvt_f32_f16_e32 v40, v40
	ds_store_b32 v38, v2
	ds_store_b32 v39, v40
	s_wait_dscnt 0x0
	s_barrier_signal -1
	s_barrier_wait -1
	ds_load_2addr_b32 v[56:57], v36 offset1:16
	ds_load_2addr_b32 v[58:59], v36 offset0:64 offset1:80
	ds_load_2addr_b32 v[60:61], v36 offset0:128 offset1:144
	;; [unrolled: 1-line block ×6, first 2 shown]
	ds_load_b128 v[40:43], v37
	ds_load_b128 v[44:47], v37 offset:256
	ds_load_2addr_b32 v[70:71], v36 offset0:224 offset1:240
	ds_load_b128 v[48:51], v37 offset:512
	ds_load_b128 v[52:55], v37 offset:768
	s_wait_dscnt 0x0
	s_barrier_signal -1
	s_barrier_wait -1
	v_dual_mov_b32 v72, v57 :: v_dual_mov_b32 v73, v56
	v_dual_mov_b32 v56, v59 :: v_dual_mov_b32 v57, v58
	;; [unrolled: 1-line block ×6, first 2 shown]
	v_pk_fma_f32 v[28:29], v[72:73], v[40:41], v[28:29] op_sel_hi:[1,0,1]
	v_pk_fma_f32 v[24:25], v[72:73], v[44:45], v[24:25] op_sel_hi:[1,0,1]
	s_delay_alu instid0(VALU_DEP_4)
	v_pk_fma_f32 v[26:27], v[62:63], v[40:41], v[26:27] op_sel_hi:[1,0,1]
	v_pk_fma_f32 v[18:19], v[72:73], v[48:49], v[18:19] op_sel_hi:[1,0,1]
	v_pk_fma_f32 v[14:15], v[72:73], v[52:53], v[14:15] op_sel_hi:[1,0,1]
	v_pk_fma_f32 v[22:23], v[62:63], v[44:45], v[22:23] op_sel_hi:[1,0,1]
	v_pk_fma_f32 v[16:17], v[62:63], v[48:49], v[16:17] op_sel_hi:[1,0,1]
	v_pk_fma_f32 v[12:13], v[62:63], v[52:53], v[12:13] op_sel_hi:[1,0,1]
	v_dual_mov_b32 v66, v69 :: v_dual_mov_b32 v67, v68
	v_pk_fma_f32 v[28:29], v[56:57], v[40:41], v[28:29] op_sel:[0,1,0]
	v_pk_fma_f32 v[26:27], v[64:65], v[40:41], v[26:27] op_sel:[0,1,0]
	;; [unrolled: 1-line block ×8, first 2 shown]
	v_dual_mov_b32 v2, v43 :: v_dual_mov_b32 v68, v71
	v_dual_mov_b32 v69, v70 :: v_dual_mov_b32 v70, v47
	v_dual_mov_b32 v74, v51 :: v_dual_mov_b32 v76, v55
	v_pk_fma_f32 v[28:29], v[58:59], v[42:43], v[28:29] op_sel_hi:[1,0,1]
	v_pk_fma_f32 v[26:27], v[66:67], v[42:43], v[26:27] op_sel_hi:[1,0,1]
	;; [unrolled: 1-line block ×16, first 2 shown]
	s_cbranch_vccnz .LBB112_5
.LBB112_6:                              ;   in Loop: Header=BB112_3 Depth=1
	s_wait_loadcnt 0x0
	v_add_nc_u64_e32 v[30:31], s[8:9], v[30:31]
	s_and_not1_b32 vcc_lo, exec_lo, s1
	s_delay_alu instid0(VALU_DEP_1) | instskip(NEXT) | instid1(VALU_DEP_1)
	v_lshl_add_u64 v[30:31], v[0:1], 2, v[30:31]
	v_add_nc_u64_e32 v[32:33], v[30:31], v[10:11]
	v_add_nc_u64_e32 v[30:31], s[14:15], v[30:31]
	s_cbranch_vccnz .LBB112_8
; %bb.7:                                ;   in Loop: Header=BB112_3 Depth=1
	s_wait_xcnt 0x0
	v_dual_mul_f32 v2, s30, v29 :: v_dual_mul_f32 v40, s30, v28
	s_delay_alu instid0(VALU_DEP_2)
	v_add_nc_u64_e32 v[34:35], s[14:15], v[30:31]
	v_dual_mul_f32 v41, s30, v27 :: v_dual_mul_f32 v42, s30, v26
	s_clause 0x3
	flat_store_b32 v[32:33], v2
	flat_store_b32 v[32:33], v40 offset:64
	flat_store_b32 v[32:33], v41 offset:128
	flat_store_b32 v[32:33], v42 offset:192
	s_wait_xcnt 0x1
	v_add_nc_u64_e32 v[40:41], v[30:31], v[10:11]
	v_dual_mul_f32 v2, s30, v25 :: v_dual_mul_f32 v44, s30, v24
	s_wait_xcnt 0x0
	v_add_nc_u64_e32 v[42:43], v[34:35], v[10:11]
	v_add_nc_u64_e32 v[34:35], s[14:15], v[34:35]
	v_dual_mul_f32 v45, s30, v23 :: v_dual_mul_f32 v46, s30, v22
	s_clause 0x3
	flat_store_b32 v[40:41], v2
	flat_store_b32 v[40:41], v44 offset:64
	flat_store_b32 v[40:41], v45 offset:128
	;; [unrolled: 1-line block ×3, first 2 shown]
	s_wait_xcnt 0x0
	v_dual_mul_f32 v2, s30, v19 :: v_dual_mul_f32 v40, s30, v18
	v_dual_mul_f32 v41, s30, v17 :: v_dual_mul_f32 v44, s30, v16
	v_add_nc_u64_e32 v[34:35], v[34:35], v[10:11]
	s_clause 0x3
	flat_store_b32 v[42:43], v2
	flat_store_b32 v[42:43], v40 offset:64
	flat_store_b32 v[42:43], v41 offset:128
	;; [unrolled: 1-line block ×3, first 2 shown]
	s_wait_xcnt 0x2
	v_dual_mul_f32 v2, s30, v15 :: v_dual_mul_f32 v40, s30, v14
	s_wait_xcnt 0x0
	v_dual_mul_f32 v41, s30, v13 :: v_dual_mul_f32 v42, s30, v12
	s_clause 0x3
	flat_store_b32 v[34:35], v2
	flat_store_b32 v[34:35], v40 offset:64
	flat_store_b32 v[34:35], v41 offset:128
	;; [unrolled: 1-line block ×3, first 2 shown]
	s_cbranch_execnz .LBB112_2
	s_branch .LBB112_9
.LBB112_8:                              ;   in Loop: Header=BB112_3 Depth=1
.LBB112_9:                              ;   in Loop: Header=BB112_3 Depth=1
	v_add_nc_u64_e32 v[20:21], s[16:17], v[20:21]
	s_delay_alu instid0(VALU_DEP_1) | instskip(SKIP_1) | instid1(VALU_DEP_1)
	v_lshl_add_u64 v[20:21], v[4:5], 2, v[20:21]
	s_wait_xcnt 0x0
	v_add_nc_u64_e32 v[34:35], v[20:21], v[10:11]
	v_add_nc_u64_e32 v[20:21], s[20:21], v[20:21]
	flat_load_b32 v2, v[34:35]
	s_wait_loadcnt_dscnt 0x0
	v_mul_f32_e32 v2, s33, v2
	s_delay_alu instid0(VALU_DEP_1) | instskip(SKIP_4) | instid1(VALU_DEP_1)
	v_fmac_f32_e32 v2, s30, v29
	flat_store_b32 v[32:33], v2
	flat_load_b32 v2, v[34:35] offset:64
	s_wait_loadcnt_dscnt 0x0
	v_mul_f32_e32 v2, s33, v2
	v_fmac_f32_e32 v2, s30, v28
	v_add_nc_u64_e32 v[28:29], v[20:21], v[10:11]
	v_add_nc_u64_e32 v[20:21], s[20:21], v[20:21]
	flat_store_b32 v[32:33], v2 offset:64
	flat_load_b32 v2, v[34:35] offset:128
	s_wait_loadcnt_dscnt 0x0
	v_mul_f32_e32 v2, s33, v2
	s_delay_alu instid0(VALU_DEP_1) | instskip(SKIP_4) | instid1(VALU_DEP_1)
	v_fmac_f32_e32 v2, s30, v27
	flat_store_b32 v[32:33], v2 offset:128
	flat_load_b32 v2, v[34:35] offset:192
	s_wait_loadcnt_dscnt 0x0
	v_mul_f32_e32 v2, s33, v2
	v_fmac_f32_e32 v2, s30, v26
	v_add_nc_u64_e32 v[26:27], v[30:31], v[10:11]
	flat_store_b32 v[32:33], v2 offset:192
	flat_load_b32 v2, v[28:29]
	s_wait_loadcnt_dscnt 0x0
	v_mul_f32_e32 v2, s33, v2
	s_delay_alu instid0(VALU_DEP_1) | instskip(SKIP_4) | instid1(VALU_DEP_1)
	v_fmac_f32_e32 v2, s30, v25
	flat_store_b32 v[26:27], v2
	flat_load_b32 v2, v[28:29] offset:64
	s_wait_loadcnt_dscnt 0x0
	v_mul_f32_e32 v2, s33, v2
	v_fmac_f32_e32 v2, s30, v24
	v_add_nc_u64_e32 v[24:25], v[20:21], v[10:11]
	flat_store_b32 v[26:27], v2 offset:64
	flat_load_b32 v2, v[28:29] offset:128
	s_wait_loadcnt_dscnt 0x0
	v_mul_f32_e32 v2, s33, v2
	s_delay_alu instid0(VALU_DEP_1) | instskip(SKIP_4) | instid1(VALU_DEP_1)
	v_fmac_f32_e32 v2, s30, v23
	flat_store_b32 v[26:27], v2 offset:128
	flat_load_b32 v2, v[28:29] offset:192
	s_wait_loadcnt_dscnt 0x0
	v_mul_f32_e32 v2, s33, v2
	v_fmac_f32_e32 v2, s30, v22
	v_add_nc_u64_e32 v[22:23], s[14:15], v[30:31]
	flat_store_b32 v[26:27], v2 offset:192
	flat_load_b32 v2, v[24:25]
	v_add_nc_u64_e32 v[26:27], v[22:23], v[10:11]
	s_wait_loadcnt_dscnt 0x0
	v_mul_f32_e32 v2, s33, v2
	s_delay_alu instid0(VALU_DEP_1) | instskip(SKIP_4) | instid1(VALU_DEP_1)
	v_fmac_f32_e32 v2, s30, v19
	flat_store_b32 v[26:27], v2
	flat_load_b32 v2, v[24:25] offset:64
	s_wait_loadcnt_dscnt 0x0
	v_mul_f32_e32 v2, s33, v2
	v_fmac_f32_e32 v2, s30, v18
	v_add_nc_u64_e32 v[18:19], s[20:21], v[20:21]
	flat_store_b32 v[26:27], v2 offset:64
	flat_load_b32 v2, v[24:25] offset:128
	v_add_nc_u64_e32 v[18:19], v[18:19], v[10:11]
	s_wait_loadcnt_dscnt 0x0
	v_mul_f32_e32 v2, s33, v2
	s_delay_alu instid0(VALU_DEP_1) | instskip(SKIP_4) | instid1(VALU_DEP_1)
	v_fmac_f32_e32 v2, s30, v17
	flat_store_b32 v[26:27], v2 offset:128
	flat_load_b32 v2, v[24:25] offset:192
	s_wait_loadcnt_dscnt 0x0
	v_mul_f32_e32 v2, s33, v2
	v_fmac_f32_e32 v2, s30, v16
	v_add_nc_u64_e32 v[16:17], s[14:15], v[22:23]
	flat_store_b32 v[26:27], v2 offset:192
	flat_load_b32 v2, v[18:19]
	v_add_nc_u64_e32 v[16:17], v[16:17], v[10:11]
	s_wait_loadcnt_dscnt 0x0
	v_mul_f32_e32 v2, s33, v2
	s_delay_alu instid0(VALU_DEP_1) | instskip(SKIP_4) | instid1(VALU_DEP_1)
	v_fmac_f32_e32 v2, s30, v15
	flat_store_b32 v[16:17], v2
	flat_load_b32 v2, v[18:19] offset:64
	s_wait_loadcnt_dscnt 0x0
	v_mul_f32_e32 v2, s33, v2
	v_fmac_f32_e32 v2, s30, v14
	flat_store_b32 v[16:17], v2 offset:64
	flat_load_b32 v2, v[18:19] offset:128
	s_wait_loadcnt_dscnt 0x0
	v_mul_f32_e32 v2, s33, v2
	s_delay_alu instid0(VALU_DEP_1) | instskip(SKIP_4) | instid1(VALU_DEP_1)
	v_fmac_f32_e32 v2, s30, v13
	flat_store_b32 v[16:17], v2 offset:128
	flat_load_b32 v2, v[18:19] offset:192
	s_wait_loadcnt_dscnt 0x0
	v_mul_f32_e32 v2, s33, v2
	v_fmac_f32_e32 v2, s30, v12
	flat_store_b32 v[16:17], v2 offset:192
	s_branch .LBB112_2
.LBB112_10:
	s_sendmsg sendmsg(MSG_DEALLOC_VGPRS)
	s_endpgm
	.section	.rodata,"a",@progbits
	.p2align	6, 0x0
	.amdhsa_kernel _ZN12_GLOBAL__N_127rocblas_gemm_batched_kernelIfLi16ELi16ELi64ELi64ELi4ELi64ELi4ELi4ELi64ELc78ELc78EKPKDF16_KPKfKPfEEvlllT_PT11_llSB_llS9_PT12_llPT13_lli
		.amdhsa_group_segment_fixed_size 2048
		.amdhsa_private_segment_fixed_size 0
		.amdhsa_kernarg_size 140
		.amdhsa_user_sgpr_count 2
		.amdhsa_user_sgpr_dispatch_ptr 0
		.amdhsa_user_sgpr_queue_ptr 0
		.amdhsa_user_sgpr_kernarg_segment_ptr 1
		.amdhsa_user_sgpr_dispatch_id 0
		.amdhsa_user_sgpr_kernarg_preload_length 0
		.amdhsa_user_sgpr_kernarg_preload_offset 0
		.amdhsa_user_sgpr_private_segment_size 0
		.amdhsa_wavefront_size32 1
		.amdhsa_uses_dynamic_stack 0
		.amdhsa_enable_private_segment 0
		.amdhsa_system_sgpr_workgroup_id_x 1
		.amdhsa_system_sgpr_workgroup_id_y 1
		.amdhsa_system_sgpr_workgroup_id_z 1
		.amdhsa_system_sgpr_workgroup_info 0
		.amdhsa_system_vgpr_workitem_id 1
		.amdhsa_next_free_vgpr 78
		.amdhsa_next_free_sgpr 38
		.amdhsa_named_barrier_count 0
		.amdhsa_reserve_vcc 1
		.amdhsa_float_round_mode_32 0
		.amdhsa_float_round_mode_16_64 0
		.amdhsa_float_denorm_mode_32 3
		.amdhsa_float_denorm_mode_16_64 3
		.amdhsa_fp16_overflow 0
		.amdhsa_memory_ordered 1
		.amdhsa_forward_progress 1
		.amdhsa_inst_pref_size 19
		.amdhsa_round_robin_scheduling 0
		.amdhsa_exception_fp_ieee_invalid_op 0
		.amdhsa_exception_fp_denorm_src 0
		.amdhsa_exception_fp_ieee_div_zero 0
		.amdhsa_exception_fp_ieee_overflow 0
		.amdhsa_exception_fp_ieee_underflow 0
		.amdhsa_exception_fp_ieee_inexact 0
		.amdhsa_exception_int_div_zero 0
	.end_amdhsa_kernel
	.section	.text._ZN12_GLOBAL__N_127rocblas_gemm_batched_kernelIfLi16ELi16ELi64ELi64ELi4ELi64ELi4ELi4ELi64ELc78ELc78EKPKDF16_KPKfKPfEEvlllT_PT11_llSB_llS9_PT12_llPT13_lli,"axG",@progbits,_ZN12_GLOBAL__N_127rocblas_gemm_batched_kernelIfLi16ELi16ELi64ELi64ELi4ELi64ELi4ELi4ELi64ELc78ELc78EKPKDF16_KPKfKPfEEvlllT_PT11_llSB_llS9_PT12_llPT13_lli,comdat
.Lfunc_end112:
	.size	_ZN12_GLOBAL__N_127rocblas_gemm_batched_kernelIfLi16ELi16ELi64ELi64ELi4ELi64ELi4ELi4ELi64ELc78ELc78EKPKDF16_KPKfKPfEEvlllT_PT11_llSB_llS9_PT12_llPT13_lli, .Lfunc_end112-_ZN12_GLOBAL__N_127rocblas_gemm_batched_kernelIfLi16ELi16ELi64ELi64ELi4ELi64ELi4ELi4ELi64ELc78ELc78EKPKDF16_KPKfKPfEEvlllT_PT11_llSB_llS9_PT12_llPT13_lli
                                        ; -- End function
	.set _ZN12_GLOBAL__N_127rocblas_gemm_batched_kernelIfLi16ELi16ELi64ELi64ELi4ELi64ELi4ELi4ELi64ELc78ELc78EKPKDF16_KPKfKPfEEvlllT_PT11_llSB_llS9_PT12_llPT13_lli.num_vgpr, 78
	.set _ZN12_GLOBAL__N_127rocblas_gemm_batched_kernelIfLi16ELi16ELi64ELi64ELi4ELi64ELi4ELi4ELi64ELc78ELc78EKPKDF16_KPKfKPfEEvlllT_PT11_llSB_llS9_PT12_llPT13_lli.num_agpr, 0
	.set _ZN12_GLOBAL__N_127rocblas_gemm_batched_kernelIfLi16ELi16ELi64ELi64ELi4ELi64ELi4ELi4ELi64ELc78ELc78EKPKDF16_KPKfKPfEEvlllT_PT11_llSB_llS9_PT12_llPT13_lli.numbered_sgpr, 38
	.set _ZN12_GLOBAL__N_127rocblas_gemm_batched_kernelIfLi16ELi16ELi64ELi64ELi4ELi64ELi4ELi4ELi64ELc78ELc78EKPKDF16_KPKfKPfEEvlllT_PT11_llSB_llS9_PT12_llPT13_lli.num_named_barrier, 0
	.set _ZN12_GLOBAL__N_127rocblas_gemm_batched_kernelIfLi16ELi16ELi64ELi64ELi4ELi64ELi4ELi4ELi64ELc78ELc78EKPKDF16_KPKfKPfEEvlllT_PT11_llSB_llS9_PT12_llPT13_lli.private_seg_size, 0
	.set _ZN12_GLOBAL__N_127rocblas_gemm_batched_kernelIfLi16ELi16ELi64ELi64ELi4ELi64ELi4ELi4ELi64ELc78ELc78EKPKDF16_KPKfKPfEEvlllT_PT11_llSB_llS9_PT12_llPT13_lli.uses_vcc, 1
	.set _ZN12_GLOBAL__N_127rocblas_gemm_batched_kernelIfLi16ELi16ELi64ELi64ELi4ELi64ELi4ELi4ELi64ELc78ELc78EKPKDF16_KPKfKPfEEvlllT_PT11_llSB_llS9_PT12_llPT13_lli.uses_flat_scratch, 1
	.set _ZN12_GLOBAL__N_127rocblas_gemm_batched_kernelIfLi16ELi16ELi64ELi64ELi4ELi64ELi4ELi4ELi64ELc78ELc78EKPKDF16_KPKfKPfEEvlllT_PT11_llSB_llS9_PT12_llPT13_lli.has_dyn_sized_stack, 0
	.set _ZN12_GLOBAL__N_127rocblas_gemm_batched_kernelIfLi16ELi16ELi64ELi64ELi4ELi64ELi4ELi4ELi64ELc78ELc78EKPKDF16_KPKfKPfEEvlllT_PT11_llSB_llS9_PT12_llPT13_lli.has_recursion, 0
	.set _ZN12_GLOBAL__N_127rocblas_gemm_batched_kernelIfLi16ELi16ELi64ELi64ELi4ELi64ELi4ELi4ELi64ELc78ELc78EKPKDF16_KPKfKPfEEvlllT_PT11_llSB_llS9_PT12_llPT13_lli.has_indirect_call, 0
	.section	.AMDGPU.csdata,"",@progbits
; Kernel info:
; codeLenInByte = 2356
; TotalNumSgprs: 40
; NumVgprs: 78
; ScratchSize: 0
; MemoryBound: 0
; FloatMode: 240
; IeeeMode: 1
; LDSByteSize: 2048 bytes/workgroup (compile time only)
; SGPRBlocks: 0
; VGPRBlocks: 4
; NumSGPRsForWavesPerEU: 40
; NumVGPRsForWavesPerEU: 78
; NamedBarCnt: 0
; Occupancy: 12
; WaveLimiterHint : 1
; COMPUTE_PGM_RSRC2:SCRATCH_EN: 0
; COMPUTE_PGM_RSRC2:USER_SGPR: 2
; COMPUTE_PGM_RSRC2:TRAP_HANDLER: 0
; COMPUTE_PGM_RSRC2:TGID_X_EN: 1
; COMPUTE_PGM_RSRC2:TGID_Y_EN: 1
; COMPUTE_PGM_RSRC2:TGID_Z_EN: 1
; COMPUTE_PGM_RSRC2:TIDIG_COMP_CNT: 1
	.section	.text._ZN12_GLOBAL__N_127rocblas_gemm_batched_kernelIfLi16ELi16ELi64ELi64ELi4ELi64ELi4ELi4ELi64ELc84ELc78EKPKDF16_KPKfKPfEEvlllT_PT11_llSB_llS9_PT12_llPT13_lli,"axG",@progbits,_ZN12_GLOBAL__N_127rocblas_gemm_batched_kernelIfLi16ELi16ELi64ELi64ELi4ELi64ELi4ELi4ELi64ELc84ELc78EKPKDF16_KPKfKPfEEvlllT_PT11_llSB_llS9_PT12_llPT13_lli,comdat
	.globl	_ZN12_GLOBAL__N_127rocblas_gemm_batched_kernelIfLi16ELi16ELi64ELi64ELi4ELi64ELi4ELi4ELi64ELc84ELc78EKPKDF16_KPKfKPfEEvlllT_PT11_llSB_llS9_PT12_llPT13_lli ; -- Begin function _ZN12_GLOBAL__N_127rocblas_gemm_batched_kernelIfLi16ELi16ELi64ELi64ELi4ELi64ELi4ELi4ELi64ELc84ELc78EKPKDF16_KPKfKPfEEvlllT_PT11_llSB_llS9_PT12_llPT13_lli
	.p2align	8
	.type	_ZN12_GLOBAL__N_127rocblas_gemm_batched_kernelIfLi16ELi16ELi64ELi64ELi4ELi64ELi4ELi4ELi64ELc84ELc78EKPKDF16_KPKfKPfEEvlllT_PT11_llSB_llS9_PT12_llPT13_lli,@function
_ZN12_GLOBAL__N_127rocblas_gemm_batched_kernelIfLi16ELi16ELi64ELi64ELi4ELi64ELi4ELi4ELi64ELc84ELc78EKPKDF16_KPKfKPfEEvlllT_PT11_llSB_llS9_PT12_llPT13_lli: ; @_ZN12_GLOBAL__N_127rocblas_gemm_batched_kernelIfLi16ELi16ELi64ELi64ELi4ELi64ELi4ELi4ELi64ELc84ELc78EKPKDF16_KPKfKPfEEvlllT_PT11_llSB_llS9_PT12_llPT13_lli
; %bb.0:
	s_load_b32 s31, s[0:1], 0x88
	s_bfe_u32 s2, ttmp6, 0x40014
	s_lshr_b32 s3, ttmp7, 16
	s_add_co_i32 s2, s2, 1
	s_bfe_u32 s4, ttmp6, 0x40008
	s_mul_i32 s2, s3, s2
	s_getreg_b32 s12, hwreg(HW_REG_IB_STS2, 6, 4)
	s_add_co_i32 s4, s4, s2
	s_cmp_eq_u32 s12, 0
	s_cselect_b32 s2, s3, s4
	s_mov_b32 s3, 0
	s_wait_kmcnt 0x0
	s_cmp_ge_i32 s2, s31
	s_cbranch_scc1 .LBB113_10
; %bb.1:
	v_bfe_u32 v2, v0, 10, 10
	v_and_b32_e32 v6, 0x3ff, v0
	s_bfe_u32 s14, ttmp6, 0x4000c
	s_bfe_u32 s16, ttmp6, 0x40010
	s_clause 0x2
	s_load_b256 s[4:11], s[0:1], 0x20
	s_load_b128 s[20:23], s[0:1], 0x40
	s_load_b32 s33, s[0:1], 0x50
	v_dual_mov_b32 v3, 0 :: v_dual_lshlrev_b32 v14, 4, v2
	s_and_b32 s15, ttmp7, 0xffff
	s_add_co_i32 s14, s14, 1
	s_add_co_i32 s16, s16, 1
	s_delay_alu instid0(VALU_DEP_1)
	v_dual_add_nc_u32 v15, v14, v6 :: v_dual_mov_b32 v9, v3
	s_and_b32 s13, ttmp6, 15
	s_mul_i32 s14, ttmp9, s14
	s_mul_i32 s16, s15, s16
	s_bfe_u32 s17, ttmp6, 0x40004
	s_add_co_i32 s13, s13, s14
	s_add_co_i32 s17, s17, s16
	s_cmp_eq_u32 s12, 0
	v_dual_lshrrev_b32 v8, 2, v15 :: v_dual_bitop2_b32 v16, 63, v15 bitop3:0x40
	s_cselect_b32 s14, s15, s17
	s_cselect_b32 s12, ttmp9, s13
	s_lshl_b32 s28, s14, 6
	s_mov_b32 s29, s3
	s_ashr_i32 s13, s12, 31
	v_add_nc_u64_e32 v[4:5], s[28:29], v[8:9]
	s_load_b128 s[24:27], s[0:1], 0x78
	s_lshl_b64 s[34:35], s[12:13], 6
	s_load_b256 s[12:19], s[0:1], 0x58
	v_dual_mov_b32 v11, s35 :: v_dual_bitop2_b32 v10, s34, v16 bitop3:0x54
	s_wait_kmcnt 0x0
	s_cmp_eq_f32 s33, 0
	v_mul_u64_e32 v[12:13], s[20:21], v[4:5]
	v_add_nc_u64_e32 v[4:5], s[28:29], v[2:3]
	s_load_b96 s[28:30], s[0:1], 0x10
	v_mul_u64_e32 v[10:11], s[6:7], v[10:11]
	v_dual_mov_b32 v7, v3 :: v_dual_bitop2_b32 v2, 3, v0 bitop3:0x40
	s_wait_xcnt 0x0
	s_cselect_b32 s1, -1, 0
	s_lshl_b64 s[6:7], s[22:23], 1
	v_dual_lshlrev_b32 v36, 2, v6 :: v_dual_lshrrev_b32 v17, 6, v15
	v_dual_lshlrev_b32 v9, 2, v2 :: v_dual_lshlrev_b32 v2, 1, v2
	v_add_nc_u32_e32 v37, 0x400, v14
	v_add_nc_u64_e32 v[14:15], s[34:35], v[6:7]
	v_mul_u64_e32 v[0:1], s[24:25], v[4:5]
	v_lshlrev_b32_e32 v16, 2, v16
	v_mul_u64_e32 v[4:5], s[14:15], v[4:5]
	v_lshl_or_b32 v18, v8, 4, v9
	s_lshl_b64 s[20:21], s[14:15], 4
	s_lshl_b64 s[14:15], s[16:17], 2
	;; [unrolled: 1-line block ×3, first 2 shown]
	s_wait_kmcnt 0x0
	v_cmp_gt_i64_e64 s0, s[28:29], 0
	v_add_nc_u32_e32 v39, 0x400, v18
	v_lshl_add_u64 v[6:7], v[12:13], 1, s[6:7]
	s_lshl_b64 s[6:7], s[8:9], 1
	v_cndmask_b32_e64 v12, 0, 1, s0
	v_lshl_add_u64 v[8:9], v[10:11], 1, s[6:7]
	v_lshlrev_b64_e32 v[10:11], 2, v[14:15]
	v_add_nc_u64_e32 v[6:7], v[6:7], v[2:3]
	v_lshlrev_b32_e32 v2, 1, v17
	v_lshl_or_b32 v38, v17, 8, v16
	v_cmp_ne_u32_e64 s0, 1, v12
	s_lshl_b64 s[8:9], s[24:25], 4
	s_lshl_b64 s[6:7], s[26:27], 2
	v_add_nc_u64_e32 v[8:9], v[8:9], v[2:3]
	s_lshl_b64 s[8:9], s[8:9], 2
	s_branch .LBB113_3
.LBB113_2:                              ;   in Loop: Header=BB113_3 Depth=1
	s_add_co_i32 s2, s2, 0x10000
	s_delay_alu instid0(SALU_CYCLE_1)
	s_cmp_lt_i32 s2, s31
	s_cbranch_scc0 .LBB113_10
.LBB113_3:                              ; =>This Loop Header: Depth=1
                                        ;     Child Loop BB113_5 Depth 2
	s_wait_xcnt 0x0
	v_dual_mov_b32 v2, s2 :: v_dual_mov_b32 v29, 0
	v_dual_mov_b32 v28, 0 :: v_dual_mov_b32 v27, 0
	;; [unrolled: 1-line block ×3, first 2 shown]
	s_clause 0x1
	global_load_b64 v[20:21], v2, s[12:13] scale_offset
	global_load_b64 v[30:31], v2, s[18:19] scale_offset
	v_dual_mov_b32 v24, 0 :: v_dual_mov_b32 v23, 0
	v_dual_mov_b32 v22, 0 :: v_dual_mov_b32 v19, 0
	;; [unrolled: 1-line block ×5, first 2 shown]
	v_mov_b32_e32 v12, 0
	s_and_b32 vcc_lo, exec_lo, s0
	s_cbranch_vccnz .LBB113_6
; %bb.4:                                ;   in Loop: Header=BB113_3 Depth=1
	s_lshl_b64 s[20:21], s[2:3], 3
	v_mov_b32_e32 v12, 0
	s_add_nc_u64 s[22:23], s[10:11], s[20:21]
	s_add_nc_u64 s[20:21], s[4:5], s[20:21]
	s_clause 0x1
	global_load_b64 v[28:29], v3, s[22:23]
	global_load_b64 v[34:35], v3, s[20:21]
	s_wait_xcnt 0x0
	s_mov_b64 s[20:21], 0
	v_dual_mov_b32 v13, v12 :: v_dual_mov_b32 v14, v12
	v_dual_mov_b32 v15, v12 :: v_dual_mov_b32 v16, v12
	;; [unrolled: 1-line block ×6, first 2 shown]
	v_mov_b32_e32 v27, v12
	s_wait_loadcnt 0x1
	v_add_nc_u64_e32 v[32:33], v[28:29], v[6:7]
	s_wait_loadcnt 0x0
	v_add_nc_u64_e32 v[34:35], v[34:35], v[8:9]
	v_dual_mov_b32 v28, v12 :: v_dual_mov_b32 v29, v12
.LBB113_5:                              ;   Parent Loop BB113_3 Depth=1
                                        ; =>  This Inner Loop Header: Depth=2
	flat_load_u16 v2, v[34:35]
	flat_load_u16 v40, v[32:33]
	s_add_nc_u64 s[20:21], s[20:21], 4
	s_wait_xcnt 0x0
	v_add_nc_u64_e32 v[32:33], 8, v[32:33]
	v_cmp_lt_i64_e64 s22, s[20:21], s[28:29]
	v_add_nc_u64_e32 v[34:35], 8, v[34:35]
	s_and_b32 vcc_lo, exec_lo, s22
	s_wait_loadcnt_dscnt 0x101
	v_cvt_f32_f16_e32 v2, v2
	s_wait_loadcnt_dscnt 0x0
	v_cvt_f32_f16_e32 v40, v40
	ds_store_b32 v38, v2
	ds_store_b32 v39, v40
	s_wait_dscnt 0x0
	s_barrier_signal -1
	s_barrier_wait -1
	ds_load_2addr_b32 v[56:57], v36 offset1:16
	ds_load_2addr_b32 v[58:59], v36 offset0:64 offset1:80
	ds_load_2addr_b32 v[60:61], v36 offset0:128 offset1:144
	;; [unrolled: 1-line block ×6, first 2 shown]
	ds_load_b128 v[40:43], v37
	ds_load_b128 v[44:47], v37 offset:256
	ds_load_2addr_b32 v[70:71], v36 offset0:224 offset1:240
	ds_load_b128 v[48:51], v37 offset:512
	ds_load_b128 v[52:55], v37 offset:768
	s_wait_dscnt 0x0
	s_barrier_signal -1
	s_barrier_wait -1
	v_dual_mov_b32 v72, v57 :: v_dual_mov_b32 v73, v56
	v_dual_mov_b32 v56, v59 :: v_dual_mov_b32 v57, v58
	;; [unrolled: 1-line block ×6, first 2 shown]
	v_pk_fma_f32 v[28:29], v[72:73], v[40:41], v[28:29] op_sel_hi:[1,0,1]
	v_pk_fma_f32 v[24:25], v[72:73], v[44:45], v[24:25] op_sel_hi:[1,0,1]
	s_delay_alu instid0(VALU_DEP_4)
	v_pk_fma_f32 v[26:27], v[62:63], v[40:41], v[26:27] op_sel_hi:[1,0,1]
	v_pk_fma_f32 v[18:19], v[72:73], v[48:49], v[18:19] op_sel_hi:[1,0,1]
	;; [unrolled: 1-line block ×6, first 2 shown]
	v_dual_mov_b32 v66, v69 :: v_dual_mov_b32 v67, v68
	v_pk_fma_f32 v[28:29], v[56:57], v[40:41], v[28:29] op_sel:[0,1,0]
	v_pk_fma_f32 v[26:27], v[64:65], v[40:41], v[26:27] op_sel:[0,1,0]
	v_pk_fma_f32 v[24:25], v[56:57], v[44:45], v[24:25] op_sel:[0,1,0]
	v_pk_fma_f32 v[18:19], v[56:57], v[48:49], v[18:19] op_sel:[0,1,0]
	v_pk_fma_f32 v[14:15], v[56:57], v[52:53], v[14:15] op_sel:[0,1,0]
	v_pk_fma_f32 v[22:23], v[64:65], v[44:45], v[22:23] op_sel:[0,1,0]
	v_pk_fma_f32 v[16:17], v[64:65], v[48:49], v[16:17] op_sel:[0,1,0]
	v_pk_fma_f32 v[12:13], v[64:65], v[52:53], v[12:13] op_sel:[0,1,0]
	v_dual_mov_b32 v2, v43 :: v_dual_mov_b32 v68, v71
	v_dual_mov_b32 v69, v70 :: v_dual_mov_b32 v70, v47
	v_dual_mov_b32 v74, v51 :: v_dual_mov_b32 v76, v55
	v_pk_fma_f32 v[28:29], v[58:59], v[42:43], v[28:29] op_sel_hi:[1,0,1]
	v_pk_fma_f32 v[26:27], v[66:67], v[42:43], v[26:27] op_sel_hi:[1,0,1]
	;; [unrolled: 1-line block ×16, first 2 shown]
	s_cbranch_vccnz .LBB113_5
.LBB113_6:                              ;   in Loop: Header=BB113_3 Depth=1
	s_wait_loadcnt 0x0
	v_add_nc_u64_e32 v[30:31], s[6:7], v[30:31]
	s_and_not1_b32 vcc_lo, exec_lo, s1
	s_delay_alu instid0(VALU_DEP_1) | instskip(NEXT) | instid1(VALU_DEP_1)
	v_lshl_add_u64 v[30:31], v[0:1], 2, v[30:31]
	v_add_nc_u64_e32 v[32:33], v[30:31], v[10:11]
	v_add_nc_u64_e32 v[30:31], s[8:9], v[30:31]
	s_cbranch_vccnz .LBB113_8
; %bb.7:                                ;   in Loop: Header=BB113_3 Depth=1
	s_wait_xcnt 0x0
	v_dual_mul_f32 v2, s30, v29 :: v_dual_mul_f32 v40, s30, v28
	s_delay_alu instid0(VALU_DEP_2)
	v_add_nc_u64_e32 v[34:35], s[8:9], v[30:31]
	v_dual_mul_f32 v41, s30, v27 :: v_dual_mul_f32 v42, s30, v26
	s_clause 0x3
	flat_store_b32 v[32:33], v2
	flat_store_b32 v[32:33], v40 offset:64
	flat_store_b32 v[32:33], v41 offset:128
	;; [unrolled: 1-line block ×3, first 2 shown]
	s_wait_xcnt 0x1
	v_add_nc_u64_e32 v[40:41], v[30:31], v[10:11]
	v_dual_mul_f32 v2, s30, v25 :: v_dual_mul_f32 v44, s30, v24
	s_wait_xcnt 0x0
	v_add_nc_u64_e32 v[42:43], v[34:35], v[10:11]
	v_add_nc_u64_e32 v[34:35], s[8:9], v[34:35]
	v_dual_mul_f32 v45, s30, v23 :: v_dual_mul_f32 v46, s30, v22
	s_clause 0x3
	flat_store_b32 v[40:41], v2
	flat_store_b32 v[40:41], v44 offset:64
	flat_store_b32 v[40:41], v45 offset:128
	;; [unrolled: 1-line block ×3, first 2 shown]
	s_wait_xcnt 0x0
	v_dual_mul_f32 v2, s30, v19 :: v_dual_mul_f32 v40, s30, v18
	v_dual_mul_f32 v41, s30, v17 :: v_dual_mul_f32 v44, s30, v16
	v_add_nc_u64_e32 v[34:35], v[34:35], v[10:11]
	s_clause 0x3
	flat_store_b32 v[42:43], v2
	flat_store_b32 v[42:43], v40 offset:64
	flat_store_b32 v[42:43], v41 offset:128
	;; [unrolled: 1-line block ×3, first 2 shown]
	s_wait_xcnt 0x2
	v_dual_mul_f32 v2, s30, v15 :: v_dual_mul_f32 v40, s30, v14
	s_wait_xcnt 0x0
	v_dual_mul_f32 v41, s30, v13 :: v_dual_mul_f32 v42, s30, v12
	s_clause 0x3
	flat_store_b32 v[34:35], v2
	flat_store_b32 v[34:35], v40 offset:64
	flat_store_b32 v[34:35], v41 offset:128
	;; [unrolled: 1-line block ×3, first 2 shown]
	s_cbranch_execnz .LBB113_2
	s_branch .LBB113_9
.LBB113_8:                              ;   in Loop: Header=BB113_3 Depth=1
.LBB113_9:                              ;   in Loop: Header=BB113_3 Depth=1
	v_add_nc_u64_e32 v[20:21], s[14:15], v[20:21]
	s_delay_alu instid0(VALU_DEP_1) | instskip(SKIP_1) | instid1(VALU_DEP_1)
	v_lshl_add_u64 v[20:21], v[4:5], 2, v[20:21]
	s_wait_xcnt 0x0
	v_add_nc_u64_e32 v[34:35], v[20:21], v[10:11]
	v_add_nc_u64_e32 v[20:21], s[16:17], v[20:21]
	flat_load_b32 v2, v[34:35]
	s_wait_loadcnt_dscnt 0x0
	v_mul_f32_e32 v2, s33, v2
	s_delay_alu instid0(VALU_DEP_1) | instskip(SKIP_4) | instid1(VALU_DEP_1)
	v_fmac_f32_e32 v2, s30, v29
	flat_store_b32 v[32:33], v2
	flat_load_b32 v2, v[34:35] offset:64
	s_wait_loadcnt_dscnt 0x0
	v_mul_f32_e32 v2, s33, v2
	v_fmac_f32_e32 v2, s30, v28
	v_add_nc_u64_e32 v[28:29], v[20:21], v[10:11]
	v_add_nc_u64_e32 v[20:21], s[16:17], v[20:21]
	flat_store_b32 v[32:33], v2 offset:64
	flat_load_b32 v2, v[34:35] offset:128
	s_wait_loadcnt_dscnt 0x0
	v_mul_f32_e32 v2, s33, v2
	s_delay_alu instid0(VALU_DEP_1) | instskip(SKIP_4) | instid1(VALU_DEP_1)
	v_fmac_f32_e32 v2, s30, v27
	flat_store_b32 v[32:33], v2 offset:128
	flat_load_b32 v2, v[34:35] offset:192
	s_wait_loadcnt_dscnt 0x0
	v_mul_f32_e32 v2, s33, v2
	v_fmac_f32_e32 v2, s30, v26
	v_add_nc_u64_e32 v[26:27], v[30:31], v[10:11]
	flat_store_b32 v[32:33], v2 offset:192
	flat_load_b32 v2, v[28:29]
	s_wait_loadcnt_dscnt 0x0
	v_mul_f32_e32 v2, s33, v2
	s_delay_alu instid0(VALU_DEP_1) | instskip(SKIP_4) | instid1(VALU_DEP_1)
	v_fmac_f32_e32 v2, s30, v25
	flat_store_b32 v[26:27], v2
	flat_load_b32 v2, v[28:29] offset:64
	s_wait_loadcnt_dscnt 0x0
	v_mul_f32_e32 v2, s33, v2
	v_fmac_f32_e32 v2, s30, v24
	v_add_nc_u64_e32 v[24:25], v[20:21], v[10:11]
	flat_store_b32 v[26:27], v2 offset:64
	flat_load_b32 v2, v[28:29] offset:128
	s_wait_loadcnt_dscnt 0x0
	v_mul_f32_e32 v2, s33, v2
	s_delay_alu instid0(VALU_DEP_1) | instskip(SKIP_4) | instid1(VALU_DEP_1)
	v_fmac_f32_e32 v2, s30, v23
	flat_store_b32 v[26:27], v2 offset:128
	flat_load_b32 v2, v[28:29] offset:192
	s_wait_loadcnt_dscnt 0x0
	v_mul_f32_e32 v2, s33, v2
	v_fmac_f32_e32 v2, s30, v22
	v_add_nc_u64_e32 v[22:23], s[8:9], v[30:31]
	flat_store_b32 v[26:27], v2 offset:192
	flat_load_b32 v2, v[24:25]
	v_add_nc_u64_e32 v[26:27], v[22:23], v[10:11]
	s_wait_loadcnt_dscnt 0x0
	v_mul_f32_e32 v2, s33, v2
	s_delay_alu instid0(VALU_DEP_1) | instskip(SKIP_4) | instid1(VALU_DEP_1)
	v_fmac_f32_e32 v2, s30, v19
	flat_store_b32 v[26:27], v2
	flat_load_b32 v2, v[24:25] offset:64
	s_wait_loadcnt_dscnt 0x0
	v_mul_f32_e32 v2, s33, v2
	v_fmac_f32_e32 v2, s30, v18
	v_add_nc_u64_e32 v[18:19], s[16:17], v[20:21]
	flat_store_b32 v[26:27], v2 offset:64
	flat_load_b32 v2, v[24:25] offset:128
	v_add_nc_u64_e32 v[18:19], v[18:19], v[10:11]
	s_wait_loadcnt_dscnt 0x0
	v_mul_f32_e32 v2, s33, v2
	s_delay_alu instid0(VALU_DEP_1) | instskip(SKIP_4) | instid1(VALU_DEP_1)
	v_fmac_f32_e32 v2, s30, v17
	flat_store_b32 v[26:27], v2 offset:128
	flat_load_b32 v2, v[24:25] offset:192
	s_wait_loadcnt_dscnt 0x0
	v_mul_f32_e32 v2, s33, v2
	v_fmac_f32_e32 v2, s30, v16
	v_add_nc_u64_e32 v[16:17], s[8:9], v[22:23]
	flat_store_b32 v[26:27], v2 offset:192
	flat_load_b32 v2, v[18:19]
	v_add_nc_u64_e32 v[16:17], v[16:17], v[10:11]
	s_wait_loadcnt_dscnt 0x0
	v_mul_f32_e32 v2, s33, v2
	s_delay_alu instid0(VALU_DEP_1) | instskip(SKIP_4) | instid1(VALU_DEP_1)
	v_fmac_f32_e32 v2, s30, v15
	flat_store_b32 v[16:17], v2
	flat_load_b32 v2, v[18:19] offset:64
	s_wait_loadcnt_dscnt 0x0
	v_mul_f32_e32 v2, s33, v2
	v_fmac_f32_e32 v2, s30, v14
	flat_store_b32 v[16:17], v2 offset:64
	flat_load_b32 v2, v[18:19] offset:128
	s_wait_loadcnt_dscnt 0x0
	v_mul_f32_e32 v2, s33, v2
	s_delay_alu instid0(VALU_DEP_1) | instskip(SKIP_4) | instid1(VALU_DEP_1)
	v_fmac_f32_e32 v2, s30, v13
	flat_store_b32 v[16:17], v2 offset:128
	flat_load_b32 v2, v[18:19] offset:192
	s_wait_loadcnt_dscnt 0x0
	v_mul_f32_e32 v2, s33, v2
	v_fmac_f32_e32 v2, s30, v12
	flat_store_b32 v[16:17], v2 offset:192
	s_branch .LBB113_2
.LBB113_10:
	s_sendmsg sendmsg(MSG_DEALLOC_VGPRS)
	s_endpgm
	.section	.rodata,"a",@progbits
	.p2align	6, 0x0
	.amdhsa_kernel _ZN12_GLOBAL__N_127rocblas_gemm_batched_kernelIfLi16ELi16ELi64ELi64ELi4ELi64ELi4ELi4ELi64ELc84ELc78EKPKDF16_KPKfKPfEEvlllT_PT11_llSB_llS9_PT12_llPT13_lli
		.amdhsa_group_segment_fixed_size 2048
		.amdhsa_private_segment_fixed_size 0
		.amdhsa_kernarg_size 140
		.amdhsa_user_sgpr_count 2
		.amdhsa_user_sgpr_dispatch_ptr 0
		.amdhsa_user_sgpr_queue_ptr 0
		.amdhsa_user_sgpr_kernarg_segment_ptr 1
		.amdhsa_user_sgpr_dispatch_id 0
		.amdhsa_user_sgpr_kernarg_preload_length 0
		.amdhsa_user_sgpr_kernarg_preload_offset 0
		.amdhsa_user_sgpr_private_segment_size 0
		.amdhsa_wavefront_size32 1
		.amdhsa_uses_dynamic_stack 0
		.amdhsa_enable_private_segment 0
		.amdhsa_system_sgpr_workgroup_id_x 1
		.amdhsa_system_sgpr_workgroup_id_y 1
		.amdhsa_system_sgpr_workgroup_id_z 1
		.amdhsa_system_sgpr_workgroup_info 0
		.amdhsa_system_vgpr_workitem_id 1
		.amdhsa_next_free_vgpr 78
		.amdhsa_next_free_sgpr 36
		.amdhsa_named_barrier_count 0
		.amdhsa_reserve_vcc 1
		.amdhsa_float_round_mode_32 0
		.amdhsa_float_round_mode_16_64 0
		.amdhsa_float_denorm_mode_32 3
		.amdhsa_float_denorm_mode_16_64 3
		.amdhsa_fp16_overflow 0
		.amdhsa_memory_ordered 1
		.amdhsa_forward_progress 1
		.amdhsa_inst_pref_size 19
		.amdhsa_round_robin_scheduling 0
		.amdhsa_exception_fp_ieee_invalid_op 0
		.amdhsa_exception_fp_denorm_src 0
		.amdhsa_exception_fp_ieee_div_zero 0
		.amdhsa_exception_fp_ieee_overflow 0
		.amdhsa_exception_fp_ieee_underflow 0
		.amdhsa_exception_fp_ieee_inexact 0
		.amdhsa_exception_int_div_zero 0
	.end_amdhsa_kernel
	.section	.text._ZN12_GLOBAL__N_127rocblas_gemm_batched_kernelIfLi16ELi16ELi64ELi64ELi4ELi64ELi4ELi4ELi64ELc84ELc78EKPKDF16_KPKfKPfEEvlllT_PT11_llSB_llS9_PT12_llPT13_lli,"axG",@progbits,_ZN12_GLOBAL__N_127rocblas_gemm_batched_kernelIfLi16ELi16ELi64ELi64ELi4ELi64ELi4ELi4ELi64ELc84ELc78EKPKDF16_KPKfKPfEEvlllT_PT11_llSB_llS9_PT12_llPT13_lli,comdat
.Lfunc_end113:
	.size	_ZN12_GLOBAL__N_127rocblas_gemm_batched_kernelIfLi16ELi16ELi64ELi64ELi4ELi64ELi4ELi4ELi64ELc84ELc78EKPKDF16_KPKfKPfEEvlllT_PT11_llSB_llS9_PT12_llPT13_lli, .Lfunc_end113-_ZN12_GLOBAL__N_127rocblas_gemm_batched_kernelIfLi16ELi16ELi64ELi64ELi4ELi64ELi4ELi4ELi64ELc84ELc78EKPKDF16_KPKfKPfEEvlllT_PT11_llSB_llS9_PT12_llPT13_lli
                                        ; -- End function
	.set _ZN12_GLOBAL__N_127rocblas_gemm_batched_kernelIfLi16ELi16ELi64ELi64ELi4ELi64ELi4ELi4ELi64ELc84ELc78EKPKDF16_KPKfKPfEEvlllT_PT11_llSB_llS9_PT12_llPT13_lli.num_vgpr, 78
	.set _ZN12_GLOBAL__N_127rocblas_gemm_batched_kernelIfLi16ELi16ELi64ELi64ELi4ELi64ELi4ELi4ELi64ELc84ELc78EKPKDF16_KPKfKPfEEvlllT_PT11_llSB_llS9_PT12_llPT13_lli.num_agpr, 0
	.set _ZN12_GLOBAL__N_127rocblas_gemm_batched_kernelIfLi16ELi16ELi64ELi64ELi4ELi64ELi4ELi4ELi64ELc84ELc78EKPKDF16_KPKfKPfEEvlllT_PT11_llSB_llS9_PT12_llPT13_lli.numbered_sgpr, 36
	.set _ZN12_GLOBAL__N_127rocblas_gemm_batched_kernelIfLi16ELi16ELi64ELi64ELi4ELi64ELi4ELi4ELi64ELc84ELc78EKPKDF16_KPKfKPfEEvlllT_PT11_llSB_llS9_PT12_llPT13_lli.num_named_barrier, 0
	.set _ZN12_GLOBAL__N_127rocblas_gemm_batched_kernelIfLi16ELi16ELi64ELi64ELi4ELi64ELi4ELi4ELi64ELc84ELc78EKPKDF16_KPKfKPfEEvlllT_PT11_llSB_llS9_PT12_llPT13_lli.private_seg_size, 0
	.set _ZN12_GLOBAL__N_127rocblas_gemm_batched_kernelIfLi16ELi16ELi64ELi64ELi4ELi64ELi4ELi4ELi64ELc84ELc78EKPKDF16_KPKfKPfEEvlllT_PT11_llSB_llS9_PT12_llPT13_lli.uses_vcc, 1
	.set _ZN12_GLOBAL__N_127rocblas_gemm_batched_kernelIfLi16ELi16ELi64ELi64ELi4ELi64ELi4ELi4ELi64ELc84ELc78EKPKDF16_KPKfKPfEEvlllT_PT11_llSB_llS9_PT12_llPT13_lli.uses_flat_scratch, 1
	.set _ZN12_GLOBAL__N_127rocblas_gemm_batched_kernelIfLi16ELi16ELi64ELi64ELi4ELi64ELi4ELi4ELi64ELc84ELc78EKPKDF16_KPKfKPfEEvlllT_PT11_llSB_llS9_PT12_llPT13_lli.has_dyn_sized_stack, 0
	.set _ZN12_GLOBAL__N_127rocblas_gemm_batched_kernelIfLi16ELi16ELi64ELi64ELi4ELi64ELi4ELi4ELi64ELc84ELc78EKPKDF16_KPKfKPfEEvlllT_PT11_llSB_llS9_PT12_llPT13_lli.has_recursion, 0
	.set _ZN12_GLOBAL__N_127rocblas_gemm_batched_kernelIfLi16ELi16ELi64ELi64ELi4ELi64ELi4ELi4ELi64ELc84ELc78EKPKDF16_KPKfKPfEEvlllT_PT11_llSB_llS9_PT12_llPT13_lli.has_indirect_call, 0
	.section	.AMDGPU.csdata,"",@progbits
; Kernel info:
; codeLenInByte = 2364
; TotalNumSgprs: 38
; NumVgprs: 78
; ScratchSize: 0
; MemoryBound: 0
; FloatMode: 240
; IeeeMode: 1
; LDSByteSize: 2048 bytes/workgroup (compile time only)
; SGPRBlocks: 0
; VGPRBlocks: 4
; NumSGPRsForWavesPerEU: 38
; NumVGPRsForWavesPerEU: 78
; NamedBarCnt: 0
; Occupancy: 12
; WaveLimiterHint : 1
; COMPUTE_PGM_RSRC2:SCRATCH_EN: 0
; COMPUTE_PGM_RSRC2:USER_SGPR: 2
; COMPUTE_PGM_RSRC2:TRAP_HANDLER: 0
; COMPUTE_PGM_RSRC2:TGID_X_EN: 1
; COMPUTE_PGM_RSRC2:TGID_Y_EN: 1
; COMPUTE_PGM_RSRC2:TGID_Z_EN: 1
; COMPUTE_PGM_RSRC2:TIDIG_COMP_CNT: 1
	.section	.text._ZN12_GLOBAL__N_127rocblas_gemm_batched_kernelIfLi16ELi16ELi64ELi64ELi4ELi64ELi4ELi4ELi64ELc78ELc84EKPKDF16_KPKfKPfEEvlllT_PT11_llSB_llS9_PT12_llPT13_lli,"axG",@progbits,_ZN12_GLOBAL__N_127rocblas_gemm_batched_kernelIfLi16ELi16ELi64ELi64ELi4ELi64ELi4ELi4ELi64ELc78ELc84EKPKDF16_KPKfKPfEEvlllT_PT11_llSB_llS9_PT12_llPT13_lli,comdat
	.globl	_ZN12_GLOBAL__N_127rocblas_gemm_batched_kernelIfLi16ELi16ELi64ELi64ELi4ELi64ELi4ELi4ELi64ELc78ELc84EKPKDF16_KPKfKPfEEvlllT_PT11_llSB_llS9_PT12_llPT13_lli ; -- Begin function _ZN12_GLOBAL__N_127rocblas_gemm_batched_kernelIfLi16ELi16ELi64ELi64ELi4ELi64ELi4ELi4ELi64ELc78ELc84EKPKDF16_KPKfKPfEEvlllT_PT11_llSB_llS9_PT12_llPT13_lli
	.p2align	8
	.type	_ZN12_GLOBAL__N_127rocblas_gemm_batched_kernelIfLi16ELi16ELi64ELi64ELi4ELi64ELi4ELi4ELi64ELc78ELc84EKPKDF16_KPKfKPfEEvlllT_PT11_llSB_llS9_PT12_llPT13_lli,@function
_ZN12_GLOBAL__N_127rocblas_gemm_batched_kernelIfLi16ELi16ELi64ELi64ELi4ELi64ELi4ELi4ELi64ELc78ELc84EKPKDF16_KPKfKPfEEvlllT_PT11_llSB_llS9_PT12_llPT13_lli: ; @_ZN12_GLOBAL__N_127rocblas_gemm_batched_kernelIfLi16ELi16ELi64ELi64ELi4ELi64ELi4ELi4ELi64ELc78ELc84EKPKDF16_KPKfKPfEEvlllT_PT11_llSB_llS9_PT12_llPT13_lli
; %bb.0:
	s_load_b32 s31, s[0:1], 0x88
	s_bfe_u32 s2, ttmp6, 0x40014
	s_lshr_b32 s3, ttmp7, 16
	s_add_co_i32 s2, s2, 1
	s_bfe_u32 s4, ttmp6, 0x40008
	s_mul_i32 s2, s3, s2
	s_getreg_b32 s28, hwreg(HW_REG_IB_STS2, 6, 4)
	s_add_co_i32 s4, s4, s2
	s_cmp_eq_u32 s28, 0
	s_cselect_b32 s2, s3, s4
	s_mov_b32 s3, 0
	s_wait_kmcnt 0x0
	s_cmp_ge_i32 s2, s31
	s_cbranch_scc1 .LBB114_10
; %bb.1:
	v_bfe_u32 v2, v0, 10, 10
	s_clause 0x2
	s_load_b256 s[4:11], s[0:1], 0x20
	s_load_b128 s[24:27], s[0:1], 0x40
	s_load_b32 s33, s[0:1], 0x50
	v_and_b32_e32 v6, 0x3ff, v0
	s_bfe_u32 s29, ttmp6, 0x4000c
	s_bfe_u32 s34, ttmp6, 0x40010
	v_dual_mov_b32 v3, 0 :: v_dual_lshlrev_b32 v16, 4, v2
	s_add_co_i32 s29, s29, 1
	s_and_b32 s35, ttmp7, 0xffff
	s_add_co_i32 s34, s34, 1
	s_and_b32 s30, ttmp6, 15
	s_mul_i32 s29, ttmp9, s29
	s_mul_i32 s34, s35, s34
	s_bfe_u32 s36, ttmp6, 0x40004
	v_dual_add_nc_u32 v1, v16, v6 :: v_dual_bitop2_b32 v0, 3, v0 bitop3:0x40
	s_clause 0x1
	s_load_b128 s[20:23], s[0:1], 0x78
	s_load_b256 s[12:19], s[0:1], 0x58
	s_add_co_i32 s30, s30, s29
	s_add_co_i32 s36, s36, s34
	s_cmp_eq_u32 s28, 0
	v_dual_mov_b32 v9, v3 :: v_dual_lshrrev_b32 v8, 2, v1
	s_cselect_b32 s28, ttmp9, s30
	v_dual_lshrrev_b32 v17, 6, v1 :: v_dual_bitop2_b32 v14, 63, v1 bitop3:0x40
	s_cselect_b32 s30, s35, s36
	s_ashr_i32 s29, s28, 31
	s_wait_kmcnt 0x0
	v_mad_nc_u64_u32 v[10:11], s24, v0, v[8:9]
	s_lshl_b64 s[34:35], s[28:29], 6
	s_lshl_b32 s36, s30, 6
	v_mad_nc_u64_u32 v[12:13], s6, v17, s[34:35]
	s_mov_b32 s37, s3
	s_load_b96 s[28:30], s[0:1], 0x10
	v_add_nc_u64_e32 v[4:5], s[36:37], v[2:3]
	v_dual_lshlrev_b32 v2, 2, v0 :: v_dual_lshlrev_b32 v18, 2, v14
	v_dual_mov_b32 v15, v3 :: v_dual_mov_b32 v7, v3
	v_mad_u32 v11, s25, v0, v11
	s_delay_alu instid0(VALU_DEP_3)
	v_lshl_or_b32 v19, v8, 4, v2
	v_mul_u64_e32 v[0:1], s[20:21], v[4:5]
	v_mad_u32 v13, s7, v17, v13
	v_mul_u64_e32 v[4:5], s[14:15], v[4:5]
	s_cmp_eq_f32 s33, 0
	v_lshlrev_b32_e32 v37, 2, v6
	v_lshl_or_b32 v2, v17, 8, v18
	v_add_nc_u32_e32 v36, 0x400, v19
	v_add_nc_u32_e32 v38, 0x400, v16
	s_wait_xcnt 0x0
	s_cselect_b32 s1, -1, 0
	v_add_nc_u64_e32 v[8:9], s[36:37], v[10:11]
	s_lshl_b64 s[20:21], s[20:21], 4
	s_lshl_b64 s[6:7], s[6:7], 3
	v_add_nc_u64_e32 v[10:11], v[12:13], v[14:15]
	s_wait_kmcnt 0x0
	v_cmp_gt_i64_e64 s0, s[28:29], 0
	v_add_nc_u64_e32 v[12:13], s[34:35], v[6:7]
	s_lshl_b64 s[34:35], s[14:15], 4
	v_lshlrev_b64_e32 v[8:9], 1, v[8:9]
	s_lshl_b64 s[14:15], s[24:25], 3
	s_lshl_b64 s[20:21], s[20:21], 2
	v_lshlrev_b64_e32 v[10:11], 1, v[10:11]
	v_cndmask_b32_e64 v14, 0, 1, s0
	s_lshl_b64 s[16:17], s[16:17], 2
	s_delay_alu instid0(VALU_DEP_3) | instskip(NEXT) | instid1(VALU_DEP_2)
	v_lshl_add_u64 v[6:7], s[26:27], 1, v[8:9]
	v_cmp_ne_u32_e64 s0, 1, v14
	s_delay_alu instid0(VALU_DEP_4)
	v_lshl_add_u64 v[8:9], s[8:9], 1, v[10:11]
	v_lshlrev_b64_e32 v[10:11], 2, v[12:13]
	s_lshl_b64 s[8:9], s[22:23], 2
	s_lshl_b64 s[22:23], s[34:35], 2
	s_branch .LBB114_3
.LBB114_2:                              ;   in Loop: Header=BB114_3 Depth=1
	s_add_co_i32 s2, s2, 0x10000
	s_delay_alu instid0(SALU_CYCLE_1)
	s_cmp_lt_i32 s2, s31
	s_cbranch_scc0 .LBB114_10
.LBB114_3:                              ; =>This Loop Header: Depth=1
                                        ;     Child Loop BB114_5 Depth 2
	v_dual_mov_b32 v12, s2 :: v_dual_mov_b32 v29, 0
	v_dual_mov_b32 v28, 0 :: v_dual_mov_b32 v27, 0
	;; [unrolled: 1-line block ×3, first 2 shown]
	s_clause 0x1
	global_load_b64 v[20:21], v12, s[12:13] scale_offset
	global_load_b64 v[30:31], v12, s[18:19] scale_offset
	v_dual_mov_b32 v24, 0 :: v_dual_mov_b32 v23, 0
	s_wait_xcnt 0x3
	v_dual_mov_b32 v22, 0 :: v_dual_mov_b32 v19, 0
	s_wait_xcnt 0x2
	v_dual_mov_b32 v18, 0 :: v_dual_mov_b32 v17, 0
	v_dual_mov_b32 v16, 0 :: v_dual_mov_b32 v15, 0
	;; [unrolled: 1-line block ×3, first 2 shown]
	s_wait_xcnt 0x0
	v_mov_b32_e32 v12, 0
	s_and_b32 vcc_lo, exec_lo, s0
	s_cbranch_vccnz .LBB114_6
; %bb.4:                                ;   in Loop: Header=BB114_3 Depth=1
	s_lshl_b64 s[24:25], s[2:3], 3
	v_mov_b32_e32 v12, 0
	s_add_nc_u64 s[26:27], s[10:11], s[24:25]
	s_add_nc_u64 s[24:25], s[4:5], s[24:25]
	s_clause 0x1
	global_load_b64 v[28:29], v3, s[26:27]
	global_load_b64 v[34:35], v3, s[24:25]
	s_wait_xcnt 0x0
	s_mov_b64 s[24:25], 0
	v_dual_mov_b32 v13, v12 :: v_dual_mov_b32 v14, v12
	v_dual_mov_b32 v15, v12 :: v_dual_mov_b32 v16, v12
	v_dual_mov_b32 v17, v12 :: v_dual_mov_b32 v18, v12
	v_dual_mov_b32 v19, v12 :: v_dual_mov_b32 v22, v12
	v_dual_mov_b32 v23, v12 :: v_dual_mov_b32 v24, v12
	v_dual_mov_b32 v25, v12 :: v_dual_mov_b32 v26, v12
	v_mov_b32_e32 v27, v12
	s_wait_loadcnt 0x1
	v_add_nc_u64_e32 v[32:33], v[28:29], v[6:7]
	s_wait_loadcnt 0x0
	v_add_nc_u64_e32 v[34:35], v[34:35], v[8:9]
	v_dual_mov_b32 v28, v12 :: v_dual_mov_b32 v29, v12
.LBB114_5:                              ;   Parent Loop BB114_3 Depth=1
                                        ; =>  This Inner Loop Header: Depth=2
	flat_load_u16 v39, v[34:35]
	flat_load_u16 v40, v[32:33]
	s_add_nc_u64 s[24:25], s[24:25], 4
	s_wait_xcnt 0x0
	v_add_nc_u64_e32 v[32:33], s[14:15], v[32:33]
	v_cmp_lt_i64_e64 s26, s[24:25], s[28:29]
	v_add_nc_u64_e32 v[34:35], s[6:7], v[34:35]
	s_and_b32 vcc_lo, exec_lo, s26
	s_wait_loadcnt_dscnt 0x101
	v_cvt_f32_f16_e32 v39, v39
	s_wait_loadcnt_dscnt 0x0
	v_cvt_f32_f16_e32 v40, v40
	ds_store_b32 v2, v39
	ds_store_b32 v36, v40
	s_wait_dscnt 0x0
	s_barrier_signal -1
	s_barrier_wait -1
	ds_load_2addr_b32 v[56:57], v37 offset1:16
	ds_load_2addr_b32 v[58:59], v37 offset0:64 offset1:80
	ds_load_2addr_b32 v[60:61], v37 offset0:128 offset1:144
	;; [unrolled: 1-line block ×6, first 2 shown]
	ds_load_b128 v[40:43], v38
	ds_load_b128 v[44:47], v38 offset:256
	ds_load_2addr_b32 v[70:71], v37 offset0:224 offset1:240
	ds_load_b128 v[48:51], v38 offset:512
	ds_load_b128 v[52:55], v38 offset:768
	s_wait_dscnt 0x0
	s_barrier_signal -1
	s_barrier_wait -1
	v_dual_mov_b32 v72, v57 :: v_dual_mov_b32 v73, v56
	v_dual_mov_b32 v56, v59 :: v_dual_mov_b32 v57, v58
	;; [unrolled: 1-line block ×6, first 2 shown]
	v_pk_fma_f32 v[28:29], v[72:73], v[40:41], v[28:29] op_sel_hi:[1,0,1]
	v_pk_fma_f32 v[24:25], v[72:73], v[44:45], v[24:25] op_sel_hi:[1,0,1]
	s_delay_alu instid0(VALU_DEP_4)
	v_pk_fma_f32 v[26:27], v[62:63], v[40:41], v[26:27] op_sel_hi:[1,0,1]
	v_pk_fma_f32 v[18:19], v[72:73], v[48:49], v[18:19] op_sel_hi:[1,0,1]
	;; [unrolled: 1-line block ×6, first 2 shown]
	v_dual_mov_b32 v66, v69 :: v_dual_mov_b32 v67, v68
	v_pk_fma_f32 v[28:29], v[56:57], v[40:41], v[28:29] op_sel:[0,1,0]
	v_pk_fma_f32 v[26:27], v[64:65], v[40:41], v[26:27] op_sel:[0,1,0]
	;; [unrolled: 1-line block ×8, first 2 shown]
	v_dual_mov_b32 v68, v43 :: v_dual_mov_b32 v74, v71
	v_dual_mov_b32 v75, v70 :: v_dual_mov_b32 v70, v47
	;; [unrolled: 1-line block ×3, first 2 shown]
	v_pk_fma_f32 v[28:29], v[58:59], v[42:43], v[28:29] op_sel_hi:[1,0,1]
	v_pk_fma_f32 v[26:27], v[66:67], v[42:43], v[26:27] op_sel_hi:[1,0,1]
	;; [unrolled: 1-line block ×16, first 2 shown]
	s_cbranch_vccnz .LBB114_5
.LBB114_6:                              ;   in Loop: Header=BB114_3 Depth=1
	s_wait_loadcnt 0x0
	v_add_nc_u64_e32 v[30:31], s[8:9], v[30:31]
	s_and_not1_b32 vcc_lo, exec_lo, s1
	s_delay_alu instid0(VALU_DEP_1) | instskip(NEXT) | instid1(VALU_DEP_1)
	v_lshl_add_u64 v[30:31], v[0:1], 2, v[30:31]
	v_add_nc_u64_e32 v[32:33], v[30:31], v[10:11]
	v_add_nc_u64_e32 v[30:31], s[20:21], v[30:31]
	s_cbranch_vccnz .LBB114_8
; %bb.7:                                ;   in Loop: Header=BB114_3 Depth=1
	v_dual_mul_f32 v39, s30, v29 :: v_dual_mul_f32 v40, s30, v28
	s_delay_alu instid0(VALU_DEP_2)
	v_add_nc_u64_e32 v[34:35], s[20:21], v[30:31]
	v_dual_mul_f32 v41, s30, v27 :: v_dual_mul_f32 v42, s30, v26
	s_clause 0x3
	flat_store_b32 v[32:33], v39
	flat_store_b32 v[32:33], v40 offset:64
	flat_store_b32 v[32:33], v41 offset:128
	;; [unrolled: 1-line block ×3, first 2 shown]
	s_wait_xcnt 0x1
	v_add_nc_u64_e32 v[40:41], v[30:31], v[10:11]
	v_dual_mul_f32 v39, s30, v25 :: v_dual_mul_f32 v44, s30, v24
	s_wait_xcnt 0x0
	v_add_nc_u64_e32 v[42:43], v[34:35], v[10:11]
	v_add_nc_u64_e32 v[34:35], s[20:21], v[34:35]
	v_dual_mul_f32 v45, s30, v23 :: v_dual_mul_f32 v46, s30, v22
	s_clause 0x3
	flat_store_b32 v[40:41], v39
	flat_store_b32 v[40:41], v44 offset:64
	flat_store_b32 v[40:41], v45 offset:128
	;; [unrolled: 1-line block ×3, first 2 shown]
	s_wait_xcnt 0x0
	v_dual_mul_f32 v39, s30, v19 :: v_dual_mul_f32 v40, s30, v18
	v_dual_mul_f32 v41, s30, v17 :: v_dual_mul_f32 v44, s30, v16
	v_add_nc_u64_e32 v[34:35], v[34:35], v[10:11]
	s_clause 0x3
	flat_store_b32 v[42:43], v39
	flat_store_b32 v[42:43], v40 offset:64
	flat_store_b32 v[42:43], v41 offset:128
	;; [unrolled: 1-line block ×3, first 2 shown]
	s_wait_xcnt 0x2
	v_dual_mul_f32 v39, s30, v15 :: v_dual_mul_f32 v40, s30, v14
	s_wait_xcnt 0x0
	v_dual_mul_f32 v41, s30, v13 :: v_dual_mul_f32 v42, s30, v12
	s_clause 0x3
	flat_store_b32 v[34:35], v39
	flat_store_b32 v[34:35], v40 offset:64
	flat_store_b32 v[34:35], v41 offset:128
	;; [unrolled: 1-line block ×3, first 2 shown]
	s_cbranch_execnz .LBB114_2
	s_branch .LBB114_9
.LBB114_8:                              ;   in Loop: Header=BB114_3 Depth=1
.LBB114_9:                              ;   in Loop: Header=BB114_3 Depth=1
	v_add_nc_u64_e32 v[20:21], s[16:17], v[20:21]
	s_delay_alu instid0(VALU_DEP_1) | instskip(SKIP_1) | instid1(VALU_DEP_1)
	v_lshl_add_u64 v[20:21], v[4:5], 2, v[20:21]
	s_wait_xcnt 0x0
	v_add_nc_u64_e32 v[34:35], v[20:21], v[10:11]
	v_add_nc_u64_e32 v[20:21], s[22:23], v[20:21]
	flat_load_b32 v39, v[34:35]
	s_wait_loadcnt_dscnt 0x0
	v_mul_f32_e32 v39, s33, v39
	s_delay_alu instid0(VALU_DEP_1) | instskip(SKIP_4) | instid1(VALU_DEP_1)
	v_fmac_f32_e32 v39, s30, v29
	flat_store_b32 v[32:33], v39
	flat_load_b32 v29, v[34:35] offset:64
	s_wait_loadcnt_dscnt 0x0
	v_mul_f32_e32 v29, s33, v29
	v_fmac_f32_e32 v29, s30, v28
	flat_store_b32 v[32:33], v29 offset:64
	flat_load_b32 v28, v[34:35] offset:128
	s_wait_loadcnt_dscnt 0x0
	v_mul_f32_e32 v28, s33, v28
	s_delay_alu instid0(VALU_DEP_1)
	v_fmac_f32_e32 v28, s30, v27
	flat_store_b32 v[32:33], v28 offset:128
	flat_load_b32 v27, v[34:35] offset:192
	s_wait_xcnt 0x1
	v_add_nc_u64_e32 v[28:29], v[20:21], v[10:11]
	v_add_nc_u64_e32 v[20:21], s[22:23], v[20:21]
	s_wait_loadcnt_dscnt 0x0
	v_mul_f32_e32 v27, s33, v27
	s_delay_alu instid0(VALU_DEP_1)
	v_fmac_f32_e32 v27, s30, v26
	flat_store_b32 v[32:33], v27 offset:192
	flat_load_b32 v26, v[28:29]
	s_wait_loadcnt_dscnt 0x0
	s_wait_xcnt 0x1
	v_mul_f32_e32 v32, s33, v26
	v_add_nc_u64_e32 v[26:27], v[30:31], v[10:11]
	s_delay_alu instid0(VALU_DEP_2) | instskip(SKIP_4) | instid1(VALU_DEP_1)
	v_fmac_f32_e32 v32, s30, v25
	flat_store_b32 v[26:27], v32
	flat_load_b32 v25, v[28:29] offset:64
	s_wait_loadcnt_dscnt 0x0
	v_mul_f32_e32 v25, s33, v25
	v_fmac_f32_e32 v25, s30, v24
	flat_store_b32 v[26:27], v25 offset:64
	flat_load_b32 v24, v[28:29] offset:128
	s_wait_loadcnt_dscnt 0x0
	v_mul_f32_e32 v24, s33, v24
	s_delay_alu instid0(VALU_DEP_1)
	v_fmac_f32_e32 v24, s30, v23
	flat_store_b32 v[26:27], v24 offset:128
	flat_load_b32 v23, v[28:29] offset:192
	s_wait_xcnt 0x1
	v_add_nc_u64_e32 v[24:25], v[20:21], v[10:11]
	s_wait_loadcnt_dscnt 0x0
	v_mul_f32_e32 v23, s33, v23
	s_delay_alu instid0(VALU_DEP_1)
	v_fmac_f32_e32 v23, s30, v22
	flat_store_b32 v[26:27], v23 offset:192
	flat_load_b32 v26, v[24:25]
	v_add_nc_u64_e32 v[22:23], s[20:21], v[30:31]
	s_wait_loadcnt_dscnt 0x0
	v_mul_f32_e32 v28, s33, v26
	s_delay_alu instid0(VALU_DEP_2) | instskip(NEXT) | instid1(VALU_DEP_2)
	v_add_nc_u64_e32 v[26:27], v[22:23], v[10:11]
	v_fmac_f32_e32 v28, s30, v19
	flat_store_b32 v[26:27], v28
	flat_load_b32 v19, v[24:25] offset:64
	s_wait_loadcnt_dscnt 0x0
	v_mul_f32_e32 v19, s33, v19
	s_delay_alu instid0(VALU_DEP_1) | instskip(SKIP_4) | instid1(VALU_DEP_1)
	v_fmac_f32_e32 v19, s30, v18
	flat_store_b32 v[26:27], v19 offset:64
	flat_load_b32 v18, v[24:25] offset:128
	s_wait_loadcnt_dscnt 0x0
	v_mul_f32_e32 v18, s33, v18
	v_fmac_f32_e32 v18, s30, v17
	flat_store_b32 v[26:27], v18 offset:128
	flat_load_b32 v17, v[24:25] offset:192
	s_wait_xcnt 0x1
	v_add_nc_u64_e32 v[18:19], s[22:23], v[20:21]
	s_delay_alu instid0(VALU_DEP_1) | instskip(SKIP_2) | instid1(VALU_DEP_1)
	v_add_nc_u64_e32 v[18:19], v[18:19], v[10:11]
	s_wait_loadcnt_dscnt 0x0
	v_mul_f32_e32 v17, s33, v17
	v_fmac_f32_e32 v17, s30, v16
	flat_store_b32 v[26:27], v17 offset:192
	flat_load_b32 v20, v[18:19]
	s_wait_xcnt 0x1
	v_add_nc_u64_e32 v[16:17], s[20:21], v[22:23]
	s_delay_alu instid0(VALU_DEP_1) | instskip(SKIP_2) | instid1(VALU_DEP_1)
	v_add_nc_u64_e32 v[16:17], v[16:17], v[10:11]
	s_wait_loadcnt_dscnt 0x0
	v_mul_f32_e32 v20, s33, v20
	v_fmac_f32_e32 v20, s30, v15
	flat_store_b32 v[16:17], v20
	flat_load_b32 v15, v[18:19] offset:64
	s_wait_loadcnt_dscnt 0x0
	v_mul_f32_e32 v15, s33, v15
	s_delay_alu instid0(VALU_DEP_1) | instskip(SKIP_4) | instid1(VALU_DEP_1)
	v_fmac_f32_e32 v15, s30, v14
	flat_store_b32 v[16:17], v15 offset:64
	flat_load_b32 v14, v[18:19] offset:128
	s_wait_loadcnt_dscnt 0x0
	v_mul_f32_e32 v14, s33, v14
	v_fmac_f32_e32 v14, s30, v13
	flat_store_b32 v[16:17], v14 offset:128
	flat_load_b32 v13, v[18:19] offset:192
	s_wait_loadcnt_dscnt 0x0
	v_mul_f32_e32 v13, s33, v13
	s_delay_alu instid0(VALU_DEP_1)
	v_fmac_f32_e32 v13, s30, v12
	flat_store_b32 v[16:17], v13 offset:192
	s_branch .LBB114_2
.LBB114_10:
	s_sendmsg sendmsg(MSG_DEALLOC_VGPRS)
	s_endpgm
	.section	.rodata,"a",@progbits
	.p2align	6, 0x0
	.amdhsa_kernel _ZN12_GLOBAL__N_127rocblas_gemm_batched_kernelIfLi16ELi16ELi64ELi64ELi4ELi64ELi4ELi4ELi64ELc78ELc84EKPKDF16_KPKfKPfEEvlllT_PT11_llSB_llS9_PT12_llPT13_lli
		.amdhsa_group_segment_fixed_size 2048
		.amdhsa_private_segment_fixed_size 0
		.amdhsa_kernarg_size 140
		.amdhsa_user_sgpr_count 2
		.amdhsa_user_sgpr_dispatch_ptr 0
		.amdhsa_user_sgpr_queue_ptr 0
		.amdhsa_user_sgpr_kernarg_segment_ptr 1
		.amdhsa_user_sgpr_dispatch_id 0
		.amdhsa_user_sgpr_kernarg_preload_length 0
		.amdhsa_user_sgpr_kernarg_preload_offset 0
		.amdhsa_user_sgpr_private_segment_size 0
		.amdhsa_wavefront_size32 1
		.amdhsa_uses_dynamic_stack 0
		.amdhsa_enable_private_segment 0
		.amdhsa_system_sgpr_workgroup_id_x 1
		.amdhsa_system_sgpr_workgroup_id_y 1
		.amdhsa_system_sgpr_workgroup_id_z 1
		.amdhsa_system_sgpr_workgroup_info 0
		.amdhsa_system_vgpr_workitem_id 1
		.amdhsa_next_free_vgpr 80
		.amdhsa_next_free_sgpr 38
		.amdhsa_named_barrier_count 0
		.amdhsa_reserve_vcc 1
		.amdhsa_float_round_mode_32 0
		.amdhsa_float_round_mode_16_64 0
		.amdhsa_float_denorm_mode_32 3
		.amdhsa_float_denorm_mode_16_64 3
		.amdhsa_fp16_overflow 0
		.amdhsa_memory_ordered 1
		.amdhsa_forward_progress 1
		.amdhsa_inst_pref_size 19
		.amdhsa_round_robin_scheduling 0
		.amdhsa_exception_fp_ieee_invalid_op 0
		.amdhsa_exception_fp_denorm_src 0
		.amdhsa_exception_fp_ieee_div_zero 0
		.amdhsa_exception_fp_ieee_overflow 0
		.amdhsa_exception_fp_ieee_underflow 0
		.amdhsa_exception_fp_ieee_inexact 0
		.amdhsa_exception_int_div_zero 0
	.end_amdhsa_kernel
	.section	.text._ZN12_GLOBAL__N_127rocblas_gemm_batched_kernelIfLi16ELi16ELi64ELi64ELi4ELi64ELi4ELi4ELi64ELc78ELc84EKPKDF16_KPKfKPfEEvlllT_PT11_llSB_llS9_PT12_llPT13_lli,"axG",@progbits,_ZN12_GLOBAL__N_127rocblas_gemm_batched_kernelIfLi16ELi16ELi64ELi64ELi4ELi64ELi4ELi4ELi64ELc78ELc84EKPKDF16_KPKfKPfEEvlllT_PT11_llSB_llS9_PT12_llPT13_lli,comdat
.Lfunc_end114:
	.size	_ZN12_GLOBAL__N_127rocblas_gemm_batched_kernelIfLi16ELi16ELi64ELi64ELi4ELi64ELi4ELi4ELi64ELc78ELc84EKPKDF16_KPKfKPfEEvlllT_PT11_llSB_llS9_PT12_llPT13_lli, .Lfunc_end114-_ZN12_GLOBAL__N_127rocblas_gemm_batched_kernelIfLi16ELi16ELi64ELi64ELi4ELi64ELi4ELi4ELi64ELc78ELc84EKPKDF16_KPKfKPfEEvlllT_PT11_llSB_llS9_PT12_llPT13_lli
                                        ; -- End function
	.set _ZN12_GLOBAL__N_127rocblas_gemm_batched_kernelIfLi16ELi16ELi64ELi64ELi4ELi64ELi4ELi4ELi64ELc78ELc84EKPKDF16_KPKfKPfEEvlllT_PT11_llSB_llS9_PT12_llPT13_lli.num_vgpr, 80
	.set _ZN12_GLOBAL__N_127rocblas_gemm_batched_kernelIfLi16ELi16ELi64ELi64ELi4ELi64ELi4ELi4ELi64ELc78ELc84EKPKDF16_KPKfKPfEEvlllT_PT11_llSB_llS9_PT12_llPT13_lli.num_agpr, 0
	.set _ZN12_GLOBAL__N_127rocblas_gemm_batched_kernelIfLi16ELi16ELi64ELi64ELi4ELi64ELi4ELi4ELi64ELc78ELc84EKPKDF16_KPKfKPfEEvlllT_PT11_llSB_llS9_PT12_llPT13_lli.numbered_sgpr, 38
	.set _ZN12_GLOBAL__N_127rocblas_gemm_batched_kernelIfLi16ELi16ELi64ELi64ELi4ELi64ELi4ELi4ELi64ELc78ELc84EKPKDF16_KPKfKPfEEvlllT_PT11_llSB_llS9_PT12_llPT13_lli.num_named_barrier, 0
	.set _ZN12_GLOBAL__N_127rocblas_gemm_batched_kernelIfLi16ELi16ELi64ELi64ELi4ELi64ELi4ELi4ELi64ELc78ELc84EKPKDF16_KPKfKPfEEvlllT_PT11_llSB_llS9_PT12_llPT13_lli.private_seg_size, 0
	.set _ZN12_GLOBAL__N_127rocblas_gemm_batched_kernelIfLi16ELi16ELi64ELi64ELi4ELi64ELi4ELi4ELi64ELc78ELc84EKPKDF16_KPKfKPfEEvlllT_PT11_llSB_llS9_PT12_llPT13_lli.uses_vcc, 1
	.set _ZN12_GLOBAL__N_127rocblas_gemm_batched_kernelIfLi16ELi16ELi64ELi64ELi4ELi64ELi4ELi4ELi64ELc78ELc84EKPKDF16_KPKfKPfEEvlllT_PT11_llSB_llS9_PT12_llPT13_lli.uses_flat_scratch, 1
	.set _ZN12_GLOBAL__N_127rocblas_gemm_batched_kernelIfLi16ELi16ELi64ELi64ELi4ELi64ELi4ELi4ELi64ELc78ELc84EKPKDF16_KPKfKPfEEvlllT_PT11_llSB_llS9_PT12_llPT13_lli.has_dyn_sized_stack, 0
	.set _ZN12_GLOBAL__N_127rocblas_gemm_batched_kernelIfLi16ELi16ELi64ELi64ELi4ELi64ELi4ELi4ELi64ELc78ELc84EKPKDF16_KPKfKPfEEvlllT_PT11_llSB_llS9_PT12_llPT13_lli.has_recursion, 0
	.set _ZN12_GLOBAL__N_127rocblas_gemm_batched_kernelIfLi16ELi16ELi64ELi64ELi4ELi64ELi4ELi4ELi64ELc78ELc84EKPKDF16_KPKfKPfEEvlllT_PT11_llSB_llS9_PT12_llPT13_lli.has_indirect_call, 0
	.section	.AMDGPU.csdata,"",@progbits
; Kernel info:
; codeLenInByte = 2408
; TotalNumSgprs: 40
; NumVgprs: 80
; ScratchSize: 0
; MemoryBound: 0
; FloatMode: 240
; IeeeMode: 1
; LDSByteSize: 2048 bytes/workgroup (compile time only)
; SGPRBlocks: 0
; VGPRBlocks: 4
; NumSGPRsForWavesPerEU: 40
; NumVGPRsForWavesPerEU: 80
; NamedBarCnt: 0
; Occupancy: 12
; WaveLimiterHint : 1
; COMPUTE_PGM_RSRC2:SCRATCH_EN: 0
; COMPUTE_PGM_RSRC2:USER_SGPR: 2
; COMPUTE_PGM_RSRC2:TRAP_HANDLER: 0
; COMPUTE_PGM_RSRC2:TGID_X_EN: 1
; COMPUTE_PGM_RSRC2:TGID_Y_EN: 1
; COMPUTE_PGM_RSRC2:TGID_Z_EN: 1
; COMPUTE_PGM_RSRC2:TIDIG_COMP_CNT: 1
	.section	.text._ZN12_GLOBAL__N_127rocblas_gemm_batched_kernelIfLi16ELi16ELi64ELi64ELi4ELi64ELi4ELi4ELi64ELc84ELc84EKPKDF16_KPKfKPfEEvlllT_PT11_llSB_llS9_PT12_llPT13_lli,"axG",@progbits,_ZN12_GLOBAL__N_127rocblas_gemm_batched_kernelIfLi16ELi16ELi64ELi64ELi4ELi64ELi4ELi4ELi64ELc84ELc84EKPKDF16_KPKfKPfEEvlllT_PT11_llSB_llS9_PT12_llPT13_lli,comdat
	.globl	_ZN12_GLOBAL__N_127rocblas_gemm_batched_kernelIfLi16ELi16ELi64ELi64ELi4ELi64ELi4ELi4ELi64ELc84ELc84EKPKDF16_KPKfKPfEEvlllT_PT11_llSB_llS9_PT12_llPT13_lli ; -- Begin function _ZN12_GLOBAL__N_127rocblas_gemm_batched_kernelIfLi16ELi16ELi64ELi64ELi4ELi64ELi4ELi4ELi64ELc84ELc84EKPKDF16_KPKfKPfEEvlllT_PT11_llSB_llS9_PT12_llPT13_lli
	.p2align	8
	.type	_ZN12_GLOBAL__N_127rocblas_gemm_batched_kernelIfLi16ELi16ELi64ELi64ELi4ELi64ELi4ELi4ELi64ELc84ELc84EKPKDF16_KPKfKPfEEvlllT_PT11_llSB_llS9_PT12_llPT13_lli,@function
_ZN12_GLOBAL__N_127rocblas_gemm_batched_kernelIfLi16ELi16ELi64ELi64ELi4ELi64ELi4ELi4ELi64ELc84ELc84EKPKDF16_KPKfKPfEEvlllT_PT11_llSB_llS9_PT12_llPT13_lli: ; @_ZN12_GLOBAL__N_127rocblas_gemm_batched_kernelIfLi16ELi16ELi64ELi64ELi4ELi64ELi4ELi4ELi64ELc84ELc84EKPKDF16_KPKfKPfEEvlllT_PT11_llSB_llS9_PT12_llPT13_lli
; %bb.0:
	s_load_b32 s31, s[0:1], 0x88
	s_bfe_u32 s2, ttmp6, 0x40014
	s_lshr_b32 s3, ttmp7, 16
	s_add_co_i32 s2, s2, 1
	s_bfe_u32 s4, ttmp6, 0x40008
	s_mul_i32 s2, s3, s2
	s_getreg_b32 s28, hwreg(HW_REG_IB_STS2, 6, 4)
	s_add_co_i32 s4, s4, s2
	s_cmp_eq_u32 s28, 0
	s_cselect_b32 s2, s3, s4
	s_mov_b32 s3, 0
	s_wait_kmcnt 0x0
	s_cmp_ge_i32 s2, s31
	s_cbranch_scc1 .LBB115_10
; %bb.1:
	v_bfe_u32 v2, v0, 10, 10
	v_and_b32_e32 v6, 0x3ff, v0
	s_bfe_u32 s30, ttmp6, 0x4000c
	s_bfe_u32 s34, ttmp6, 0x40010
	s_clause 0x2
	s_load_b256 s[4:11], s[0:1], 0x20
	s_load_b128 s[24:27], s[0:1], 0x40
	s_load_b128 s[20:23], s[0:1], 0x78
	v_dual_mov_b32 v3, 0 :: v_dual_lshlrev_b32 v14, 4, v2
	s_and_b32 s33, ttmp7, 0xffff
	s_add_co_i32 s30, s30, 1
	s_add_co_i32 s34, s34, 1
	s_and_b32 s29, ttmp6, 15
	s_mul_i32 s30, ttmp9, s30
	s_mul_i32 s34, s33, s34
	s_bfe_u32 s35, ttmp6, 0x40004
	v_dual_add_nc_u32 v7, v14, v6 :: v_dual_bitop2_b32 v16, 3, v0 bitop3:0x40
	s_add_co_i32 s29, s29, s30
	s_add_co_i32 s35, s35, s34
	s_cmp_eq_u32 s28, 0
	s_delay_alu instid0(VALU_DEP_1)
	v_dual_lshrrev_b32 v8, 2, v7 :: v_dual_bitop2_b32 v15, 63, v7 bitop3:0x40
	s_cselect_b32 s28, ttmp9, s29
	s_cselect_b32 s30, s33, s35
	s_ashr_i32 s29, s28, 31
	s_load_b256 s[12:19], s[0:1], 0x58
	s_lshl_b64 s[34:35], s[28:29], 6
	s_delay_alu instid0(SALU_CYCLE_1)
	v_dual_mov_b32 v9, v3 :: v_dual_bitop2_b32 v0, s34, v15 bitop3:0x54
	v_mov_b32_e32 v1, s35
	s_load_b32 s33, s[0:1], 0x50
	v_add_nc_u32_e32 v39, 0x400, v14
	s_wait_kmcnt 0x0
	v_mad_nc_u64_u32 v[10:11], s24, v16, v[8:9]
	v_lshlrev_b32_e32 v9, 2, v15
	v_mul_u64_e32 v[12:13], s[6:7], v[0:1]
	s_lshl_b32 s6, s30, 6
	s_mov_b32 s7, s3
	s_load_b96 s[28:30], s[0:1], 0x10
	v_add_nc_u64_e32 v[4:5], s[6:7], v[2:3]
	v_dual_lshrrev_b32 v2, 6, v7 :: v_dual_lshlrev_b32 v7, 2, v16
	v_lshlrev_b32_e32 v38, 2, v6
	v_mad_u32 v11, s25, v16, v11
	s_delay_alu instid0(VALU_DEP_3)
	v_lshl_or_b32 v36, v2, 8, v9
	v_mul_u64_e32 v[0:1], s[20:21], v[4:5]
	v_mul_u64_e32 v[4:5], s[14:15], v[4:5]
	v_lshl_or_b32 v15, v8, 4, v7
	v_dual_mov_b32 v7, v3 :: v_dual_lshlrev_b32 v2, 1, v2
	s_cmp_eq_f32 s33, 0
	s_delay_alu instid0(VALU_DEP_2)
	v_add_nc_u32_e32 v37, 0x400, v15
	v_add_nc_u64_e32 v[8:9], s[6:7], v[10:11]
	s_wait_xcnt 0x0
	s_cselect_b32 s1, -1, 0
	v_add_nc_u64_e32 v[10:11], s[34:35], v[6:7]
	s_wait_kmcnt 0x0
	v_cmp_gt_i64_e64 s0, s[28:29], 0
	s_lshl_b64 s[6:7], s[8:9], 1
	s_lshl_b64 s[20:21], s[20:21], 4
	;; [unrolled: 1-line block ×3, first 2 shown]
	v_lshlrev_b64_e32 v[6:7], 1, v[8:9]
	s_lshl_b64 s[8:9], s[22:23], 2
	v_lshlrev_b64_e32 v[10:11], 2, v[10:11]
	s_lshl_b64 s[14:15], s[20:21], 2
	s_lshl_b64 s[16:17], s[16:17], 2
	v_lshl_add_u64 v[8:9], v[12:13], 1, s[6:7]
	v_cndmask_b32_e64 v12, 0, 1, s0
	v_lshl_add_u64 v[6:7], s[26:27], 1, v[6:7]
	s_lshl_b64 s[6:7], s[24:25], 3
	s_lshl_b64 s[20:21], s[34:35], 2
	v_add_nc_u64_e32 v[8:9], v[8:9], v[2:3]
	v_cmp_ne_u32_e64 s0, 1, v12
	s_branch .LBB115_3
.LBB115_2:                              ;   in Loop: Header=BB115_3 Depth=1
	s_add_co_i32 s2, s2, 0x10000
	s_delay_alu instid0(SALU_CYCLE_1)
	s_cmp_lt_i32 s2, s31
	s_cbranch_scc0 .LBB115_10
.LBB115_3:                              ; =>This Loop Header: Depth=1
                                        ;     Child Loop BB115_5 Depth 2
	s_wait_xcnt 0x0
	v_dual_mov_b32 v2, s2 :: v_dual_mov_b32 v29, 0
	v_dual_mov_b32 v28, 0 :: v_dual_mov_b32 v27, 0
	;; [unrolled: 1-line block ×3, first 2 shown]
	s_clause 0x1
	global_load_b64 v[20:21], v2, s[12:13] scale_offset
	global_load_b64 v[30:31], v2, s[18:19] scale_offset
	v_dual_mov_b32 v24, 0 :: v_dual_mov_b32 v23, 0
	v_dual_mov_b32 v22, 0 :: v_dual_mov_b32 v19, 0
	;; [unrolled: 1-line block ×5, first 2 shown]
	v_mov_b32_e32 v12, 0
	s_and_b32 vcc_lo, exec_lo, s0
	s_cbranch_vccnz .LBB115_6
; %bb.4:                                ;   in Loop: Header=BB115_3 Depth=1
	s_lshl_b64 s[22:23], s[2:3], 3
	v_mov_b32_e32 v12, 0
	s_add_nc_u64 s[24:25], s[10:11], s[22:23]
	s_add_nc_u64 s[22:23], s[4:5], s[22:23]
	s_clause 0x1
	global_load_b64 v[28:29], v3, s[24:25]
	global_load_b64 v[34:35], v3, s[22:23]
	s_wait_xcnt 0x0
	s_mov_b64 s[22:23], 0
	v_dual_mov_b32 v13, v12 :: v_dual_mov_b32 v14, v12
	v_dual_mov_b32 v15, v12 :: v_dual_mov_b32 v16, v12
	;; [unrolled: 1-line block ×6, first 2 shown]
	v_mov_b32_e32 v27, v12
	s_wait_loadcnt 0x1
	v_add_nc_u64_e32 v[32:33], v[28:29], v[6:7]
	s_wait_loadcnt 0x0
	v_add_nc_u64_e32 v[34:35], v[34:35], v[8:9]
	v_dual_mov_b32 v28, v12 :: v_dual_mov_b32 v29, v12
.LBB115_5:                              ;   Parent Loop BB115_3 Depth=1
                                        ; =>  This Inner Loop Header: Depth=2
	flat_load_u16 v2, v[34:35]
	flat_load_u16 v40, v[32:33]
	s_add_nc_u64 s[22:23], s[22:23], 4
	s_wait_xcnt 0x0
	v_add_nc_u64_e32 v[32:33], s[6:7], v[32:33]
	v_cmp_lt_i64_e64 s24, s[22:23], s[28:29]
	v_add_nc_u64_e32 v[34:35], 8, v[34:35]
	s_and_b32 vcc_lo, exec_lo, s24
	s_wait_loadcnt_dscnt 0x101
	v_cvt_f32_f16_e32 v2, v2
	s_wait_loadcnt_dscnt 0x0
	v_cvt_f32_f16_e32 v40, v40
	ds_store_b32 v36, v2
	ds_store_b32 v37, v40
	s_wait_dscnt 0x0
	s_barrier_signal -1
	s_barrier_wait -1
	ds_load_2addr_b32 v[56:57], v38 offset1:16
	ds_load_2addr_b32 v[58:59], v38 offset0:64 offset1:80
	ds_load_2addr_b32 v[60:61], v38 offset0:128 offset1:144
	;; [unrolled: 1-line block ×6, first 2 shown]
	ds_load_b128 v[40:43], v39
	ds_load_b128 v[44:47], v39 offset:256
	ds_load_2addr_b32 v[70:71], v38 offset0:224 offset1:240
	ds_load_b128 v[48:51], v39 offset:512
	ds_load_b128 v[52:55], v39 offset:768
	s_wait_dscnt 0x0
	s_barrier_signal -1
	s_barrier_wait -1
	v_dual_mov_b32 v72, v57 :: v_dual_mov_b32 v73, v56
	v_dual_mov_b32 v56, v59 :: v_dual_mov_b32 v57, v58
	;; [unrolled: 1-line block ×6, first 2 shown]
	v_pk_fma_f32 v[28:29], v[72:73], v[40:41], v[28:29] op_sel_hi:[1,0,1]
	v_pk_fma_f32 v[24:25], v[72:73], v[44:45], v[24:25] op_sel_hi:[1,0,1]
	s_delay_alu instid0(VALU_DEP_4)
	v_pk_fma_f32 v[26:27], v[62:63], v[40:41], v[26:27] op_sel_hi:[1,0,1]
	v_pk_fma_f32 v[18:19], v[72:73], v[48:49], v[18:19] op_sel_hi:[1,0,1]
	;; [unrolled: 1-line block ×6, first 2 shown]
	v_dual_mov_b32 v66, v69 :: v_dual_mov_b32 v67, v68
	v_pk_fma_f32 v[28:29], v[56:57], v[40:41], v[28:29] op_sel:[0,1,0]
	v_pk_fma_f32 v[26:27], v[64:65], v[40:41], v[26:27] op_sel:[0,1,0]
	;; [unrolled: 1-line block ×8, first 2 shown]
	v_dual_mov_b32 v2, v43 :: v_dual_mov_b32 v68, v71
	v_dual_mov_b32 v69, v70 :: v_dual_mov_b32 v70, v47
	;; [unrolled: 1-line block ×3, first 2 shown]
	v_pk_fma_f32 v[28:29], v[58:59], v[42:43], v[28:29] op_sel_hi:[1,0,1]
	v_pk_fma_f32 v[26:27], v[66:67], v[42:43], v[26:27] op_sel_hi:[1,0,1]
	v_pk_fma_f32 v[24:25], v[58:59], v[46:47], v[24:25] op_sel_hi:[1,0,1]
	v_pk_fma_f32 v[22:23], v[66:67], v[46:47], v[22:23] op_sel_hi:[1,0,1]
	v_pk_fma_f32 v[18:19], v[58:59], v[50:51], v[18:19] op_sel_hi:[1,0,1]
	v_pk_fma_f32 v[16:17], v[66:67], v[50:51], v[16:17] op_sel_hi:[1,0,1]
	v_pk_fma_f32 v[14:15], v[58:59], v[54:55], v[14:15] op_sel_hi:[1,0,1]
	v_pk_fma_f32 v[12:13], v[66:67], v[54:55], v[12:13] op_sel_hi:[1,0,1]
	v_pk_fma_f32 v[28:29], v[60:61], v[2:3], v[28:29] op_sel_hi:[1,0,1]
	v_pk_fma_f32 v[26:27], v[68:69], v[2:3], v[26:27] op_sel_hi:[1,0,1]
	v_pk_fma_f32 v[24:25], v[60:61], v[70:71], v[24:25] op_sel_hi:[1,0,1]
	v_pk_fma_f32 v[22:23], v[68:69], v[70:71], v[22:23] op_sel_hi:[1,0,1]
	v_pk_fma_f32 v[18:19], v[60:61], v[74:75], v[18:19] op_sel_hi:[1,0,1]
	v_pk_fma_f32 v[16:17], v[68:69], v[74:75], v[16:17] op_sel_hi:[1,0,1]
	v_pk_fma_f32 v[14:15], v[60:61], v[76:77], v[14:15] op_sel_hi:[1,0,1]
	v_pk_fma_f32 v[12:13], v[68:69], v[76:77], v[12:13] op_sel_hi:[1,0,1]
	s_cbranch_vccnz .LBB115_5
.LBB115_6:                              ;   in Loop: Header=BB115_3 Depth=1
	s_wait_loadcnt 0x0
	v_add_nc_u64_e32 v[30:31], s[8:9], v[30:31]
	s_and_not1_b32 vcc_lo, exec_lo, s1
	s_delay_alu instid0(VALU_DEP_1) | instskip(NEXT) | instid1(VALU_DEP_1)
	v_lshl_add_u64 v[30:31], v[0:1], 2, v[30:31]
	v_add_nc_u64_e32 v[32:33], v[30:31], v[10:11]
	v_add_nc_u64_e32 v[30:31], s[14:15], v[30:31]
	s_cbranch_vccnz .LBB115_8
; %bb.7:                                ;   in Loop: Header=BB115_3 Depth=1
	s_wait_xcnt 0x0
	v_dual_mul_f32 v2, s30, v29 :: v_dual_mul_f32 v40, s30, v28
	s_delay_alu instid0(VALU_DEP_2)
	v_add_nc_u64_e32 v[34:35], s[14:15], v[30:31]
	v_dual_mul_f32 v41, s30, v27 :: v_dual_mul_f32 v42, s30, v26
	s_clause 0x3
	flat_store_b32 v[32:33], v2
	flat_store_b32 v[32:33], v40 offset:64
	flat_store_b32 v[32:33], v41 offset:128
	;; [unrolled: 1-line block ×3, first 2 shown]
	s_wait_xcnt 0x1
	v_add_nc_u64_e32 v[40:41], v[30:31], v[10:11]
	v_dual_mul_f32 v2, s30, v25 :: v_dual_mul_f32 v44, s30, v24
	s_wait_xcnt 0x0
	v_add_nc_u64_e32 v[42:43], v[34:35], v[10:11]
	v_add_nc_u64_e32 v[34:35], s[14:15], v[34:35]
	v_dual_mul_f32 v45, s30, v23 :: v_dual_mul_f32 v46, s30, v22
	s_clause 0x3
	flat_store_b32 v[40:41], v2
	flat_store_b32 v[40:41], v44 offset:64
	flat_store_b32 v[40:41], v45 offset:128
	;; [unrolled: 1-line block ×3, first 2 shown]
	s_wait_xcnt 0x0
	v_dual_mul_f32 v2, s30, v19 :: v_dual_mul_f32 v40, s30, v18
	v_dual_mul_f32 v41, s30, v17 :: v_dual_mul_f32 v44, s30, v16
	v_add_nc_u64_e32 v[34:35], v[34:35], v[10:11]
	s_clause 0x3
	flat_store_b32 v[42:43], v2
	flat_store_b32 v[42:43], v40 offset:64
	flat_store_b32 v[42:43], v41 offset:128
	;; [unrolled: 1-line block ×3, first 2 shown]
	s_wait_xcnt 0x2
	v_dual_mul_f32 v2, s30, v15 :: v_dual_mul_f32 v40, s30, v14
	s_wait_xcnt 0x0
	v_dual_mul_f32 v41, s30, v13 :: v_dual_mul_f32 v42, s30, v12
	s_clause 0x3
	flat_store_b32 v[34:35], v2
	flat_store_b32 v[34:35], v40 offset:64
	flat_store_b32 v[34:35], v41 offset:128
	;; [unrolled: 1-line block ×3, first 2 shown]
	s_cbranch_execnz .LBB115_2
	s_branch .LBB115_9
.LBB115_8:                              ;   in Loop: Header=BB115_3 Depth=1
.LBB115_9:                              ;   in Loop: Header=BB115_3 Depth=1
	v_add_nc_u64_e32 v[20:21], s[16:17], v[20:21]
	s_delay_alu instid0(VALU_DEP_1) | instskip(SKIP_1) | instid1(VALU_DEP_1)
	v_lshl_add_u64 v[20:21], v[4:5], 2, v[20:21]
	s_wait_xcnt 0x0
	v_add_nc_u64_e32 v[34:35], v[20:21], v[10:11]
	v_add_nc_u64_e32 v[20:21], s[20:21], v[20:21]
	flat_load_b32 v2, v[34:35]
	s_wait_loadcnt_dscnt 0x0
	v_mul_f32_e32 v2, s33, v2
	s_delay_alu instid0(VALU_DEP_1) | instskip(SKIP_4) | instid1(VALU_DEP_1)
	v_fmac_f32_e32 v2, s30, v29
	flat_store_b32 v[32:33], v2
	flat_load_b32 v2, v[34:35] offset:64
	s_wait_loadcnt_dscnt 0x0
	v_mul_f32_e32 v2, s33, v2
	v_fmac_f32_e32 v2, s30, v28
	v_add_nc_u64_e32 v[28:29], v[20:21], v[10:11]
	v_add_nc_u64_e32 v[20:21], s[20:21], v[20:21]
	flat_store_b32 v[32:33], v2 offset:64
	flat_load_b32 v2, v[34:35] offset:128
	s_wait_loadcnt_dscnt 0x0
	v_mul_f32_e32 v2, s33, v2
	s_delay_alu instid0(VALU_DEP_1) | instskip(SKIP_4) | instid1(VALU_DEP_1)
	v_fmac_f32_e32 v2, s30, v27
	flat_store_b32 v[32:33], v2 offset:128
	flat_load_b32 v2, v[34:35] offset:192
	s_wait_loadcnt_dscnt 0x0
	v_mul_f32_e32 v2, s33, v2
	v_fmac_f32_e32 v2, s30, v26
	v_add_nc_u64_e32 v[26:27], v[30:31], v[10:11]
	flat_store_b32 v[32:33], v2 offset:192
	flat_load_b32 v2, v[28:29]
	s_wait_loadcnt_dscnt 0x0
	v_mul_f32_e32 v2, s33, v2
	s_delay_alu instid0(VALU_DEP_1) | instskip(SKIP_4) | instid1(VALU_DEP_1)
	v_fmac_f32_e32 v2, s30, v25
	flat_store_b32 v[26:27], v2
	flat_load_b32 v2, v[28:29] offset:64
	s_wait_loadcnt_dscnt 0x0
	v_mul_f32_e32 v2, s33, v2
	v_fmac_f32_e32 v2, s30, v24
	v_add_nc_u64_e32 v[24:25], v[20:21], v[10:11]
	flat_store_b32 v[26:27], v2 offset:64
	flat_load_b32 v2, v[28:29] offset:128
	s_wait_loadcnt_dscnt 0x0
	v_mul_f32_e32 v2, s33, v2
	s_delay_alu instid0(VALU_DEP_1) | instskip(SKIP_4) | instid1(VALU_DEP_1)
	v_fmac_f32_e32 v2, s30, v23
	flat_store_b32 v[26:27], v2 offset:128
	flat_load_b32 v2, v[28:29] offset:192
	s_wait_loadcnt_dscnt 0x0
	v_mul_f32_e32 v2, s33, v2
	v_fmac_f32_e32 v2, s30, v22
	v_add_nc_u64_e32 v[22:23], s[14:15], v[30:31]
	flat_store_b32 v[26:27], v2 offset:192
	flat_load_b32 v2, v[24:25]
	v_add_nc_u64_e32 v[26:27], v[22:23], v[10:11]
	s_wait_loadcnt_dscnt 0x0
	v_mul_f32_e32 v2, s33, v2
	s_delay_alu instid0(VALU_DEP_1) | instskip(SKIP_4) | instid1(VALU_DEP_1)
	v_fmac_f32_e32 v2, s30, v19
	flat_store_b32 v[26:27], v2
	flat_load_b32 v2, v[24:25] offset:64
	s_wait_loadcnt_dscnt 0x0
	v_mul_f32_e32 v2, s33, v2
	v_fmac_f32_e32 v2, s30, v18
	v_add_nc_u64_e32 v[18:19], s[20:21], v[20:21]
	flat_store_b32 v[26:27], v2 offset:64
	flat_load_b32 v2, v[24:25] offset:128
	v_add_nc_u64_e32 v[18:19], v[18:19], v[10:11]
	s_wait_loadcnt_dscnt 0x0
	v_mul_f32_e32 v2, s33, v2
	s_delay_alu instid0(VALU_DEP_1) | instskip(SKIP_4) | instid1(VALU_DEP_1)
	v_fmac_f32_e32 v2, s30, v17
	flat_store_b32 v[26:27], v2 offset:128
	flat_load_b32 v2, v[24:25] offset:192
	s_wait_loadcnt_dscnt 0x0
	v_mul_f32_e32 v2, s33, v2
	v_fmac_f32_e32 v2, s30, v16
	v_add_nc_u64_e32 v[16:17], s[14:15], v[22:23]
	flat_store_b32 v[26:27], v2 offset:192
	flat_load_b32 v2, v[18:19]
	v_add_nc_u64_e32 v[16:17], v[16:17], v[10:11]
	s_wait_loadcnt_dscnt 0x0
	v_mul_f32_e32 v2, s33, v2
	s_delay_alu instid0(VALU_DEP_1) | instskip(SKIP_4) | instid1(VALU_DEP_1)
	v_fmac_f32_e32 v2, s30, v15
	flat_store_b32 v[16:17], v2
	flat_load_b32 v2, v[18:19] offset:64
	s_wait_loadcnt_dscnt 0x0
	v_mul_f32_e32 v2, s33, v2
	v_fmac_f32_e32 v2, s30, v14
	flat_store_b32 v[16:17], v2 offset:64
	flat_load_b32 v2, v[18:19] offset:128
	s_wait_loadcnt_dscnt 0x0
	v_mul_f32_e32 v2, s33, v2
	s_delay_alu instid0(VALU_DEP_1) | instskip(SKIP_4) | instid1(VALU_DEP_1)
	v_fmac_f32_e32 v2, s30, v13
	flat_store_b32 v[16:17], v2 offset:128
	flat_load_b32 v2, v[18:19] offset:192
	s_wait_loadcnt_dscnt 0x0
	v_mul_f32_e32 v2, s33, v2
	v_fmac_f32_e32 v2, s30, v12
	flat_store_b32 v[16:17], v2 offset:192
	s_branch .LBB115_2
.LBB115_10:
	s_sendmsg sendmsg(MSG_DEALLOC_VGPRS)
	s_endpgm
	.section	.rodata,"a",@progbits
	.p2align	6, 0x0
	.amdhsa_kernel _ZN12_GLOBAL__N_127rocblas_gemm_batched_kernelIfLi16ELi16ELi64ELi64ELi4ELi64ELi4ELi4ELi64ELc84ELc84EKPKDF16_KPKfKPfEEvlllT_PT11_llSB_llS9_PT12_llPT13_lli
		.amdhsa_group_segment_fixed_size 2048
		.amdhsa_private_segment_fixed_size 0
		.amdhsa_kernarg_size 140
		.amdhsa_user_sgpr_count 2
		.amdhsa_user_sgpr_dispatch_ptr 0
		.amdhsa_user_sgpr_queue_ptr 0
		.amdhsa_user_sgpr_kernarg_segment_ptr 1
		.amdhsa_user_sgpr_dispatch_id 0
		.amdhsa_user_sgpr_kernarg_preload_length 0
		.amdhsa_user_sgpr_kernarg_preload_offset 0
		.amdhsa_user_sgpr_private_segment_size 0
		.amdhsa_wavefront_size32 1
		.amdhsa_uses_dynamic_stack 0
		.amdhsa_enable_private_segment 0
		.amdhsa_system_sgpr_workgroup_id_x 1
		.amdhsa_system_sgpr_workgroup_id_y 1
		.amdhsa_system_sgpr_workgroup_id_z 1
		.amdhsa_system_sgpr_workgroup_info 0
		.amdhsa_system_vgpr_workitem_id 1
		.amdhsa_next_free_vgpr 78
		.amdhsa_next_free_sgpr 36
		.amdhsa_named_barrier_count 0
		.amdhsa_reserve_vcc 1
		.amdhsa_float_round_mode_32 0
		.amdhsa_float_round_mode_16_64 0
		.amdhsa_float_denorm_mode_32 3
		.amdhsa_float_denorm_mode_16_64 3
		.amdhsa_fp16_overflow 0
		.amdhsa_memory_ordered 1
		.amdhsa_forward_progress 1
		.amdhsa_inst_pref_size 19
		.amdhsa_round_robin_scheduling 0
		.amdhsa_exception_fp_ieee_invalid_op 0
		.amdhsa_exception_fp_denorm_src 0
		.amdhsa_exception_fp_ieee_div_zero 0
		.amdhsa_exception_fp_ieee_overflow 0
		.amdhsa_exception_fp_ieee_underflow 0
		.amdhsa_exception_fp_ieee_inexact 0
		.amdhsa_exception_int_div_zero 0
	.end_amdhsa_kernel
	.section	.text._ZN12_GLOBAL__N_127rocblas_gemm_batched_kernelIfLi16ELi16ELi64ELi64ELi4ELi64ELi4ELi4ELi64ELc84ELc84EKPKDF16_KPKfKPfEEvlllT_PT11_llSB_llS9_PT12_llPT13_lli,"axG",@progbits,_ZN12_GLOBAL__N_127rocblas_gemm_batched_kernelIfLi16ELi16ELi64ELi64ELi4ELi64ELi4ELi4ELi64ELc84ELc84EKPKDF16_KPKfKPfEEvlllT_PT11_llSB_llS9_PT12_llPT13_lli,comdat
.Lfunc_end115:
	.size	_ZN12_GLOBAL__N_127rocblas_gemm_batched_kernelIfLi16ELi16ELi64ELi64ELi4ELi64ELi4ELi4ELi64ELc84ELc84EKPKDF16_KPKfKPfEEvlllT_PT11_llSB_llS9_PT12_llPT13_lli, .Lfunc_end115-_ZN12_GLOBAL__N_127rocblas_gemm_batched_kernelIfLi16ELi16ELi64ELi64ELi4ELi64ELi4ELi4ELi64ELc84ELc84EKPKDF16_KPKfKPfEEvlllT_PT11_llSB_llS9_PT12_llPT13_lli
                                        ; -- End function
	.set _ZN12_GLOBAL__N_127rocblas_gemm_batched_kernelIfLi16ELi16ELi64ELi64ELi4ELi64ELi4ELi4ELi64ELc84ELc84EKPKDF16_KPKfKPfEEvlllT_PT11_llSB_llS9_PT12_llPT13_lli.num_vgpr, 78
	.set _ZN12_GLOBAL__N_127rocblas_gemm_batched_kernelIfLi16ELi16ELi64ELi64ELi4ELi64ELi4ELi4ELi64ELc84ELc84EKPKDF16_KPKfKPfEEvlllT_PT11_llSB_llS9_PT12_llPT13_lli.num_agpr, 0
	.set _ZN12_GLOBAL__N_127rocblas_gemm_batched_kernelIfLi16ELi16ELi64ELi64ELi4ELi64ELi4ELi4ELi64ELc84ELc84EKPKDF16_KPKfKPfEEvlllT_PT11_llSB_llS9_PT12_llPT13_lli.numbered_sgpr, 36
	.set _ZN12_GLOBAL__N_127rocblas_gemm_batched_kernelIfLi16ELi16ELi64ELi64ELi4ELi64ELi4ELi4ELi64ELc84ELc84EKPKDF16_KPKfKPfEEvlllT_PT11_llSB_llS9_PT12_llPT13_lli.num_named_barrier, 0
	.set _ZN12_GLOBAL__N_127rocblas_gemm_batched_kernelIfLi16ELi16ELi64ELi64ELi4ELi64ELi4ELi4ELi64ELc84ELc84EKPKDF16_KPKfKPfEEvlllT_PT11_llSB_llS9_PT12_llPT13_lli.private_seg_size, 0
	.set _ZN12_GLOBAL__N_127rocblas_gemm_batched_kernelIfLi16ELi16ELi64ELi64ELi4ELi64ELi4ELi4ELi64ELc84ELc84EKPKDF16_KPKfKPfEEvlllT_PT11_llSB_llS9_PT12_llPT13_lli.uses_vcc, 1
	.set _ZN12_GLOBAL__N_127rocblas_gemm_batched_kernelIfLi16ELi16ELi64ELi64ELi4ELi64ELi4ELi4ELi64ELc84ELc84EKPKDF16_KPKfKPfEEvlllT_PT11_llSB_llS9_PT12_llPT13_lli.uses_flat_scratch, 1
	.set _ZN12_GLOBAL__N_127rocblas_gemm_batched_kernelIfLi16ELi16ELi64ELi64ELi4ELi64ELi4ELi4ELi64ELc84ELc84EKPKDF16_KPKfKPfEEvlllT_PT11_llSB_llS9_PT12_llPT13_lli.has_dyn_sized_stack, 0
	.set _ZN12_GLOBAL__N_127rocblas_gemm_batched_kernelIfLi16ELi16ELi64ELi64ELi4ELi64ELi4ELi4ELi64ELc84ELc84EKPKDF16_KPKfKPfEEvlllT_PT11_llSB_llS9_PT12_llPT13_lli.has_recursion, 0
	.set _ZN12_GLOBAL__N_127rocblas_gemm_batched_kernelIfLi16ELi16ELi64ELi64ELi4ELi64ELi4ELi4ELi64ELc84ELc84EKPKDF16_KPKfKPfEEvlllT_PT11_llSB_llS9_PT12_llPT13_lli.has_indirect_call, 0
	.section	.AMDGPU.csdata,"",@progbits
; Kernel info:
; codeLenInByte = 2376
; TotalNumSgprs: 38
; NumVgprs: 78
; ScratchSize: 0
; MemoryBound: 0
; FloatMode: 240
; IeeeMode: 1
; LDSByteSize: 2048 bytes/workgroup (compile time only)
; SGPRBlocks: 0
; VGPRBlocks: 4
; NumSGPRsForWavesPerEU: 38
; NumVGPRsForWavesPerEU: 78
; NamedBarCnt: 0
; Occupancy: 12
; WaveLimiterHint : 1
; COMPUTE_PGM_RSRC2:SCRATCH_EN: 0
; COMPUTE_PGM_RSRC2:USER_SGPR: 2
; COMPUTE_PGM_RSRC2:TRAP_HANDLER: 0
; COMPUTE_PGM_RSRC2:TGID_X_EN: 1
; COMPUTE_PGM_RSRC2:TGID_Y_EN: 1
; COMPUTE_PGM_RSRC2:TGID_Z_EN: 1
; COMPUTE_PGM_RSRC2:TIDIG_COMP_CNT: 1
	.section	.text._ZN12_GLOBAL__N_127rocblas_gemm_batched_kernelIfLi16ELi16ELi64ELi64ELi4ELi64ELi4ELi4ELi64ELc67ELc67EKPKDF16_KPKfKPfEEvlllT_PT11_llSB_llS9_PT12_llPT13_lli,"axG",@progbits,_ZN12_GLOBAL__N_127rocblas_gemm_batched_kernelIfLi16ELi16ELi64ELi64ELi4ELi64ELi4ELi4ELi64ELc67ELc67EKPKDF16_KPKfKPfEEvlllT_PT11_llSB_llS9_PT12_llPT13_lli,comdat
	.globl	_ZN12_GLOBAL__N_127rocblas_gemm_batched_kernelIfLi16ELi16ELi64ELi64ELi4ELi64ELi4ELi4ELi64ELc67ELc67EKPKDF16_KPKfKPfEEvlllT_PT11_llSB_llS9_PT12_llPT13_lli ; -- Begin function _ZN12_GLOBAL__N_127rocblas_gemm_batched_kernelIfLi16ELi16ELi64ELi64ELi4ELi64ELi4ELi4ELi64ELc67ELc67EKPKDF16_KPKfKPfEEvlllT_PT11_llSB_llS9_PT12_llPT13_lli
	.p2align	8
	.type	_ZN12_GLOBAL__N_127rocblas_gemm_batched_kernelIfLi16ELi16ELi64ELi64ELi4ELi64ELi4ELi4ELi64ELc67ELc67EKPKDF16_KPKfKPfEEvlllT_PT11_llSB_llS9_PT12_llPT13_lli,@function
_ZN12_GLOBAL__N_127rocblas_gemm_batched_kernelIfLi16ELi16ELi64ELi64ELi4ELi64ELi4ELi4ELi64ELc67ELc67EKPKDF16_KPKfKPfEEvlllT_PT11_llSB_llS9_PT12_llPT13_lli: ; @_ZN12_GLOBAL__N_127rocblas_gemm_batched_kernelIfLi16ELi16ELi64ELi64ELi4ELi64ELi4ELi4ELi64ELc67ELc67EKPKDF16_KPKfKPfEEvlllT_PT11_llSB_llS9_PT12_llPT13_lli
; %bb.0:
	s_load_b32 s31, s[0:1], 0x88
	s_bfe_u32 s2, ttmp6, 0x40014
	s_lshr_b32 s3, ttmp7, 16
	s_add_co_i32 s2, s2, 1
	s_bfe_u32 s4, ttmp6, 0x40008
	s_mul_i32 s2, s3, s2
	s_getreg_b32 s28, hwreg(HW_REG_IB_STS2, 6, 4)
	s_add_co_i32 s4, s4, s2
	s_cmp_eq_u32 s28, 0
	s_cselect_b32 s2, s3, s4
	s_mov_b32 s3, 0
	s_wait_kmcnt 0x0
	s_cmp_ge_i32 s2, s31
	s_cbranch_scc1 .LBB116_10
; %bb.1:
	v_bfe_u32 v2, v0, 10, 10
	v_and_b32_e32 v6, 0x3ff, v0
	s_bfe_u32 s30, ttmp6, 0x4000c
	s_bfe_u32 s34, ttmp6, 0x40010
	s_clause 0x2
	s_load_b256 s[4:11], s[0:1], 0x20
	s_load_b128 s[24:27], s[0:1], 0x40
	s_load_b128 s[20:23], s[0:1], 0x78
	v_dual_mov_b32 v3, 0 :: v_dual_lshlrev_b32 v14, 4, v2
	s_and_b32 s33, ttmp7, 0xffff
	s_add_co_i32 s30, s30, 1
	s_add_co_i32 s34, s34, 1
	s_and_b32 s29, ttmp6, 15
	s_mul_i32 s30, ttmp9, s30
	s_mul_i32 s34, s33, s34
	s_bfe_u32 s35, ttmp6, 0x40004
	v_dual_add_nc_u32 v7, v14, v6 :: v_dual_bitop2_b32 v16, 3, v0 bitop3:0x40
	s_add_co_i32 s29, s29, s30
	s_add_co_i32 s35, s35, s34
	s_cmp_eq_u32 s28, 0
	s_delay_alu instid0(VALU_DEP_1)
	v_dual_lshrrev_b32 v8, 2, v7 :: v_dual_bitop2_b32 v15, 63, v7 bitop3:0x40
	s_cselect_b32 s28, ttmp9, s29
	s_cselect_b32 s30, s33, s35
	s_ashr_i32 s29, s28, 31
	s_load_b256 s[12:19], s[0:1], 0x58
	s_lshl_b64 s[34:35], s[28:29], 6
	s_delay_alu instid0(SALU_CYCLE_1)
	v_dual_mov_b32 v9, v3 :: v_dual_bitop2_b32 v0, s34, v15 bitop3:0x54
	v_mov_b32_e32 v1, s35
	s_load_b32 s33, s[0:1], 0x50
	v_add_nc_u32_e32 v39, 0x400, v14
	s_wait_kmcnt 0x0
	v_mad_nc_u64_u32 v[10:11], s24, v16, v[8:9]
	v_lshlrev_b32_e32 v9, 2, v15
	v_mul_u64_e32 v[12:13], s[6:7], v[0:1]
	s_lshl_b32 s6, s30, 6
	s_mov_b32 s7, s3
	s_load_b96 s[28:30], s[0:1], 0x10
	v_add_nc_u64_e32 v[4:5], s[6:7], v[2:3]
	v_dual_lshrrev_b32 v2, 6, v7 :: v_dual_lshlrev_b32 v7, 2, v16
	v_lshlrev_b32_e32 v38, 2, v6
	v_mad_u32 v11, s25, v16, v11
	s_delay_alu instid0(VALU_DEP_3)
	v_lshl_or_b32 v36, v2, 8, v9
	v_mul_u64_e32 v[0:1], s[20:21], v[4:5]
	v_mul_u64_e32 v[4:5], s[14:15], v[4:5]
	v_lshl_or_b32 v15, v8, 4, v7
	v_dual_mov_b32 v7, v3 :: v_dual_lshlrev_b32 v2, 1, v2
	s_cmp_eq_f32 s33, 0
	s_delay_alu instid0(VALU_DEP_2)
	v_add_nc_u32_e32 v37, 0x400, v15
	v_add_nc_u64_e32 v[8:9], s[6:7], v[10:11]
	s_wait_xcnt 0x0
	s_cselect_b32 s1, -1, 0
	v_add_nc_u64_e32 v[10:11], s[34:35], v[6:7]
	s_wait_kmcnt 0x0
	v_cmp_gt_i64_e64 s0, s[28:29], 0
	s_lshl_b64 s[6:7], s[8:9], 1
	s_lshl_b64 s[20:21], s[20:21], 4
	;; [unrolled: 1-line block ×3, first 2 shown]
	v_lshlrev_b64_e32 v[6:7], 1, v[8:9]
	s_lshl_b64 s[8:9], s[22:23], 2
	v_lshlrev_b64_e32 v[10:11], 2, v[10:11]
	s_lshl_b64 s[14:15], s[20:21], 2
	s_lshl_b64 s[16:17], s[16:17], 2
	v_lshl_add_u64 v[8:9], v[12:13], 1, s[6:7]
	v_cndmask_b32_e64 v12, 0, 1, s0
	v_lshl_add_u64 v[6:7], s[26:27], 1, v[6:7]
	s_lshl_b64 s[6:7], s[24:25], 3
	s_lshl_b64 s[20:21], s[34:35], 2
	v_add_nc_u64_e32 v[8:9], v[8:9], v[2:3]
	v_cmp_ne_u32_e64 s0, 1, v12
	s_branch .LBB116_3
.LBB116_2:                              ;   in Loop: Header=BB116_3 Depth=1
	s_add_co_i32 s2, s2, 0x10000
	s_delay_alu instid0(SALU_CYCLE_1)
	s_cmp_lt_i32 s2, s31
	s_cbranch_scc0 .LBB116_10
.LBB116_3:                              ; =>This Loop Header: Depth=1
                                        ;     Child Loop BB116_5 Depth 2
	s_wait_xcnt 0x0
	v_dual_mov_b32 v2, s2 :: v_dual_mov_b32 v29, 0
	v_dual_mov_b32 v28, 0 :: v_dual_mov_b32 v27, 0
	;; [unrolled: 1-line block ×3, first 2 shown]
	s_clause 0x1
	global_load_b64 v[20:21], v2, s[12:13] scale_offset
	global_load_b64 v[30:31], v2, s[18:19] scale_offset
	v_dual_mov_b32 v24, 0 :: v_dual_mov_b32 v23, 0
	v_dual_mov_b32 v22, 0 :: v_dual_mov_b32 v19, 0
	;; [unrolled: 1-line block ×5, first 2 shown]
	v_mov_b32_e32 v12, 0
	s_and_b32 vcc_lo, exec_lo, s0
	s_cbranch_vccnz .LBB116_6
; %bb.4:                                ;   in Loop: Header=BB116_3 Depth=1
	s_lshl_b64 s[22:23], s[2:3], 3
	v_mov_b32_e32 v12, 0
	s_add_nc_u64 s[24:25], s[10:11], s[22:23]
	s_add_nc_u64 s[22:23], s[4:5], s[22:23]
	s_clause 0x1
	global_load_b64 v[28:29], v3, s[24:25]
	global_load_b64 v[34:35], v3, s[22:23]
	s_wait_xcnt 0x0
	s_mov_b64 s[22:23], 0
	v_dual_mov_b32 v13, v12 :: v_dual_mov_b32 v14, v12
	v_dual_mov_b32 v15, v12 :: v_dual_mov_b32 v16, v12
	;; [unrolled: 1-line block ×6, first 2 shown]
	v_mov_b32_e32 v27, v12
	s_wait_loadcnt 0x1
	v_add_nc_u64_e32 v[32:33], v[28:29], v[6:7]
	s_wait_loadcnt 0x0
	v_add_nc_u64_e32 v[34:35], v[34:35], v[8:9]
	v_dual_mov_b32 v28, v12 :: v_dual_mov_b32 v29, v12
.LBB116_5:                              ;   Parent Loop BB116_3 Depth=1
                                        ; =>  This Inner Loop Header: Depth=2
	flat_load_u16 v2, v[34:35]
	flat_load_u16 v40, v[32:33]
	s_add_nc_u64 s[22:23], s[22:23], 4
	s_wait_xcnt 0x0
	v_add_nc_u64_e32 v[32:33], s[6:7], v[32:33]
	v_cmp_lt_i64_e64 s24, s[22:23], s[28:29]
	v_add_nc_u64_e32 v[34:35], 8, v[34:35]
	s_and_b32 vcc_lo, exec_lo, s24
	s_wait_loadcnt_dscnt 0x101
	v_cvt_f32_f16_e32 v2, v2
	s_wait_loadcnt_dscnt 0x0
	v_cvt_f32_f16_e32 v40, v40
	ds_store_b32 v36, v2
	ds_store_b32 v37, v40
	s_wait_dscnt 0x0
	s_barrier_signal -1
	s_barrier_wait -1
	ds_load_2addr_b32 v[56:57], v38 offset1:16
	ds_load_2addr_b32 v[58:59], v38 offset0:64 offset1:80
	ds_load_2addr_b32 v[60:61], v38 offset0:128 offset1:144
	;; [unrolled: 1-line block ×6, first 2 shown]
	ds_load_b128 v[40:43], v39
	ds_load_b128 v[44:47], v39 offset:256
	ds_load_2addr_b32 v[70:71], v38 offset0:224 offset1:240
	ds_load_b128 v[48:51], v39 offset:512
	ds_load_b128 v[52:55], v39 offset:768
	s_wait_dscnt 0x0
	s_barrier_signal -1
	s_barrier_wait -1
	v_dual_mov_b32 v72, v57 :: v_dual_mov_b32 v73, v56
	v_dual_mov_b32 v56, v59 :: v_dual_mov_b32 v57, v58
	;; [unrolled: 1-line block ×6, first 2 shown]
	v_pk_fma_f32 v[28:29], v[72:73], v[40:41], v[28:29] op_sel_hi:[1,0,1]
	v_pk_fma_f32 v[24:25], v[72:73], v[44:45], v[24:25] op_sel_hi:[1,0,1]
	s_delay_alu instid0(VALU_DEP_4)
	v_pk_fma_f32 v[26:27], v[62:63], v[40:41], v[26:27] op_sel_hi:[1,0,1]
	v_pk_fma_f32 v[18:19], v[72:73], v[48:49], v[18:19] op_sel_hi:[1,0,1]
	;; [unrolled: 1-line block ×6, first 2 shown]
	v_dual_mov_b32 v66, v69 :: v_dual_mov_b32 v67, v68
	v_pk_fma_f32 v[28:29], v[56:57], v[40:41], v[28:29] op_sel:[0,1,0]
	v_pk_fma_f32 v[26:27], v[64:65], v[40:41], v[26:27] op_sel:[0,1,0]
	;; [unrolled: 1-line block ×8, first 2 shown]
	v_dual_mov_b32 v2, v43 :: v_dual_mov_b32 v68, v71
	v_dual_mov_b32 v69, v70 :: v_dual_mov_b32 v70, v47
	;; [unrolled: 1-line block ×3, first 2 shown]
	v_pk_fma_f32 v[28:29], v[58:59], v[42:43], v[28:29] op_sel_hi:[1,0,1]
	v_pk_fma_f32 v[26:27], v[66:67], v[42:43], v[26:27] op_sel_hi:[1,0,1]
	;; [unrolled: 1-line block ×16, first 2 shown]
	s_cbranch_vccnz .LBB116_5
.LBB116_6:                              ;   in Loop: Header=BB116_3 Depth=1
	s_wait_loadcnt 0x0
	v_add_nc_u64_e32 v[30:31], s[8:9], v[30:31]
	s_and_not1_b32 vcc_lo, exec_lo, s1
	s_delay_alu instid0(VALU_DEP_1) | instskip(NEXT) | instid1(VALU_DEP_1)
	v_lshl_add_u64 v[30:31], v[0:1], 2, v[30:31]
	v_add_nc_u64_e32 v[32:33], v[30:31], v[10:11]
	v_add_nc_u64_e32 v[30:31], s[14:15], v[30:31]
	s_cbranch_vccnz .LBB116_8
; %bb.7:                                ;   in Loop: Header=BB116_3 Depth=1
	s_wait_xcnt 0x0
	v_dual_mul_f32 v2, s30, v29 :: v_dual_mul_f32 v40, s30, v28
	s_delay_alu instid0(VALU_DEP_2)
	v_add_nc_u64_e32 v[34:35], s[14:15], v[30:31]
	v_dual_mul_f32 v41, s30, v27 :: v_dual_mul_f32 v42, s30, v26
	s_clause 0x3
	flat_store_b32 v[32:33], v2
	flat_store_b32 v[32:33], v40 offset:64
	flat_store_b32 v[32:33], v41 offset:128
	;; [unrolled: 1-line block ×3, first 2 shown]
	s_wait_xcnt 0x1
	v_add_nc_u64_e32 v[40:41], v[30:31], v[10:11]
	v_dual_mul_f32 v2, s30, v25 :: v_dual_mul_f32 v44, s30, v24
	s_wait_xcnt 0x0
	v_add_nc_u64_e32 v[42:43], v[34:35], v[10:11]
	v_add_nc_u64_e32 v[34:35], s[14:15], v[34:35]
	v_dual_mul_f32 v45, s30, v23 :: v_dual_mul_f32 v46, s30, v22
	s_clause 0x3
	flat_store_b32 v[40:41], v2
	flat_store_b32 v[40:41], v44 offset:64
	flat_store_b32 v[40:41], v45 offset:128
	;; [unrolled: 1-line block ×3, first 2 shown]
	s_wait_xcnt 0x0
	v_dual_mul_f32 v2, s30, v19 :: v_dual_mul_f32 v40, s30, v18
	v_dual_mul_f32 v41, s30, v17 :: v_dual_mul_f32 v44, s30, v16
	v_add_nc_u64_e32 v[34:35], v[34:35], v[10:11]
	s_clause 0x3
	flat_store_b32 v[42:43], v2
	flat_store_b32 v[42:43], v40 offset:64
	flat_store_b32 v[42:43], v41 offset:128
	;; [unrolled: 1-line block ×3, first 2 shown]
	s_wait_xcnt 0x2
	v_dual_mul_f32 v2, s30, v15 :: v_dual_mul_f32 v40, s30, v14
	s_wait_xcnt 0x0
	v_dual_mul_f32 v41, s30, v13 :: v_dual_mul_f32 v42, s30, v12
	s_clause 0x3
	flat_store_b32 v[34:35], v2
	flat_store_b32 v[34:35], v40 offset:64
	flat_store_b32 v[34:35], v41 offset:128
	;; [unrolled: 1-line block ×3, first 2 shown]
	s_cbranch_execnz .LBB116_2
	s_branch .LBB116_9
.LBB116_8:                              ;   in Loop: Header=BB116_3 Depth=1
.LBB116_9:                              ;   in Loop: Header=BB116_3 Depth=1
	v_add_nc_u64_e32 v[20:21], s[16:17], v[20:21]
	s_delay_alu instid0(VALU_DEP_1) | instskip(SKIP_1) | instid1(VALU_DEP_1)
	v_lshl_add_u64 v[20:21], v[4:5], 2, v[20:21]
	s_wait_xcnt 0x0
	v_add_nc_u64_e32 v[34:35], v[20:21], v[10:11]
	v_add_nc_u64_e32 v[20:21], s[20:21], v[20:21]
	flat_load_b32 v2, v[34:35]
	s_wait_loadcnt_dscnt 0x0
	v_mul_f32_e32 v2, s33, v2
	s_delay_alu instid0(VALU_DEP_1) | instskip(SKIP_4) | instid1(VALU_DEP_1)
	v_fmac_f32_e32 v2, s30, v29
	flat_store_b32 v[32:33], v2
	flat_load_b32 v2, v[34:35] offset:64
	s_wait_loadcnt_dscnt 0x0
	v_mul_f32_e32 v2, s33, v2
	v_fmac_f32_e32 v2, s30, v28
	v_add_nc_u64_e32 v[28:29], v[20:21], v[10:11]
	v_add_nc_u64_e32 v[20:21], s[20:21], v[20:21]
	flat_store_b32 v[32:33], v2 offset:64
	flat_load_b32 v2, v[34:35] offset:128
	s_wait_loadcnt_dscnt 0x0
	v_mul_f32_e32 v2, s33, v2
	s_delay_alu instid0(VALU_DEP_1) | instskip(SKIP_4) | instid1(VALU_DEP_1)
	v_fmac_f32_e32 v2, s30, v27
	flat_store_b32 v[32:33], v2 offset:128
	flat_load_b32 v2, v[34:35] offset:192
	s_wait_loadcnt_dscnt 0x0
	v_mul_f32_e32 v2, s33, v2
	v_fmac_f32_e32 v2, s30, v26
	v_add_nc_u64_e32 v[26:27], v[30:31], v[10:11]
	flat_store_b32 v[32:33], v2 offset:192
	flat_load_b32 v2, v[28:29]
	s_wait_loadcnt_dscnt 0x0
	v_mul_f32_e32 v2, s33, v2
	s_delay_alu instid0(VALU_DEP_1) | instskip(SKIP_4) | instid1(VALU_DEP_1)
	v_fmac_f32_e32 v2, s30, v25
	flat_store_b32 v[26:27], v2
	flat_load_b32 v2, v[28:29] offset:64
	s_wait_loadcnt_dscnt 0x0
	v_mul_f32_e32 v2, s33, v2
	v_fmac_f32_e32 v2, s30, v24
	v_add_nc_u64_e32 v[24:25], v[20:21], v[10:11]
	flat_store_b32 v[26:27], v2 offset:64
	flat_load_b32 v2, v[28:29] offset:128
	s_wait_loadcnt_dscnt 0x0
	v_mul_f32_e32 v2, s33, v2
	s_delay_alu instid0(VALU_DEP_1) | instskip(SKIP_4) | instid1(VALU_DEP_1)
	v_fmac_f32_e32 v2, s30, v23
	flat_store_b32 v[26:27], v2 offset:128
	flat_load_b32 v2, v[28:29] offset:192
	s_wait_loadcnt_dscnt 0x0
	v_mul_f32_e32 v2, s33, v2
	v_fmac_f32_e32 v2, s30, v22
	v_add_nc_u64_e32 v[22:23], s[14:15], v[30:31]
	flat_store_b32 v[26:27], v2 offset:192
	flat_load_b32 v2, v[24:25]
	v_add_nc_u64_e32 v[26:27], v[22:23], v[10:11]
	s_wait_loadcnt_dscnt 0x0
	v_mul_f32_e32 v2, s33, v2
	s_delay_alu instid0(VALU_DEP_1) | instskip(SKIP_4) | instid1(VALU_DEP_1)
	v_fmac_f32_e32 v2, s30, v19
	flat_store_b32 v[26:27], v2
	flat_load_b32 v2, v[24:25] offset:64
	s_wait_loadcnt_dscnt 0x0
	v_mul_f32_e32 v2, s33, v2
	v_fmac_f32_e32 v2, s30, v18
	v_add_nc_u64_e32 v[18:19], s[20:21], v[20:21]
	flat_store_b32 v[26:27], v2 offset:64
	flat_load_b32 v2, v[24:25] offset:128
	v_add_nc_u64_e32 v[18:19], v[18:19], v[10:11]
	s_wait_loadcnt_dscnt 0x0
	v_mul_f32_e32 v2, s33, v2
	s_delay_alu instid0(VALU_DEP_1) | instskip(SKIP_4) | instid1(VALU_DEP_1)
	v_fmac_f32_e32 v2, s30, v17
	flat_store_b32 v[26:27], v2 offset:128
	flat_load_b32 v2, v[24:25] offset:192
	s_wait_loadcnt_dscnt 0x0
	v_mul_f32_e32 v2, s33, v2
	v_fmac_f32_e32 v2, s30, v16
	v_add_nc_u64_e32 v[16:17], s[14:15], v[22:23]
	flat_store_b32 v[26:27], v2 offset:192
	flat_load_b32 v2, v[18:19]
	v_add_nc_u64_e32 v[16:17], v[16:17], v[10:11]
	s_wait_loadcnt_dscnt 0x0
	v_mul_f32_e32 v2, s33, v2
	s_delay_alu instid0(VALU_DEP_1) | instskip(SKIP_4) | instid1(VALU_DEP_1)
	v_fmac_f32_e32 v2, s30, v15
	flat_store_b32 v[16:17], v2
	flat_load_b32 v2, v[18:19] offset:64
	s_wait_loadcnt_dscnt 0x0
	v_mul_f32_e32 v2, s33, v2
	v_fmac_f32_e32 v2, s30, v14
	flat_store_b32 v[16:17], v2 offset:64
	flat_load_b32 v2, v[18:19] offset:128
	s_wait_loadcnt_dscnt 0x0
	v_mul_f32_e32 v2, s33, v2
	s_delay_alu instid0(VALU_DEP_1) | instskip(SKIP_4) | instid1(VALU_DEP_1)
	v_fmac_f32_e32 v2, s30, v13
	flat_store_b32 v[16:17], v2 offset:128
	flat_load_b32 v2, v[18:19] offset:192
	s_wait_loadcnt_dscnt 0x0
	v_mul_f32_e32 v2, s33, v2
	v_fmac_f32_e32 v2, s30, v12
	flat_store_b32 v[16:17], v2 offset:192
	s_branch .LBB116_2
.LBB116_10:
	s_sendmsg sendmsg(MSG_DEALLOC_VGPRS)
	s_endpgm
	.section	.rodata,"a",@progbits
	.p2align	6, 0x0
	.amdhsa_kernel _ZN12_GLOBAL__N_127rocblas_gemm_batched_kernelIfLi16ELi16ELi64ELi64ELi4ELi64ELi4ELi4ELi64ELc67ELc67EKPKDF16_KPKfKPfEEvlllT_PT11_llSB_llS9_PT12_llPT13_lli
		.amdhsa_group_segment_fixed_size 2048
		.amdhsa_private_segment_fixed_size 0
		.amdhsa_kernarg_size 140
		.amdhsa_user_sgpr_count 2
		.amdhsa_user_sgpr_dispatch_ptr 0
		.amdhsa_user_sgpr_queue_ptr 0
		.amdhsa_user_sgpr_kernarg_segment_ptr 1
		.amdhsa_user_sgpr_dispatch_id 0
		.amdhsa_user_sgpr_kernarg_preload_length 0
		.amdhsa_user_sgpr_kernarg_preload_offset 0
		.amdhsa_user_sgpr_private_segment_size 0
		.amdhsa_wavefront_size32 1
		.amdhsa_uses_dynamic_stack 0
		.amdhsa_enable_private_segment 0
		.amdhsa_system_sgpr_workgroup_id_x 1
		.amdhsa_system_sgpr_workgroup_id_y 1
		.amdhsa_system_sgpr_workgroup_id_z 1
		.amdhsa_system_sgpr_workgroup_info 0
		.amdhsa_system_vgpr_workitem_id 1
		.amdhsa_next_free_vgpr 78
		.amdhsa_next_free_sgpr 36
		.amdhsa_named_barrier_count 0
		.amdhsa_reserve_vcc 1
		.amdhsa_float_round_mode_32 0
		.amdhsa_float_round_mode_16_64 0
		.amdhsa_float_denorm_mode_32 3
		.amdhsa_float_denorm_mode_16_64 3
		.amdhsa_fp16_overflow 0
		.amdhsa_memory_ordered 1
		.amdhsa_forward_progress 1
		.amdhsa_inst_pref_size 19
		.amdhsa_round_robin_scheduling 0
		.amdhsa_exception_fp_ieee_invalid_op 0
		.amdhsa_exception_fp_denorm_src 0
		.amdhsa_exception_fp_ieee_div_zero 0
		.amdhsa_exception_fp_ieee_overflow 0
		.amdhsa_exception_fp_ieee_underflow 0
		.amdhsa_exception_fp_ieee_inexact 0
		.amdhsa_exception_int_div_zero 0
	.end_amdhsa_kernel
	.section	.text._ZN12_GLOBAL__N_127rocblas_gemm_batched_kernelIfLi16ELi16ELi64ELi64ELi4ELi64ELi4ELi4ELi64ELc67ELc67EKPKDF16_KPKfKPfEEvlllT_PT11_llSB_llS9_PT12_llPT13_lli,"axG",@progbits,_ZN12_GLOBAL__N_127rocblas_gemm_batched_kernelIfLi16ELi16ELi64ELi64ELi4ELi64ELi4ELi4ELi64ELc67ELc67EKPKDF16_KPKfKPfEEvlllT_PT11_llSB_llS9_PT12_llPT13_lli,comdat
.Lfunc_end116:
	.size	_ZN12_GLOBAL__N_127rocblas_gemm_batched_kernelIfLi16ELi16ELi64ELi64ELi4ELi64ELi4ELi4ELi64ELc67ELc67EKPKDF16_KPKfKPfEEvlllT_PT11_llSB_llS9_PT12_llPT13_lli, .Lfunc_end116-_ZN12_GLOBAL__N_127rocblas_gemm_batched_kernelIfLi16ELi16ELi64ELi64ELi4ELi64ELi4ELi4ELi64ELc67ELc67EKPKDF16_KPKfKPfEEvlllT_PT11_llSB_llS9_PT12_llPT13_lli
                                        ; -- End function
	.set _ZN12_GLOBAL__N_127rocblas_gemm_batched_kernelIfLi16ELi16ELi64ELi64ELi4ELi64ELi4ELi4ELi64ELc67ELc67EKPKDF16_KPKfKPfEEvlllT_PT11_llSB_llS9_PT12_llPT13_lli.num_vgpr, 78
	.set _ZN12_GLOBAL__N_127rocblas_gemm_batched_kernelIfLi16ELi16ELi64ELi64ELi4ELi64ELi4ELi4ELi64ELc67ELc67EKPKDF16_KPKfKPfEEvlllT_PT11_llSB_llS9_PT12_llPT13_lli.num_agpr, 0
	.set _ZN12_GLOBAL__N_127rocblas_gemm_batched_kernelIfLi16ELi16ELi64ELi64ELi4ELi64ELi4ELi4ELi64ELc67ELc67EKPKDF16_KPKfKPfEEvlllT_PT11_llSB_llS9_PT12_llPT13_lli.numbered_sgpr, 36
	.set _ZN12_GLOBAL__N_127rocblas_gemm_batched_kernelIfLi16ELi16ELi64ELi64ELi4ELi64ELi4ELi4ELi64ELc67ELc67EKPKDF16_KPKfKPfEEvlllT_PT11_llSB_llS9_PT12_llPT13_lli.num_named_barrier, 0
	.set _ZN12_GLOBAL__N_127rocblas_gemm_batched_kernelIfLi16ELi16ELi64ELi64ELi4ELi64ELi4ELi4ELi64ELc67ELc67EKPKDF16_KPKfKPfEEvlllT_PT11_llSB_llS9_PT12_llPT13_lli.private_seg_size, 0
	.set _ZN12_GLOBAL__N_127rocblas_gemm_batched_kernelIfLi16ELi16ELi64ELi64ELi4ELi64ELi4ELi4ELi64ELc67ELc67EKPKDF16_KPKfKPfEEvlllT_PT11_llSB_llS9_PT12_llPT13_lli.uses_vcc, 1
	.set _ZN12_GLOBAL__N_127rocblas_gemm_batched_kernelIfLi16ELi16ELi64ELi64ELi4ELi64ELi4ELi4ELi64ELc67ELc67EKPKDF16_KPKfKPfEEvlllT_PT11_llSB_llS9_PT12_llPT13_lli.uses_flat_scratch, 1
	.set _ZN12_GLOBAL__N_127rocblas_gemm_batched_kernelIfLi16ELi16ELi64ELi64ELi4ELi64ELi4ELi4ELi64ELc67ELc67EKPKDF16_KPKfKPfEEvlllT_PT11_llSB_llS9_PT12_llPT13_lli.has_dyn_sized_stack, 0
	.set _ZN12_GLOBAL__N_127rocblas_gemm_batched_kernelIfLi16ELi16ELi64ELi64ELi4ELi64ELi4ELi4ELi64ELc67ELc67EKPKDF16_KPKfKPfEEvlllT_PT11_llSB_llS9_PT12_llPT13_lli.has_recursion, 0
	.set _ZN12_GLOBAL__N_127rocblas_gemm_batched_kernelIfLi16ELi16ELi64ELi64ELi4ELi64ELi4ELi4ELi64ELc67ELc67EKPKDF16_KPKfKPfEEvlllT_PT11_llSB_llS9_PT12_llPT13_lli.has_indirect_call, 0
	.section	.AMDGPU.csdata,"",@progbits
; Kernel info:
; codeLenInByte = 2376
; TotalNumSgprs: 38
; NumVgprs: 78
; ScratchSize: 0
; MemoryBound: 0
; FloatMode: 240
; IeeeMode: 1
; LDSByteSize: 2048 bytes/workgroup (compile time only)
; SGPRBlocks: 0
; VGPRBlocks: 4
; NumSGPRsForWavesPerEU: 38
; NumVGPRsForWavesPerEU: 78
; NamedBarCnt: 0
; Occupancy: 12
; WaveLimiterHint : 1
; COMPUTE_PGM_RSRC2:SCRATCH_EN: 0
; COMPUTE_PGM_RSRC2:USER_SGPR: 2
; COMPUTE_PGM_RSRC2:TRAP_HANDLER: 0
; COMPUTE_PGM_RSRC2:TGID_X_EN: 1
; COMPUTE_PGM_RSRC2:TGID_Y_EN: 1
; COMPUTE_PGM_RSRC2:TGID_Z_EN: 1
; COMPUTE_PGM_RSRC2:TIDIG_COMP_CNT: 1
	.section	.text._ZN12_GLOBAL__N_127rocblas_gemm_batched_kernelIfLi16ELi16ELi64ELi64ELi4ELi64ELi4ELi4ELi64ELc67ELc78EKPKDF16_KPKfKPfEEvlllT_PT11_llSB_llS9_PT12_llPT13_lli,"axG",@progbits,_ZN12_GLOBAL__N_127rocblas_gemm_batched_kernelIfLi16ELi16ELi64ELi64ELi4ELi64ELi4ELi4ELi64ELc67ELc78EKPKDF16_KPKfKPfEEvlllT_PT11_llSB_llS9_PT12_llPT13_lli,comdat
	.globl	_ZN12_GLOBAL__N_127rocblas_gemm_batched_kernelIfLi16ELi16ELi64ELi64ELi4ELi64ELi4ELi4ELi64ELc67ELc78EKPKDF16_KPKfKPfEEvlllT_PT11_llSB_llS9_PT12_llPT13_lli ; -- Begin function _ZN12_GLOBAL__N_127rocblas_gemm_batched_kernelIfLi16ELi16ELi64ELi64ELi4ELi64ELi4ELi4ELi64ELc67ELc78EKPKDF16_KPKfKPfEEvlllT_PT11_llSB_llS9_PT12_llPT13_lli
	.p2align	8
	.type	_ZN12_GLOBAL__N_127rocblas_gemm_batched_kernelIfLi16ELi16ELi64ELi64ELi4ELi64ELi4ELi4ELi64ELc67ELc78EKPKDF16_KPKfKPfEEvlllT_PT11_llSB_llS9_PT12_llPT13_lli,@function
_ZN12_GLOBAL__N_127rocblas_gemm_batched_kernelIfLi16ELi16ELi64ELi64ELi4ELi64ELi4ELi4ELi64ELc67ELc78EKPKDF16_KPKfKPfEEvlllT_PT11_llSB_llS9_PT12_llPT13_lli: ; @_ZN12_GLOBAL__N_127rocblas_gemm_batched_kernelIfLi16ELi16ELi64ELi64ELi4ELi64ELi4ELi4ELi64ELc67ELc78EKPKDF16_KPKfKPfEEvlllT_PT11_llSB_llS9_PT12_llPT13_lli
; %bb.0:
	s_load_b32 s31, s[0:1], 0x88
	s_bfe_u32 s2, ttmp6, 0x40014
	s_lshr_b32 s3, ttmp7, 16
	s_add_co_i32 s2, s2, 1
	s_bfe_u32 s4, ttmp6, 0x40008
	s_mul_i32 s2, s3, s2
	s_getreg_b32 s12, hwreg(HW_REG_IB_STS2, 6, 4)
	s_add_co_i32 s4, s4, s2
	s_cmp_eq_u32 s12, 0
	s_cselect_b32 s2, s3, s4
	s_mov_b32 s3, 0
	s_wait_kmcnt 0x0
	s_cmp_ge_i32 s2, s31
	s_cbranch_scc1 .LBB117_10
; %bb.1:
	v_bfe_u32 v2, v0, 10, 10
	v_and_b32_e32 v6, 0x3ff, v0
	s_bfe_u32 s14, ttmp6, 0x4000c
	s_bfe_u32 s16, ttmp6, 0x40010
	s_clause 0x2
	s_load_b256 s[4:11], s[0:1], 0x20
	s_load_b128 s[20:23], s[0:1], 0x40
	s_load_b32 s33, s[0:1], 0x50
	v_dual_mov_b32 v3, 0 :: v_dual_lshlrev_b32 v14, 4, v2
	s_and_b32 s15, ttmp7, 0xffff
	s_add_co_i32 s14, s14, 1
	s_add_co_i32 s16, s16, 1
	s_delay_alu instid0(VALU_DEP_1)
	v_dual_add_nc_u32 v15, v14, v6 :: v_dual_mov_b32 v9, v3
	s_and_b32 s13, ttmp6, 15
	s_mul_i32 s14, ttmp9, s14
	s_mul_i32 s16, s15, s16
	s_bfe_u32 s17, ttmp6, 0x40004
	s_add_co_i32 s13, s13, s14
	s_add_co_i32 s17, s17, s16
	s_cmp_eq_u32 s12, 0
	v_dual_lshrrev_b32 v8, 2, v15 :: v_dual_bitop2_b32 v16, 63, v15 bitop3:0x40
	s_cselect_b32 s14, s15, s17
	s_cselect_b32 s12, ttmp9, s13
	s_lshl_b32 s28, s14, 6
	s_mov_b32 s29, s3
	s_ashr_i32 s13, s12, 31
	v_add_nc_u64_e32 v[4:5], s[28:29], v[8:9]
	s_load_b128 s[24:27], s[0:1], 0x78
	s_lshl_b64 s[34:35], s[12:13], 6
	s_load_b256 s[12:19], s[0:1], 0x58
	v_dual_mov_b32 v11, s35 :: v_dual_bitop2_b32 v10, s34, v16 bitop3:0x54
	s_wait_kmcnt 0x0
	s_cmp_eq_f32 s33, 0
	v_mul_u64_e32 v[12:13], s[20:21], v[4:5]
	v_add_nc_u64_e32 v[4:5], s[28:29], v[2:3]
	s_load_b96 s[28:30], s[0:1], 0x10
	v_mul_u64_e32 v[10:11], s[6:7], v[10:11]
	v_dual_mov_b32 v7, v3 :: v_dual_bitop2_b32 v2, 3, v0 bitop3:0x40
	s_wait_xcnt 0x0
	s_cselect_b32 s1, -1, 0
	s_lshl_b64 s[6:7], s[22:23], 1
	v_dual_lshlrev_b32 v36, 2, v6 :: v_dual_lshrrev_b32 v17, 6, v15
	v_dual_lshlrev_b32 v9, 2, v2 :: v_dual_lshlrev_b32 v2, 1, v2
	v_add_nc_u32_e32 v37, 0x400, v14
	v_add_nc_u64_e32 v[14:15], s[34:35], v[6:7]
	v_mul_u64_e32 v[0:1], s[24:25], v[4:5]
	v_lshlrev_b32_e32 v16, 2, v16
	v_mul_u64_e32 v[4:5], s[14:15], v[4:5]
	v_lshl_or_b32 v18, v8, 4, v9
	s_lshl_b64 s[20:21], s[14:15], 4
	s_lshl_b64 s[14:15], s[16:17], 2
	;; [unrolled: 1-line block ×3, first 2 shown]
	s_wait_kmcnt 0x0
	v_cmp_gt_i64_e64 s0, s[28:29], 0
	v_add_nc_u32_e32 v39, 0x400, v18
	v_lshl_add_u64 v[6:7], v[12:13], 1, s[6:7]
	s_lshl_b64 s[6:7], s[8:9], 1
	v_cndmask_b32_e64 v12, 0, 1, s0
	v_lshl_add_u64 v[8:9], v[10:11], 1, s[6:7]
	v_lshlrev_b64_e32 v[10:11], 2, v[14:15]
	v_add_nc_u64_e32 v[6:7], v[6:7], v[2:3]
	v_lshlrev_b32_e32 v2, 1, v17
	v_lshl_or_b32 v38, v17, 8, v16
	v_cmp_ne_u32_e64 s0, 1, v12
	s_lshl_b64 s[8:9], s[24:25], 4
	s_lshl_b64 s[6:7], s[26:27], 2
	v_add_nc_u64_e32 v[8:9], v[8:9], v[2:3]
	s_lshl_b64 s[8:9], s[8:9], 2
	s_branch .LBB117_3
.LBB117_2:                              ;   in Loop: Header=BB117_3 Depth=1
	s_add_co_i32 s2, s2, 0x10000
	s_delay_alu instid0(SALU_CYCLE_1)
	s_cmp_lt_i32 s2, s31
	s_cbranch_scc0 .LBB117_10
.LBB117_3:                              ; =>This Loop Header: Depth=1
                                        ;     Child Loop BB117_5 Depth 2
	s_wait_xcnt 0x0
	v_dual_mov_b32 v2, s2 :: v_dual_mov_b32 v29, 0
	v_dual_mov_b32 v28, 0 :: v_dual_mov_b32 v27, 0
	;; [unrolled: 1-line block ×3, first 2 shown]
	s_clause 0x1
	global_load_b64 v[20:21], v2, s[12:13] scale_offset
	global_load_b64 v[30:31], v2, s[18:19] scale_offset
	v_dual_mov_b32 v24, 0 :: v_dual_mov_b32 v23, 0
	v_dual_mov_b32 v22, 0 :: v_dual_mov_b32 v19, 0
	;; [unrolled: 1-line block ×5, first 2 shown]
	v_mov_b32_e32 v12, 0
	s_and_b32 vcc_lo, exec_lo, s0
	s_cbranch_vccnz .LBB117_6
; %bb.4:                                ;   in Loop: Header=BB117_3 Depth=1
	s_lshl_b64 s[20:21], s[2:3], 3
	v_mov_b32_e32 v12, 0
	s_add_nc_u64 s[22:23], s[10:11], s[20:21]
	s_add_nc_u64 s[20:21], s[4:5], s[20:21]
	s_clause 0x1
	global_load_b64 v[28:29], v3, s[22:23]
	global_load_b64 v[34:35], v3, s[20:21]
	s_wait_xcnt 0x0
	s_mov_b64 s[20:21], 0
	v_dual_mov_b32 v13, v12 :: v_dual_mov_b32 v14, v12
	v_dual_mov_b32 v15, v12 :: v_dual_mov_b32 v16, v12
	;; [unrolled: 1-line block ×6, first 2 shown]
	v_mov_b32_e32 v27, v12
	s_wait_loadcnt 0x1
	v_add_nc_u64_e32 v[32:33], v[28:29], v[6:7]
	s_wait_loadcnt 0x0
	v_add_nc_u64_e32 v[34:35], v[34:35], v[8:9]
	v_dual_mov_b32 v28, v12 :: v_dual_mov_b32 v29, v12
.LBB117_5:                              ;   Parent Loop BB117_3 Depth=1
                                        ; =>  This Inner Loop Header: Depth=2
	flat_load_u16 v2, v[34:35]
	flat_load_u16 v40, v[32:33]
	s_add_nc_u64 s[20:21], s[20:21], 4
	s_wait_xcnt 0x0
	v_add_nc_u64_e32 v[32:33], 8, v[32:33]
	v_cmp_lt_i64_e64 s22, s[20:21], s[28:29]
	v_add_nc_u64_e32 v[34:35], 8, v[34:35]
	s_and_b32 vcc_lo, exec_lo, s22
	s_wait_loadcnt_dscnt 0x101
	v_cvt_f32_f16_e32 v2, v2
	s_wait_loadcnt_dscnt 0x0
	v_cvt_f32_f16_e32 v40, v40
	ds_store_b32 v38, v2
	ds_store_b32 v39, v40
	s_wait_dscnt 0x0
	s_barrier_signal -1
	s_barrier_wait -1
	ds_load_2addr_b32 v[56:57], v36 offset1:16
	ds_load_2addr_b32 v[58:59], v36 offset0:64 offset1:80
	ds_load_2addr_b32 v[60:61], v36 offset0:128 offset1:144
	;; [unrolled: 1-line block ×6, first 2 shown]
	ds_load_b128 v[40:43], v37
	ds_load_b128 v[44:47], v37 offset:256
	ds_load_2addr_b32 v[70:71], v36 offset0:224 offset1:240
	ds_load_b128 v[48:51], v37 offset:512
	ds_load_b128 v[52:55], v37 offset:768
	s_wait_dscnt 0x0
	s_barrier_signal -1
	s_barrier_wait -1
	v_dual_mov_b32 v72, v57 :: v_dual_mov_b32 v73, v56
	v_dual_mov_b32 v56, v59 :: v_dual_mov_b32 v57, v58
	;; [unrolled: 1-line block ×6, first 2 shown]
	v_pk_fma_f32 v[28:29], v[72:73], v[40:41], v[28:29] op_sel_hi:[1,0,1]
	v_pk_fma_f32 v[24:25], v[72:73], v[44:45], v[24:25] op_sel_hi:[1,0,1]
	s_delay_alu instid0(VALU_DEP_4)
	v_pk_fma_f32 v[26:27], v[62:63], v[40:41], v[26:27] op_sel_hi:[1,0,1]
	v_pk_fma_f32 v[18:19], v[72:73], v[48:49], v[18:19] op_sel_hi:[1,0,1]
	;; [unrolled: 1-line block ×6, first 2 shown]
	v_dual_mov_b32 v66, v69 :: v_dual_mov_b32 v67, v68
	v_pk_fma_f32 v[28:29], v[56:57], v[40:41], v[28:29] op_sel:[0,1,0]
	v_pk_fma_f32 v[26:27], v[64:65], v[40:41], v[26:27] op_sel:[0,1,0]
	;; [unrolled: 1-line block ×8, first 2 shown]
	v_dual_mov_b32 v2, v43 :: v_dual_mov_b32 v68, v71
	v_dual_mov_b32 v69, v70 :: v_dual_mov_b32 v70, v47
	;; [unrolled: 1-line block ×3, first 2 shown]
	v_pk_fma_f32 v[28:29], v[58:59], v[42:43], v[28:29] op_sel_hi:[1,0,1]
	v_pk_fma_f32 v[26:27], v[66:67], v[42:43], v[26:27] op_sel_hi:[1,0,1]
	;; [unrolled: 1-line block ×16, first 2 shown]
	s_cbranch_vccnz .LBB117_5
.LBB117_6:                              ;   in Loop: Header=BB117_3 Depth=1
	s_wait_loadcnt 0x0
	v_add_nc_u64_e32 v[30:31], s[6:7], v[30:31]
	s_and_not1_b32 vcc_lo, exec_lo, s1
	s_delay_alu instid0(VALU_DEP_1) | instskip(NEXT) | instid1(VALU_DEP_1)
	v_lshl_add_u64 v[30:31], v[0:1], 2, v[30:31]
	v_add_nc_u64_e32 v[32:33], v[30:31], v[10:11]
	v_add_nc_u64_e32 v[30:31], s[8:9], v[30:31]
	s_cbranch_vccnz .LBB117_8
; %bb.7:                                ;   in Loop: Header=BB117_3 Depth=1
	s_wait_xcnt 0x0
	v_dual_mul_f32 v2, s30, v29 :: v_dual_mul_f32 v40, s30, v28
	s_delay_alu instid0(VALU_DEP_2)
	v_add_nc_u64_e32 v[34:35], s[8:9], v[30:31]
	v_dual_mul_f32 v41, s30, v27 :: v_dual_mul_f32 v42, s30, v26
	s_clause 0x3
	flat_store_b32 v[32:33], v2
	flat_store_b32 v[32:33], v40 offset:64
	flat_store_b32 v[32:33], v41 offset:128
	;; [unrolled: 1-line block ×3, first 2 shown]
	s_wait_xcnt 0x1
	v_add_nc_u64_e32 v[40:41], v[30:31], v[10:11]
	v_dual_mul_f32 v2, s30, v25 :: v_dual_mul_f32 v44, s30, v24
	s_wait_xcnt 0x0
	v_add_nc_u64_e32 v[42:43], v[34:35], v[10:11]
	v_add_nc_u64_e32 v[34:35], s[8:9], v[34:35]
	v_dual_mul_f32 v45, s30, v23 :: v_dual_mul_f32 v46, s30, v22
	s_clause 0x3
	flat_store_b32 v[40:41], v2
	flat_store_b32 v[40:41], v44 offset:64
	flat_store_b32 v[40:41], v45 offset:128
	;; [unrolled: 1-line block ×3, first 2 shown]
	s_wait_xcnt 0x0
	v_dual_mul_f32 v2, s30, v19 :: v_dual_mul_f32 v40, s30, v18
	v_dual_mul_f32 v41, s30, v17 :: v_dual_mul_f32 v44, s30, v16
	v_add_nc_u64_e32 v[34:35], v[34:35], v[10:11]
	s_clause 0x3
	flat_store_b32 v[42:43], v2
	flat_store_b32 v[42:43], v40 offset:64
	flat_store_b32 v[42:43], v41 offset:128
	flat_store_b32 v[42:43], v44 offset:192
	s_wait_xcnt 0x2
	v_dual_mul_f32 v2, s30, v15 :: v_dual_mul_f32 v40, s30, v14
	s_wait_xcnt 0x0
	v_dual_mul_f32 v41, s30, v13 :: v_dual_mul_f32 v42, s30, v12
	s_clause 0x3
	flat_store_b32 v[34:35], v2
	flat_store_b32 v[34:35], v40 offset:64
	flat_store_b32 v[34:35], v41 offset:128
	;; [unrolled: 1-line block ×3, first 2 shown]
	s_cbranch_execnz .LBB117_2
	s_branch .LBB117_9
.LBB117_8:                              ;   in Loop: Header=BB117_3 Depth=1
.LBB117_9:                              ;   in Loop: Header=BB117_3 Depth=1
	v_add_nc_u64_e32 v[20:21], s[14:15], v[20:21]
	s_delay_alu instid0(VALU_DEP_1) | instskip(SKIP_1) | instid1(VALU_DEP_1)
	v_lshl_add_u64 v[20:21], v[4:5], 2, v[20:21]
	s_wait_xcnt 0x0
	v_add_nc_u64_e32 v[34:35], v[20:21], v[10:11]
	v_add_nc_u64_e32 v[20:21], s[16:17], v[20:21]
	flat_load_b32 v2, v[34:35]
	s_wait_loadcnt_dscnt 0x0
	v_mul_f32_e32 v2, s33, v2
	s_delay_alu instid0(VALU_DEP_1) | instskip(SKIP_4) | instid1(VALU_DEP_1)
	v_fmac_f32_e32 v2, s30, v29
	flat_store_b32 v[32:33], v2
	flat_load_b32 v2, v[34:35] offset:64
	s_wait_loadcnt_dscnt 0x0
	v_mul_f32_e32 v2, s33, v2
	v_fmac_f32_e32 v2, s30, v28
	v_add_nc_u64_e32 v[28:29], v[20:21], v[10:11]
	v_add_nc_u64_e32 v[20:21], s[16:17], v[20:21]
	flat_store_b32 v[32:33], v2 offset:64
	flat_load_b32 v2, v[34:35] offset:128
	s_wait_loadcnt_dscnt 0x0
	v_mul_f32_e32 v2, s33, v2
	s_delay_alu instid0(VALU_DEP_1) | instskip(SKIP_4) | instid1(VALU_DEP_1)
	v_fmac_f32_e32 v2, s30, v27
	flat_store_b32 v[32:33], v2 offset:128
	flat_load_b32 v2, v[34:35] offset:192
	s_wait_loadcnt_dscnt 0x0
	v_mul_f32_e32 v2, s33, v2
	v_fmac_f32_e32 v2, s30, v26
	v_add_nc_u64_e32 v[26:27], v[30:31], v[10:11]
	flat_store_b32 v[32:33], v2 offset:192
	flat_load_b32 v2, v[28:29]
	s_wait_loadcnt_dscnt 0x0
	v_mul_f32_e32 v2, s33, v2
	s_delay_alu instid0(VALU_DEP_1) | instskip(SKIP_4) | instid1(VALU_DEP_1)
	v_fmac_f32_e32 v2, s30, v25
	flat_store_b32 v[26:27], v2
	flat_load_b32 v2, v[28:29] offset:64
	s_wait_loadcnt_dscnt 0x0
	v_mul_f32_e32 v2, s33, v2
	v_fmac_f32_e32 v2, s30, v24
	v_add_nc_u64_e32 v[24:25], v[20:21], v[10:11]
	flat_store_b32 v[26:27], v2 offset:64
	flat_load_b32 v2, v[28:29] offset:128
	s_wait_loadcnt_dscnt 0x0
	v_mul_f32_e32 v2, s33, v2
	s_delay_alu instid0(VALU_DEP_1) | instskip(SKIP_4) | instid1(VALU_DEP_1)
	v_fmac_f32_e32 v2, s30, v23
	flat_store_b32 v[26:27], v2 offset:128
	flat_load_b32 v2, v[28:29] offset:192
	s_wait_loadcnt_dscnt 0x0
	v_mul_f32_e32 v2, s33, v2
	v_fmac_f32_e32 v2, s30, v22
	v_add_nc_u64_e32 v[22:23], s[8:9], v[30:31]
	flat_store_b32 v[26:27], v2 offset:192
	flat_load_b32 v2, v[24:25]
	v_add_nc_u64_e32 v[26:27], v[22:23], v[10:11]
	s_wait_loadcnt_dscnt 0x0
	v_mul_f32_e32 v2, s33, v2
	s_delay_alu instid0(VALU_DEP_1) | instskip(SKIP_4) | instid1(VALU_DEP_1)
	v_fmac_f32_e32 v2, s30, v19
	flat_store_b32 v[26:27], v2
	flat_load_b32 v2, v[24:25] offset:64
	s_wait_loadcnt_dscnt 0x0
	v_mul_f32_e32 v2, s33, v2
	v_fmac_f32_e32 v2, s30, v18
	v_add_nc_u64_e32 v[18:19], s[16:17], v[20:21]
	flat_store_b32 v[26:27], v2 offset:64
	flat_load_b32 v2, v[24:25] offset:128
	v_add_nc_u64_e32 v[18:19], v[18:19], v[10:11]
	s_wait_loadcnt_dscnt 0x0
	v_mul_f32_e32 v2, s33, v2
	s_delay_alu instid0(VALU_DEP_1) | instskip(SKIP_4) | instid1(VALU_DEP_1)
	v_fmac_f32_e32 v2, s30, v17
	flat_store_b32 v[26:27], v2 offset:128
	flat_load_b32 v2, v[24:25] offset:192
	s_wait_loadcnt_dscnt 0x0
	v_mul_f32_e32 v2, s33, v2
	v_fmac_f32_e32 v2, s30, v16
	v_add_nc_u64_e32 v[16:17], s[8:9], v[22:23]
	flat_store_b32 v[26:27], v2 offset:192
	flat_load_b32 v2, v[18:19]
	v_add_nc_u64_e32 v[16:17], v[16:17], v[10:11]
	s_wait_loadcnt_dscnt 0x0
	v_mul_f32_e32 v2, s33, v2
	s_delay_alu instid0(VALU_DEP_1) | instskip(SKIP_4) | instid1(VALU_DEP_1)
	v_fmac_f32_e32 v2, s30, v15
	flat_store_b32 v[16:17], v2
	flat_load_b32 v2, v[18:19] offset:64
	s_wait_loadcnt_dscnt 0x0
	v_mul_f32_e32 v2, s33, v2
	v_fmac_f32_e32 v2, s30, v14
	flat_store_b32 v[16:17], v2 offset:64
	flat_load_b32 v2, v[18:19] offset:128
	s_wait_loadcnt_dscnt 0x0
	v_mul_f32_e32 v2, s33, v2
	s_delay_alu instid0(VALU_DEP_1) | instskip(SKIP_4) | instid1(VALU_DEP_1)
	v_fmac_f32_e32 v2, s30, v13
	flat_store_b32 v[16:17], v2 offset:128
	flat_load_b32 v2, v[18:19] offset:192
	s_wait_loadcnt_dscnt 0x0
	v_mul_f32_e32 v2, s33, v2
	v_fmac_f32_e32 v2, s30, v12
	flat_store_b32 v[16:17], v2 offset:192
	s_branch .LBB117_2
.LBB117_10:
	s_sendmsg sendmsg(MSG_DEALLOC_VGPRS)
	s_endpgm
	.section	.rodata,"a",@progbits
	.p2align	6, 0x0
	.amdhsa_kernel _ZN12_GLOBAL__N_127rocblas_gemm_batched_kernelIfLi16ELi16ELi64ELi64ELi4ELi64ELi4ELi4ELi64ELc67ELc78EKPKDF16_KPKfKPfEEvlllT_PT11_llSB_llS9_PT12_llPT13_lli
		.amdhsa_group_segment_fixed_size 2048
		.amdhsa_private_segment_fixed_size 0
		.amdhsa_kernarg_size 140
		.amdhsa_user_sgpr_count 2
		.amdhsa_user_sgpr_dispatch_ptr 0
		.amdhsa_user_sgpr_queue_ptr 0
		.amdhsa_user_sgpr_kernarg_segment_ptr 1
		.amdhsa_user_sgpr_dispatch_id 0
		.amdhsa_user_sgpr_kernarg_preload_length 0
		.amdhsa_user_sgpr_kernarg_preload_offset 0
		.amdhsa_user_sgpr_private_segment_size 0
		.amdhsa_wavefront_size32 1
		.amdhsa_uses_dynamic_stack 0
		.amdhsa_enable_private_segment 0
		.amdhsa_system_sgpr_workgroup_id_x 1
		.amdhsa_system_sgpr_workgroup_id_y 1
		.amdhsa_system_sgpr_workgroup_id_z 1
		.amdhsa_system_sgpr_workgroup_info 0
		.amdhsa_system_vgpr_workitem_id 1
		.amdhsa_next_free_vgpr 78
		.amdhsa_next_free_sgpr 36
		.amdhsa_named_barrier_count 0
		.amdhsa_reserve_vcc 1
		.amdhsa_float_round_mode_32 0
		.amdhsa_float_round_mode_16_64 0
		.amdhsa_float_denorm_mode_32 3
		.amdhsa_float_denorm_mode_16_64 3
		.amdhsa_fp16_overflow 0
		.amdhsa_memory_ordered 1
		.amdhsa_forward_progress 1
		.amdhsa_inst_pref_size 19
		.amdhsa_round_robin_scheduling 0
		.amdhsa_exception_fp_ieee_invalid_op 0
		.amdhsa_exception_fp_denorm_src 0
		.amdhsa_exception_fp_ieee_div_zero 0
		.amdhsa_exception_fp_ieee_overflow 0
		.amdhsa_exception_fp_ieee_underflow 0
		.amdhsa_exception_fp_ieee_inexact 0
		.amdhsa_exception_int_div_zero 0
	.end_amdhsa_kernel
	.section	.text._ZN12_GLOBAL__N_127rocblas_gemm_batched_kernelIfLi16ELi16ELi64ELi64ELi4ELi64ELi4ELi4ELi64ELc67ELc78EKPKDF16_KPKfKPfEEvlllT_PT11_llSB_llS9_PT12_llPT13_lli,"axG",@progbits,_ZN12_GLOBAL__N_127rocblas_gemm_batched_kernelIfLi16ELi16ELi64ELi64ELi4ELi64ELi4ELi4ELi64ELc67ELc78EKPKDF16_KPKfKPfEEvlllT_PT11_llSB_llS9_PT12_llPT13_lli,comdat
.Lfunc_end117:
	.size	_ZN12_GLOBAL__N_127rocblas_gemm_batched_kernelIfLi16ELi16ELi64ELi64ELi4ELi64ELi4ELi4ELi64ELc67ELc78EKPKDF16_KPKfKPfEEvlllT_PT11_llSB_llS9_PT12_llPT13_lli, .Lfunc_end117-_ZN12_GLOBAL__N_127rocblas_gemm_batched_kernelIfLi16ELi16ELi64ELi64ELi4ELi64ELi4ELi4ELi64ELc67ELc78EKPKDF16_KPKfKPfEEvlllT_PT11_llSB_llS9_PT12_llPT13_lli
                                        ; -- End function
	.set _ZN12_GLOBAL__N_127rocblas_gemm_batched_kernelIfLi16ELi16ELi64ELi64ELi4ELi64ELi4ELi4ELi64ELc67ELc78EKPKDF16_KPKfKPfEEvlllT_PT11_llSB_llS9_PT12_llPT13_lli.num_vgpr, 78
	.set _ZN12_GLOBAL__N_127rocblas_gemm_batched_kernelIfLi16ELi16ELi64ELi64ELi4ELi64ELi4ELi4ELi64ELc67ELc78EKPKDF16_KPKfKPfEEvlllT_PT11_llSB_llS9_PT12_llPT13_lli.num_agpr, 0
	.set _ZN12_GLOBAL__N_127rocblas_gemm_batched_kernelIfLi16ELi16ELi64ELi64ELi4ELi64ELi4ELi4ELi64ELc67ELc78EKPKDF16_KPKfKPfEEvlllT_PT11_llSB_llS9_PT12_llPT13_lli.numbered_sgpr, 36
	.set _ZN12_GLOBAL__N_127rocblas_gemm_batched_kernelIfLi16ELi16ELi64ELi64ELi4ELi64ELi4ELi4ELi64ELc67ELc78EKPKDF16_KPKfKPfEEvlllT_PT11_llSB_llS9_PT12_llPT13_lli.num_named_barrier, 0
	.set _ZN12_GLOBAL__N_127rocblas_gemm_batched_kernelIfLi16ELi16ELi64ELi64ELi4ELi64ELi4ELi4ELi64ELc67ELc78EKPKDF16_KPKfKPfEEvlllT_PT11_llSB_llS9_PT12_llPT13_lli.private_seg_size, 0
	.set _ZN12_GLOBAL__N_127rocblas_gemm_batched_kernelIfLi16ELi16ELi64ELi64ELi4ELi64ELi4ELi4ELi64ELc67ELc78EKPKDF16_KPKfKPfEEvlllT_PT11_llSB_llS9_PT12_llPT13_lli.uses_vcc, 1
	.set _ZN12_GLOBAL__N_127rocblas_gemm_batched_kernelIfLi16ELi16ELi64ELi64ELi4ELi64ELi4ELi4ELi64ELc67ELc78EKPKDF16_KPKfKPfEEvlllT_PT11_llSB_llS9_PT12_llPT13_lli.uses_flat_scratch, 1
	.set _ZN12_GLOBAL__N_127rocblas_gemm_batched_kernelIfLi16ELi16ELi64ELi64ELi4ELi64ELi4ELi4ELi64ELc67ELc78EKPKDF16_KPKfKPfEEvlllT_PT11_llSB_llS9_PT12_llPT13_lli.has_dyn_sized_stack, 0
	.set _ZN12_GLOBAL__N_127rocblas_gemm_batched_kernelIfLi16ELi16ELi64ELi64ELi4ELi64ELi4ELi4ELi64ELc67ELc78EKPKDF16_KPKfKPfEEvlllT_PT11_llSB_llS9_PT12_llPT13_lli.has_recursion, 0
	.set _ZN12_GLOBAL__N_127rocblas_gemm_batched_kernelIfLi16ELi16ELi64ELi64ELi4ELi64ELi4ELi4ELi64ELc67ELc78EKPKDF16_KPKfKPfEEvlllT_PT11_llSB_llS9_PT12_llPT13_lli.has_indirect_call, 0
	.section	.AMDGPU.csdata,"",@progbits
; Kernel info:
; codeLenInByte = 2364
; TotalNumSgprs: 38
; NumVgprs: 78
; ScratchSize: 0
; MemoryBound: 0
; FloatMode: 240
; IeeeMode: 1
; LDSByteSize: 2048 bytes/workgroup (compile time only)
; SGPRBlocks: 0
; VGPRBlocks: 4
; NumSGPRsForWavesPerEU: 38
; NumVGPRsForWavesPerEU: 78
; NamedBarCnt: 0
; Occupancy: 12
; WaveLimiterHint : 1
; COMPUTE_PGM_RSRC2:SCRATCH_EN: 0
; COMPUTE_PGM_RSRC2:USER_SGPR: 2
; COMPUTE_PGM_RSRC2:TRAP_HANDLER: 0
; COMPUTE_PGM_RSRC2:TGID_X_EN: 1
; COMPUTE_PGM_RSRC2:TGID_Y_EN: 1
; COMPUTE_PGM_RSRC2:TGID_Z_EN: 1
; COMPUTE_PGM_RSRC2:TIDIG_COMP_CNT: 1
	.section	.text._ZN12_GLOBAL__N_127rocblas_gemm_batched_kernelIfLi16ELi16ELi64ELi64ELi4ELi64ELi4ELi4ELi64ELc67ELc84EKPKDF16_KPKfKPfEEvlllT_PT11_llSB_llS9_PT12_llPT13_lli,"axG",@progbits,_ZN12_GLOBAL__N_127rocblas_gemm_batched_kernelIfLi16ELi16ELi64ELi64ELi4ELi64ELi4ELi4ELi64ELc67ELc84EKPKDF16_KPKfKPfEEvlllT_PT11_llSB_llS9_PT12_llPT13_lli,comdat
	.globl	_ZN12_GLOBAL__N_127rocblas_gemm_batched_kernelIfLi16ELi16ELi64ELi64ELi4ELi64ELi4ELi4ELi64ELc67ELc84EKPKDF16_KPKfKPfEEvlllT_PT11_llSB_llS9_PT12_llPT13_lli ; -- Begin function _ZN12_GLOBAL__N_127rocblas_gemm_batched_kernelIfLi16ELi16ELi64ELi64ELi4ELi64ELi4ELi4ELi64ELc67ELc84EKPKDF16_KPKfKPfEEvlllT_PT11_llSB_llS9_PT12_llPT13_lli
	.p2align	8
	.type	_ZN12_GLOBAL__N_127rocblas_gemm_batched_kernelIfLi16ELi16ELi64ELi64ELi4ELi64ELi4ELi4ELi64ELc67ELc84EKPKDF16_KPKfKPfEEvlllT_PT11_llSB_llS9_PT12_llPT13_lli,@function
_ZN12_GLOBAL__N_127rocblas_gemm_batched_kernelIfLi16ELi16ELi64ELi64ELi4ELi64ELi4ELi4ELi64ELc67ELc84EKPKDF16_KPKfKPfEEvlllT_PT11_llSB_llS9_PT12_llPT13_lli: ; @_ZN12_GLOBAL__N_127rocblas_gemm_batched_kernelIfLi16ELi16ELi64ELi64ELi4ELi64ELi4ELi4ELi64ELc67ELc84EKPKDF16_KPKfKPfEEvlllT_PT11_llSB_llS9_PT12_llPT13_lli
; %bb.0:
	s_load_b32 s31, s[0:1], 0x88
	s_bfe_u32 s2, ttmp6, 0x40014
	s_lshr_b32 s3, ttmp7, 16
	s_add_co_i32 s2, s2, 1
	s_bfe_u32 s4, ttmp6, 0x40008
	s_mul_i32 s2, s3, s2
	s_getreg_b32 s28, hwreg(HW_REG_IB_STS2, 6, 4)
	s_add_co_i32 s4, s4, s2
	s_cmp_eq_u32 s28, 0
	s_cselect_b32 s2, s3, s4
	s_mov_b32 s3, 0
	s_wait_kmcnt 0x0
	s_cmp_ge_i32 s2, s31
	s_cbranch_scc1 .LBB118_10
; %bb.1:
	v_bfe_u32 v2, v0, 10, 10
	v_and_b32_e32 v6, 0x3ff, v0
	s_bfe_u32 s30, ttmp6, 0x4000c
	s_bfe_u32 s34, ttmp6, 0x40010
	s_clause 0x2
	s_load_b256 s[4:11], s[0:1], 0x20
	s_load_b128 s[24:27], s[0:1], 0x40
	s_load_b128 s[20:23], s[0:1], 0x78
	v_dual_mov_b32 v3, 0 :: v_dual_lshlrev_b32 v14, 4, v2
	s_and_b32 s33, ttmp7, 0xffff
	s_add_co_i32 s30, s30, 1
	s_add_co_i32 s34, s34, 1
	s_and_b32 s29, ttmp6, 15
	s_mul_i32 s30, ttmp9, s30
	s_mul_i32 s34, s33, s34
	s_bfe_u32 s35, ttmp6, 0x40004
	v_dual_add_nc_u32 v7, v14, v6 :: v_dual_bitop2_b32 v16, 3, v0 bitop3:0x40
	s_add_co_i32 s29, s29, s30
	s_add_co_i32 s35, s35, s34
	s_cmp_eq_u32 s28, 0
	s_delay_alu instid0(VALU_DEP_1)
	v_dual_lshrrev_b32 v8, 2, v7 :: v_dual_bitop2_b32 v15, 63, v7 bitop3:0x40
	s_cselect_b32 s28, ttmp9, s29
	s_cselect_b32 s30, s33, s35
	s_ashr_i32 s29, s28, 31
	s_load_b256 s[12:19], s[0:1], 0x58
	s_lshl_b64 s[34:35], s[28:29], 6
	s_delay_alu instid0(SALU_CYCLE_1)
	v_dual_mov_b32 v9, v3 :: v_dual_bitop2_b32 v0, s34, v15 bitop3:0x54
	v_mov_b32_e32 v1, s35
	s_load_b32 s33, s[0:1], 0x50
	v_add_nc_u32_e32 v39, 0x400, v14
	s_wait_kmcnt 0x0
	v_mad_nc_u64_u32 v[10:11], s24, v16, v[8:9]
	v_lshlrev_b32_e32 v9, 2, v15
	v_mul_u64_e32 v[12:13], s[6:7], v[0:1]
	s_lshl_b32 s6, s30, 6
	s_mov_b32 s7, s3
	s_load_b96 s[28:30], s[0:1], 0x10
	v_add_nc_u64_e32 v[4:5], s[6:7], v[2:3]
	v_dual_lshrrev_b32 v2, 6, v7 :: v_dual_lshlrev_b32 v7, 2, v16
	v_lshlrev_b32_e32 v38, 2, v6
	v_mad_u32 v11, s25, v16, v11
	s_delay_alu instid0(VALU_DEP_3)
	v_lshl_or_b32 v36, v2, 8, v9
	v_mul_u64_e32 v[0:1], s[20:21], v[4:5]
	v_mul_u64_e32 v[4:5], s[14:15], v[4:5]
	v_lshl_or_b32 v15, v8, 4, v7
	v_dual_mov_b32 v7, v3 :: v_dual_lshlrev_b32 v2, 1, v2
	s_cmp_eq_f32 s33, 0
	s_delay_alu instid0(VALU_DEP_2)
	v_add_nc_u32_e32 v37, 0x400, v15
	v_add_nc_u64_e32 v[8:9], s[6:7], v[10:11]
	s_wait_xcnt 0x0
	s_cselect_b32 s1, -1, 0
	v_add_nc_u64_e32 v[10:11], s[34:35], v[6:7]
	s_wait_kmcnt 0x0
	v_cmp_gt_i64_e64 s0, s[28:29], 0
	s_lshl_b64 s[6:7], s[8:9], 1
	s_lshl_b64 s[20:21], s[20:21], 4
	;; [unrolled: 1-line block ×3, first 2 shown]
	v_lshlrev_b64_e32 v[6:7], 1, v[8:9]
	s_lshl_b64 s[8:9], s[22:23], 2
	v_lshlrev_b64_e32 v[10:11], 2, v[10:11]
	s_lshl_b64 s[14:15], s[20:21], 2
	s_lshl_b64 s[16:17], s[16:17], 2
	v_lshl_add_u64 v[8:9], v[12:13], 1, s[6:7]
	v_cndmask_b32_e64 v12, 0, 1, s0
	v_lshl_add_u64 v[6:7], s[26:27], 1, v[6:7]
	s_lshl_b64 s[6:7], s[24:25], 3
	s_lshl_b64 s[20:21], s[34:35], 2
	v_add_nc_u64_e32 v[8:9], v[8:9], v[2:3]
	v_cmp_ne_u32_e64 s0, 1, v12
	s_branch .LBB118_3
.LBB118_2:                              ;   in Loop: Header=BB118_3 Depth=1
	s_add_co_i32 s2, s2, 0x10000
	s_delay_alu instid0(SALU_CYCLE_1)
	s_cmp_lt_i32 s2, s31
	s_cbranch_scc0 .LBB118_10
.LBB118_3:                              ; =>This Loop Header: Depth=1
                                        ;     Child Loop BB118_5 Depth 2
	s_wait_xcnt 0x0
	v_dual_mov_b32 v2, s2 :: v_dual_mov_b32 v29, 0
	v_dual_mov_b32 v28, 0 :: v_dual_mov_b32 v27, 0
	;; [unrolled: 1-line block ×3, first 2 shown]
	s_clause 0x1
	global_load_b64 v[20:21], v2, s[12:13] scale_offset
	global_load_b64 v[30:31], v2, s[18:19] scale_offset
	v_dual_mov_b32 v24, 0 :: v_dual_mov_b32 v23, 0
	v_dual_mov_b32 v22, 0 :: v_dual_mov_b32 v19, 0
	;; [unrolled: 1-line block ×5, first 2 shown]
	v_mov_b32_e32 v12, 0
	s_and_b32 vcc_lo, exec_lo, s0
	s_cbranch_vccnz .LBB118_6
; %bb.4:                                ;   in Loop: Header=BB118_3 Depth=1
	s_lshl_b64 s[22:23], s[2:3], 3
	v_mov_b32_e32 v12, 0
	s_add_nc_u64 s[24:25], s[10:11], s[22:23]
	s_add_nc_u64 s[22:23], s[4:5], s[22:23]
	s_clause 0x1
	global_load_b64 v[28:29], v3, s[24:25]
	global_load_b64 v[34:35], v3, s[22:23]
	s_wait_xcnt 0x0
	s_mov_b64 s[22:23], 0
	v_dual_mov_b32 v13, v12 :: v_dual_mov_b32 v14, v12
	v_dual_mov_b32 v15, v12 :: v_dual_mov_b32 v16, v12
	;; [unrolled: 1-line block ×6, first 2 shown]
	v_mov_b32_e32 v27, v12
	s_wait_loadcnt 0x1
	v_add_nc_u64_e32 v[32:33], v[28:29], v[6:7]
	s_wait_loadcnt 0x0
	v_add_nc_u64_e32 v[34:35], v[34:35], v[8:9]
	v_dual_mov_b32 v28, v12 :: v_dual_mov_b32 v29, v12
.LBB118_5:                              ;   Parent Loop BB118_3 Depth=1
                                        ; =>  This Inner Loop Header: Depth=2
	flat_load_u16 v2, v[34:35]
	flat_load_u16 v40, v[32:33]
	s_add_nc_u64 s[22:23], s[22:23], 4
	s_wait_xcnt 0x0
	v_add_nc_u64_e32 v[32:33], s[6:7], v[32:33]
	v_cmp_lt_i64_e64 s24, s[22:23], s[28:29]
	v_add_nc_u64_e32 v[34:35], 8, v[34:35]
	s_and_b32 vcc_lo, exec_lo, s24
	s_wait_loadcnt_dscnt 0x101
	v_cvt_f32_f16_e32 v2, v2
	s_wait_loadcnt_dscnt 0x0
	v_cvt_f32_f16_e32 v40, v40
	ds_store_b32 v36, v2
	ds_store_b32 v37, v40
	s_wait_dscnt 0x0
	s_barrier_signal -1
	s_barrier_wait -1
	ds_load_2addr_b32 v[56:57], v38 offset1:16
	ds_load_2addr_b32 v[58:59], v38 offset0:64 offset1:80
	ds_load_2addr_b32 v[60:61], v38 offset0:128 offset1:144
	;; [unrolled: 1-line block ×6, first 2 shown]
	ds_load_b128 v[40:43], v39
	ds_load_b128 v[44:47], v39 offset:256
	ds_load_2addr_b32 v[70:71], v38 offset0:224 offset1:240
	ds_load_b128 v[48:51], v39 offset:512
	ds_load_b128 v[52:55], v39 offset:768
	s_wait_dscnt 0x0
	s_barrier_signal -1
	s_barrier_wait -1
	v_dual_mov_b32 v72, v57 :: v_dual_mov_b32 v73, v56
	v_dual_mov_b32 v56, v59 :: v_dual_mov_b32 v57, v58
	;; [unrolled: 1-line block ×6, first 2 shown]
	v_pk_fma_f32 v[28:29], v[72:73], v[40:41], v[28:29] op_sel_hi:[1,0,1]
	v_pk_fma_f32 v[24:25], v[72:73], v[44:45], v[24:25] op_sel_hi:[1,0,1]
	s_delay_alu instid0(VALU_DEP_4)
	v_pk_fma_f32 v[26:27], v[62:63], v[40:41], v[26:27] op_sel_hi:[1,0,1]
	v_pk_fma_f32 v[18:19], v[72:73], v[48:49], v[18:19] op_sel_hi:[1,0,1]
	;; [unrolled: 1-line block ×6, first 2 shown]
	v_dual_mov_b32 v66, v69 :: v_dual_mov_b32 v67, v68
	v_pk_fma_f32 v[28:29], v[56:57], v[40:41], v[28:29] op_sel:[0,1,0]
	v_pk_fma_f32 v[26:27], v[64:65], v[40:41], v[26:27] op_sel:[0,1,0]
	;; [unrolled: 1-line block ×8, first 2 shown]
	v_dual_mov_b32 v2, v43 :: v_dual_mov_b32 v68, v71
	v_dual_mov_b32 v69, v70 :: v_dual_mov_b32 v70, v47
	;; [unrolled: 1-line block ×3, first 2 shown]
	v_pk_fma_f32 v[28:29], v[58:59], v[42:43], v[28:29] op_sel_hi:[1,0,1]
	v_pk_fma_f32 v[26:27], v[66:67], v[42:43], v[26:27] op_sel_hi:[1,0,1]
	;; [unrolled: 1-line block ×16, first 2 shown]
	s_cbranch_vccnz .LBB118_5
.LBB118_6:                              ;   in Loop: Header=BB118_3 Depth=1
	s_wait_loadcnt 0x0
	v_add_nc_u64_e32 v[30:31], s[8:9], v[30:31]
	s_and_not1_b32 vcc_lo, exec_lo, s1
	s_delay_alu instid0(VALU_DEP_1) | instskip(NEXT) | instid1(VALU_DEP_1)
	v_lshl_add_u64 v[30:31], v[0:1], 2, v[30:31]
	v_add_nc_u64_e32 v[32:33], v[30:31], v[10:11]
	v_add_nc_u64_e32 v[30:31], s[14:15], v[30:31]
	s_cbranch_vccnz .LBB118_8
; %bb.7:                                ;   in Loop: Header=BB118_3 Depth=1
	s_wait_xcnt 0x0
	v_dual_mul_f32 v2, s30, v29 :: v_dual_mul_f32 v40, s30, v28
	s_delay_alu instid0(VALU_DEP_2)
	v_add_nc_u64_e32 v[34:35], s[14:15], v[30:31]
	v_dual_mul_f32 v41, s30, v27 :: v_dual_mul_f32 v42, s30, v26
	s_clause 0x3
	flat_store_b32 v[32:33], v2
	flat_store_b32 v[32:33], v40 offset:64
	flat_store_b32 v[32:33], v41 offset:128
	flat_store_b32 v[32:33], v42 offset:192
	s_wait_xcnt 0x1
	v_add_nc_u64_e32 v[40:41], v[30:31], v[10:11]
	v_dual_mul_f32 v2, s30, v25 :: v_dual_mul_f32 v44, s30, v24
	s_wait_xcnt 0x0
	v_add_nc_u64_e32 v[42:43], v[34:35], v[10:11]
	v_add_nc_u64_e32 v[34:35], s[14:15], v[34:35]
	v_dual_mul_f32 v45, s30, v23 :: v_dual_mul_f32 v46, s30, v22
	s_clause 0x3
	flat_store_b32 v[40:41], v2
	flat_store_b32 v[40:41], v44 offset:64
	flat_store_b32 v[40:41], v45 offset:128
	flat_store_b32 v[40:41], v46 offset:192
	s_wait_xcnt 0x0
	v_dual_mul_f32 v2, s30, v19 :: v_dual_mul_f32 v40, s30, v18
	v_dual_mul_f32 v41, s30, v17 :: v_dual_mul_f32 v44, s30, v16
	v_add_nc_u64_e32 v[34:35], v[34:35], v[10:11]
	s_clause 0x3
	flat_store_b32 v[42:43], v2
	flat_store_b32 v[42:43], v40 offset:64
	flat_store_b32 v[42:43], v41 offset:128
	;; [unrolled: 1-line block ×3, first 2 shown]
	s_wait_xcnt 0x2
	v_dual_mul_f32 v2, s30, v15 :: v_dual_mul_f32 v40, s30, v14
	s_wait_xcnt 0x0
	v_dual_mul_f32 v41, s30, v13 :: v_dual_mul_f32 v42, s30, v12
	s_clause 0x3
	flat_store_b32 v[34:35], v2
	flat_store_b32 v[34:35], v40 offset:64
	flat_store_b32 v[34:35], v41 offset:128
	;; [unrolled: 1-line block ×3, first 2 shown]
	s_cbranch_execnz .LBB118_2
	s_branch .LBB118_9
.LBB118_8:                              ;   in Loop: Header=BB118_3 Depth=1
.LBB118_9:                              ;   in Loop: Header=BB118_3 Depth=1
	v_add_nc_u64_e32 v[20:21], s[16:17], v[20:21]
	s_delay_alu instid0(VALU_DEP_1) | instskip(SKIP_1) | instid1(VALU_DEP_1)
	v_lshl_add_u64 v[20:21], v[4:5], 2, v[20:21]
	s_wait_xcnt 0x0
	v_add_nc_u64_e32 v[34:35], v[20:21], v[10:11]
	v_add_nc_u64_e32 v[20:21], s[20:21], v[20:21]
	flat_load_b32 v2, v[34:35]
	s_wait_loadcnt_dscnt 0x0
	v_mul_f32_e32 v2, s33, v2
	s_delay_alu instid0(VALU_DEP_1) | instskip(SKIP_4) | instid1(VALU_DEP_1)
	v_fmac_f32_e32 v2, s30, v29
	flat_store_b32 v[32:33], v2
	flat_load_b32 v2, v[34:35] offset:64
	s_wait_loadcnt_dscnt 0x0
	v_mul_f32_e32 v2, s33, v2
	v_fmac_f32_e32 v2, s30, v28
	v_add_nc_u64_e32 v[28:29], v[20:21], v[10:11]
	v_add_nc_u64_e32 v[20:21], s[20:21], v[20:21]
	flat_store_b32 v[32:33], v2 offset:64
	flat_load_b32 v2, v[34:35] offset:128
	s_wait_loadcnt_dscnt 0x0
	v_mul_f32_e32 v2, s33, v2
	s_delay_alu instid0(VALU_DEP_1) | instskip(SKIP_4) | instid1(VALU_DEP_1)
	v_fmac_f32_e32 v2, s30, v27
	flat_store_b32 v[32:33], v2 offset:128
	flat_load_b32 v2, v[34:35] offset:192
	s_wait_loadcnt_dscnt 0x0
	v_mul_f32_e32 v2, s33, v2
	v_fmac_f32_e32 v2, s30, v26
	v_add_nc_u64_e32 v[26:27], v[30:31], v[10:11]
	flat_store_b32 v[32:33], v2 offset:192
	flat_load_b32 v2, v[28:29]
	s_wait_loadcnt_dscnt 0x0
	v_mul_f32_e32 v2, s33, v2
	s_delay_alu instid0(VALU_DEP_1) | instskip(SKIP_4) | instid1(VALU_DEP_1)
	v_fmac_f32_e32 v2, s30, v25
	flat_store_b32 v[26:27], v2
	flat_load_b32 v2, v[28:29] offset:64
	s_wait_loadcnt_dscnt 0x0
	v_mul_f32_e32 v2, s33, v2
	v_fmac_f32_e32 v2, s30, v24
	v_add_nc_u64_e32 v[24:25], v[20:21], v[10:11]
	flat_store_b32 v[26:27], v2 offset:64
	flat_load_b32 v2, v[28:29] offset:128
	s_wait_loadcnt_dscnt 0x0
	v_mul_f32_e32 v2, s33, v2
	s_delay_alu instid0(VALU_DEP_1) | instskip(SKIP_4) | instid1(VALU_DEP_1)
	v_fmac_f32_e32 v2, s30, v23
	flat_store_b32 v[26:27], v2 offset:128
	flat_load_b32 v2, v[28:29] offset:192
	s_wait_loadcnt_dscnt 0x0
	v_mul_f32_e32 v2, s33, v2
	v_fmac_f32_e32 v2, s30, v22
	v_add_nc_u64_e32 v[22:23], s[14:15], v[30:31]
	flat_store_b32 v[26:27], v2 offset:192
	flat_load_b32 v2, v[24:25]
	v_add_nc_u64_e32 v[26:27], v[22:23], v[10:11]
	s_wait_loadcnt_dscnt 0x0
	v_mul_f32_e32 v2, s33, v2
	s_delay_alu instid0(VALU_DEP_1) | instskip(SKIP_4) | instid1(VALU_DEP_1)
	v_fmac_f32_e32 v2, s30, v19
	flat_store_b32 v[26:27], v2
	flat_load_b32 v2, v[24:25] offset:64
	s_wait_loadcnt_dscnt 0x0
	v_mul_f32_e32 v2, s33, v2
	v_fmac_f32_e32 v2, s30, v18
	v_add_nc_u64_e32 v[18:19], s[20:21], v[20:21]
	flat_store_b32 v[26:27], v2 offset:64
	flat_load_b32 v2, v[24:25] offset:128
	v_add_nc_u64_e32 v[18:19], v[18:19], v[10:11]
	s_wait_loadcnt_dscnt 0x0
	v_mul_f32_e32 v2, s33, v2
	s_delay_alu instid0(VALU_DEP_1) | instskip(SKIP_4) | instid1(VALU_DEP_1)
	v_fmac_f32_e32 v2, s30, v17
	flat_store_b32 v[26:27], v2 offset:128
	flat_load_b32 v2, v[24:25] offset:192
	s_wait_loadcnt_dscnt 0x0
	v_mul_f32_e32 v2, s33, v2
	v_fmac_f32_e32 v2, s30, v16
	v_add_nc_u64_e32 v[16:17], s[14:15], v[22:23]
	flat_store_b32 v[26:27], v2 offset:192
	flat_load_b32 v2, v[18:19]
	v_add_nc_u64_e32 v[16:17], v[16:17], v[10:11]
	s_wait_loadcnt_dscnt 0x0
	v_mul_f32_e32 v2, s33, v2
	s_delay_alu instid0(VALU_DEP_1) | instskip(SKIP_4) | instid1(VALU_DEP_1)
	v_fmac_f32_e32 v2, s30, v15
	flat_store_b32 v[16:17], v2
	flat_load_b32 v2, v[18:19] offset:64
	s_wait_loadcnt_dscnt 0x0
	v_mul_f32_e32 v2, s33, v2
	v_fmac_f32_e32 v2, s30, v14
	flat_store_b32 v[16:17], v2 offset:64
	flat_load_b32 v2, v[18:19] offset:128
	s_wait_loadcnt_dscnt 0x0
	v_mul_f32_e32 v2, s33, v2
	s_delay_alu instid0(VALU_DEP_1) | instskip(SKIP_4) | instid1(VALU_DEP_1)
	v_fmac_f32_e32 v2, s30, v13
	flat_store_b32 v[16:17], v2 offset:128
	flat_load_b32 v2, v[18:19] offset:192
	s_wait_loadcnt_dscnt 0x0
	v_mul_f32_e32 v2, s33, v2
	v_fmac_f32_e32 v2, s30, v12
	flat_store_b32 v[16:17], v2 offset:192
	s_branch .LBB118_2
.LBB118_10:
	s_sendmsg sendmsg(MSG_DEALLOC_VGPRS)
	s_endpgm
	.section	.rodata,"a",@progbits
	.p2align	6, 0x0
	.amdhsa_kernel _ZN12_GLOBAL__N_127rocblas_gemm_batched_kernelIfLi16ELi16ELi64ELi64ELi4ELi64ELi4ELi4ELi64ELc67ELc84EKPKDF16_KPKfKPfEEvlllT_PT11_llSB_llS9_PT12_llPT13_lli
		.amdhsa_group_segment_fixed_size 2048
		.amdhsa_private_segment_fixed_size 0
		.amdhsa_kernarg_size 140
		.amdhsa_user_sgpr_count 2
		.amdhsa_user_sgpr_dispatch_ptr 0
		.amdhsa_user_sgpr_queue_ptr 0
		.amdhsa_user_sgpr_kernarg_segment_ptr 1
		.amdhsa_user_sgpr_dispatch_id 0
		.amdhsa_user_sgpr_kernarg_preload_length 0
		.amdhsa_user_sgpr_kernarg_preload_offset 0
		.amdhsa_user_sgpr_private_segment_size 0
		.amdhsa_wavefront_size32 1
		.amdhsa_uses_dynamic_stack 0
		.amdhsa_enable_private_segment 0
		.amdhsa_system_sgpr_workgroup_id_x 1
		.amdhsa_system_sgpr_workgroup_id_y 1
		.amdhsa_system_sgpr_workgroup_id_z 1
		.amdhsa_system_sgpr_workgroup_info 0
		.amdhsa_system_vgpr_workitem_id 1
		.amdhsa_next_free_vgpr 78
		.amdhsa_next_free_sgpr 36
		.amdhsa_named_barrier_count 0
		.amdhsa_reserve_vcc 1
		.amdhsa_float_round_mode_32 0
		.amdhsa_float_round_mode_16_64 0
		.amdhsa_float_denorm_mode_32 3
		.amdhsa_float_denorm_mode_16_64 3
		.amdhsa_fp16_overflow 0
		.amdhsa_memory_ordered 1
		.amdhsa_forward_progress 1
		.amdhsa_inst_pref_size 19
		.amdhsa_round_robin_scheduling 0
		.amdhsa_exception_fp_ieee_invalid_op 0
		.amdhsa_exception_fp_denorm_src 0
		.amdhsa_exception_fp_ieee_div_zero 0
		.amdhsa_exception_fp_ieee_overflow 0
		.amdhsa_exception_fp_ieee_underflow 0
		.amdhsa_exception_fp_ieee_inexact 0
		.amdhsa_exception_int_div_zero 0
	.end_amdhsa_kernel
	.section	.text._ZN12_GLOBAL__N_127rocblas_gemm_batched_kernelIfLi16ELi16ELi64ELi64ELi4ELi64ELi4ELi4ELi64ELc67ELc84EKPKDF16_KPKfKPfEEvlllT_PT11_llSB_llS9_PT12_llPT13_lli,"axG",@progbits,_ZN12_GLOBAL__N_127rocblas_gemm_batched_kernelIfLi16ELi16ELi64ELi64ELi4ELi64ELi4ELi4ELi64ELc67ELc84EKPKDF16_KPKfKPfEEvlllT_PT11_llSB_llS9_PT12_llPT13_lli,comdat
.Lfunc_end118:
	.size	_ZN12_GLOBAL__N_127rocblas_gemm_batched_kernelIfLi16ELi16ELi64ELi64ELi4ELi64ELi4ELi4ELi64ELc67ELc84EKPKDF16_KPKfKPfEEvlllT_PT11_llSB_llS9_PT12_llPT13_lli, .Lfunc_end118-_ZN12_GLOBAL__N_127rocblas_gemm_batched_kernelIfLi16ELi16ELi64ELi64ELi4ELi64ELi4ELi4ELi64ELc67ELc84EKPKDF16_KPKfKPfEEvlllT_PT11_llSB_llS9_PT12_llPT13_lli
                                        ; -- End function
	.set _ZN12_GLOBAL__N_127rocblas_gemm_batched_kernelIfLi16ELi16ELi64ELi64ELi4ELi64ELi4ELi4ELi64ELc67ELc84EKPKDF16_KPKfKPfEEvlllT_PT11_llSB_llS9_PT12_llPT13_lli.num_vgpr, 78
	.set _ZN12_GLOBAL__N_127rocblas_gemm_batched_kernelIfLi16ELi16ELi64ELi64ELi4ELi64ELi4ELi4ELi64ELc67ELc84EKPKDF16_KPKfKPfEEvlllT_PT11_llSB_llS9_PT12_llPT13_lli.num_agpr, 0
	.set _ZN12_GLOBAL__N_127rocblas_gemm_batched_kernelIfLi16ELi16ELi64ELi64ELi4ELi64ELi4ELi4ELi64ELc67ELc84EKPKDF16_KPKfKPfEEvlllT_PT11_llSB_llS9_PT12_llPT13_lli.numbered_sgpr, 36
	.set _ZN12_GLOBAL__N_127rocblas_gemm_batched_kernelIfLi16ELi16ELi64ELi64ELi4ELi64ELi4ELi4ELi64ELc67ELc84EKPKDF16_KPKfKPfEEvlllT_PT11_llSB_llS9_PT12_llPT13_lli.num_named_barrier, 0
	.set _ZN12_GLOBAL__N_127rocblas_gemm_batched_kernelIfLi16ELi16ELi64ELi64ELi4ELi64ELi4ELi4ELi64ELc67ELc84EKPKDF16_KPKfKPfEEvlllT_PT11_llSB_llS9_PT12_llPT13_lli.private_seg_size, 0
	.set _ZN12_GLOBAL__N_127rocblas_gemm_batched_kernelIfLi16ELi16ELi64ELi64ELi4ELi64ELi4ELi4ELi64ELc67ELc84EKPKDF16_KPKfKPfEEvlllT_PT11_llSB_llS9_PT12_llPT13_lli.uses_vcc, 1
	.set _ZN12_GLOBAL__N_127rocblas_gemm_batched_kernelIfLi16ELi16ELi64ELi64ELi4ELi64ELi4ELi4ELi64ELc67ELc84EKPKDF16_KPKfKPfEEvlllT_PT11_llSB_llS9_PT12_llPT13_lli.uses_flat_scratch, 1
	.set _ZN12_GLOBAL__N_127rocblas_gemm_batched_kernelIfLi16ELi16ELi64ELi64ELi4ELi64ELi4ELi4ELi64ELc67ELc84EKPKDF16_KPKfKPfEEvlllT_PT11_llSB_llS9_PT12_llPT13_lli.has_dyn_sized_stack, 0
	.set _ZN12_GLOBAL__N_127rocblas_gemm_batched_kernelIfLi16ELi16ELi64ELi64ELi4ELi64ELi4ELi4ELi64ELc67ELc84EKPKDF16_KPKfKPfEEvlllT_PT11_llSB_llS9_PT12_llPT13_lli.has_recursion, 0
	.set _ZN12_GLOBAL__N_127rocblas_gemm_batched_kernelIfLi16ELi16ELi64ELi64ELi4ELi64ELi4ELi4ELi64ELc67ELc84EKPKDF16_KPKfKPfEEvlllT_PT11_llSB_llS9_PT12_llPT13_lli.has_indirect_call, 0
	.section	.AMDGPU.csdata,"",@progbits
; Kernel info:
; codeLenInByte = 2376
; TotalNumSgprs: 38
; NumVgprs: 78
; ScratchSize: 0
; MemoryBound: 0
; FloatMode: 240
; IeeeMode: 1
; LDSByteSize: 2048 bytes/workgroup (compile time only)
; SGPRBlocks: 0
; VGPRBlocks: 4
; NumSGPRsForWavesPerEU: 38
; NumVGPRsForWavesPerEU: 78
; NamedBarCnt: 0
; Occupancy: 12
; WaveLimiterHint : 1
; COMPUTE_PGM_RSRC2:SCRATCH_EN: 0
; COMPUTE_PGM_RSRC2:USER_SGPR: 2
; COMPUTE_PGM_RSRC2:TRAP_HANDLER: 0
; COMPUTE_PGM_RSRC2:TGID_X_EN: 1
; COMPUTE_PGM_RSRC2:TGID_Y_EN: 1
; COMPUTE_PGM_RSRC2:TGID_Z_EN: 1
; COMPUTE_PGM_RSRC2:TIDIG_COMP_CNT: 1
	.section	.text._ZN12_GLOBAL__N_127rocblas_gemm_batched_kernelIfLi16ELi16ELi64ELi64ELi4ELi64ELi4ELi4ELi64ELc78ELc67EKPKDF16_KPKfKPfEEvlllT_PT11_llSB_llS9_PT12_llPT13_lli,"axG",@progbits,_ZN12_GLOBAL__N_127rocblas_gemm_batched_kernelIfLi16ELi16ELi64ELi64ELi4ELi64ELi4ELi4ELi64ELc78ELc67EKPKDF16_KPKfKPfEEvlllT_PT11_llSB_llS9_PT12_llPT13_lli,comdat
	.globl	_ZN12_GLOBAL__N_127rocblas_gemm_batched_kernelIfLi16ELi16ELi64ELi64ELi4ELi64ELi4ELi4ELi64ELc78ELc67EKPKDF16_KPKfKPfEEvlllT_PT11_llSB_llS9_PT12_llPT13_lli ; -- Begin function _ZN12_GLOBAL__N_127rocblas_gemm_batched_kernelIfLi16ELi16ELi64ELi64ELi4ELi64ELi4ELi4ELi64ELc78ELc67EKPKDF16_KPKfKPfEEvlllT_PT11_llSB_llS9_PT12_llPT13_lli
	.p2align	8
	.type	_ZN12_GLOBAL__N_127rocblas_gemm_batched_kernelIfLi16ELi16ELi64ELi64ELi4ELi64ELi4ELi4ELi64ELc78ELc67EKPKDF16_KPKfKPfEEvlllT_PT11_llSB_llS9_PT12_llPT13_lli,@function
_ZN12_GLOBAL__N_127rocblas_gemm_batched_kernelIfLi16ELi16ELi64ELi64ELi4ELi64ELi4ELi4ELi64ELc78ELc67EKPKDF16_KPKfKPfEEvlllT_PT11_llSB_llS9_PT12_llPT13_lli: ; @_ZN12_GLOBAL__N_127rocblas_gemm_batched_kernelIfLi16ELi16ELi64ELi64ELi4ELi64ELi4ELi4ELi64ELc78ELc67EKPKDF16_KPKfKPfEEvlllT_PT11_llSB_llS9_PT12_llPT13_lli
; %bb.0:
	s_load_b32 s31, s[0:1], 0x88
	s_bfe_u32 s2, ttmp6, 0x40014
	s_lshr_b32 s3, ttmp7, 16
	s_add_co_i32 s2, s2, 1
	s_bfe_u32 s4, ttmp6, 0x40008
	s_mul_i32 s2, s3, s2
	s_getreg_b32 s28, hwreg(HW_REG_IB_STS2, 6, 4)
	s_add_co_i32 s4, s4, s2
	s_cmp_eq_u32 s28, 0
	s_cselect_b32 s2, s3, s4
	s_mov_b32 s3, 0
	s_wait_kmcnt 0x0
	s_cmp_ge_i32 s2, s31
	s_cbranch_scc1 .LBB119_10
; %bb.1:
	v_bfe_u32 v2, v0, 10, 10
	s_clause 0x2
	s_load_b256 s[4:11], s[0:1], 0x20
	s_load_b128 s[24:27], s[0:1], 0x40
	s_load_b32 s33, s[0:1], 0x50
	v_and_b32_e32 v6, 0x3ff, v0
	s_bfe_u32 s29, ttmp6, 0x4000c
	s_bfe_u32 s34, ttmp6, 0x40010
	v_dual_mov_b32 v3, 0 :: v_dual_lshlrev_b32 v16, 4, v2
	s_add_co_i32 s29, s29, 1
	s_and_b32 s35, ttmp7, 0xffff
	s_add_co_i32 s34, s34, 1
	s_and_b32 s30, ttmp6, 15
	s_mul_i32 s29, ttmp9, s29
	s_mul_i32 s34, s35, s34
	s_bfe_u32 s36, ttmp6, 0x40004
	v_dual_add_nc_u32 v1, v16, v6 :: v_dual_bitop2_b32 v0, 3, v0 bitop3:0x40
	s_clause 0x1
	s_load_b128 s[20:23], s[0:1], 0x78
	s_load_b256 s[12:19], s[0:1], 0x58
	s_add_co_i32 s30, s30, s29
	s_add_co_i32 s36, s36, s34
	s_cmp_eq_u32 s28, 0
	v_dual_mov_b32 v9, v3 :: v_dual_lshrrev_b32 v8, 2, v1
	s_cselect_b32 s28, ttmp9, s30
	v_dual_lshrrev_b32 v17, 6, v1 :: v_dual_bitop2_b32 v14, 63, v1 bitop3:0x40
	s_cselect_b32 s30, s35, s36
	s_ashr_i32 s29, s28, 31
	s_wait_kmcnt 0x0
	v_mad_nc_u64_u32 v[10:11], s24, v0, v[8:9]
	s_lshl_b64 s[34:35], s[28:29], 6
	s_lshl_b32 s36, s30, 6
	v_mad_nc_u64_u32 v[12:13], s6, v17, s[34:35]
	s_mov_b32 s37, s3
	s_load_b96 s[28:30], s[0:1], 0x10
	v_add_nc_u64_e32 v[4:5], s[36:37], v[2:3]
	v_dual_lshlrev_b32 v2, 2, v0 :: v_dual_lshlrev_b32 v18, 2, v14
	v_dual_mov_b32 v15, v3 :: v_dual_mov_b32 v7, v3
	v_mad_u32 v11, s25, v0, v11
	s_delay_alu instid0(VALU_DEP_3)
	v_lshl_or_b32 v19, v8, 4, v2
	v_mul_u64_e32 v[0:1], s[20:21], v[4:5]
	v_mad_u32 v13, s7, v17, v13
	v_mul_u64_e32 v[4:5], s[14:15], v[4:5]
	s_cmp_eq_f32 s33, 0
	v_lshlrev_b32_e32 v37, 2, v6
	v_lshl_or_b32 v2, v17, 8, v18
	v_add_nc_u32_e32 v36, 0x400, v19
	v_add_nc_u32_e32 v38, 0x400, v16
	s_wait_xcnt 0x0
	s_cselect_b32 s1, -1, 0
	v_add_nc_u64_e32 v[8:9], s[36:37], v[10:11]
	s_lshl_b64 s[20:21], s[20:21], 4
	s_lshl_b64 s[6:7], s[6:7], 3
	v_add_nc_u64_e32 v[10:11], v[12:13], v[14:15]
	s_wait_kmcnt 0x0
	v_cmp_gt_i64_e64 s0, s[28:29], 0
	v_add_nc_u64_e32 v[12:13], s[34:35], v[6:7]
	s_lshl_b64 s[34:35], s[14:15], 4
	v_lshlrev_b64_e32 v[8:9], 1, v[8:9]
	s_lshl_b64 s[14:15], s[24:25], 3
	s_lshl_b64 s[20:21], s[20:21], 2
	v_lshlrev_b64_e32 v[10:11], 1, v[10:11]
	v_cndmask_b32_e64 v14, 0, 1, s0
	s_lshl_b64 s[16:17], s[16:17], 2
	s_delay_alu instid0(VALU_DEP_3) | instskip(NEXT) | instid1(VALU_DEP_2)
	v_lshl_add_u64 v[6:7], s[26:27], 1, v[8:9]
	v_cmp_ne_u32_e64 s0, 1, v14
	s_delay_alu instid0(VALU_DEP_4)
	v_lshl_add_u64 v[8:9], s[8:9], 1, v[10:11]
	v_lshlrev_b64_e32 v[10:11], 2, v[12:13]
	s_lshl_b64 s[8:9], s[22:23], 2
	s_lshl_b64 s[22:23], s[34:35], 2
	s_branch .LBB119_3
.LBB119_2:                              ;   in Loop: Header=BB119_3 Depth=1
	s_add_co_i32 s2, s2, 0x10000
	s_delay_alu instid0(SALU_CYCLE_1)
	s_cmp_lt_i32 s2, s31
	s_cbranch_scc0 .LBB119_10
.LBB119_3:                              ; =>This Loop Header: Depth=1
                                        ;     Child Loop BB119_5 Depth 2
	v_dual_mov_b32 v12, s2 :: v_dual_mov_b32 v29, 0
	v_dual_mov_b32 v28, 0 :: v_dual_mov_b32 v27, 0
	;; [unrolled: 1-line block ×3, first 2 shown]
	s_clause 0x1
	global_load_b64 v[20:21], v12, s[12:13] scale_offset
	global_load_b64 v[30:31], v12, s[18:19] scale_offset
	v_dual_mov_b32 v24, 0 :: v_dual_mov_b32 v23, 0
	s_wait_xcnt 0x3
	v_dual_mov_b32 v22, 0 :: v_dual_mov_b32 v19, 0
	s_wait_xcnt 0x2
	v_dual_mov_b32 v18, 0 :: v_dual_mov_b32 v17, 0
	v_dual_mov_b32 v16, 0 :: v_dual_mov_b32 v15, 0
	;; [unrolled: 1-line block ×3, first 2 shown]
	s_wait_xcnt 0x0
	v_mov_b32_e32 v12, 0
	s_and_b32 vcc_lo, exec_lo, s0
	s_cbranch_vccnz .LBB119_6
; %bb.4:                                ;   in Loop: Header=BB119_3 Depth=1
	s_lshl_b64 s[24:25], s[2:3], 3
	v_mov_b32_e32 v12, 0
	s_add_nc_u64 s[26:27], s[10:11], s[24:25]
	s_add_nc_u64 s[24:25], s[4:5], s[24:25]
	s_clause 0x1
	global_load_b64 v[28:29], v3, s[26:27]
	global_load_b64 v[34:35], v3, s[24:25]
	s_wait_xcnt 0x0
	s_mov_b64 s[24:25], 0
	v_dual_mov_b32 v13, v12 :: v_dual_mov_b32 v14, v12
	v_dual_mov_b32 v15, v12 :: v_dual_mov_b32 v16, v12
	;; [unrolled: 1-line block ×6, first 2 shown]
	v_mov_b32_e32 v27, v12
	s_wait_loadcnt 0x1
	v_add_nc_u64_e32 v[32:33], v[28:29], v[6:7]
	s_wait_loadcnt 0x0
	v_add_nc_u64_e32 v[34:35], v[34:35], v[8:9]
	v_dual_mov_b32 v28, v12 :: v_dual_mov_b32 v29, v12
.LBB119_5:                              ;   Parent Loop BB119_3 Depth=1
                                        ; =>  This Inner Loop Header: Depth=2
	flat_load_u16 v39, v[34:35]
	flat_load_u16 v40, v[32:33]
	s_add_nc_u64 s[24:25], s[24:25], 4
	s_wait_xcnt 0x0
	v_add_nc_u64_e32 v[32:33], s[14:15], v[32:33]
	v_cmp_lt_i64_e64 s26, s[24:25], s[28:29]
	v_add_nc_u64_e32 v[34:35], s[6:7], v[34:35]
	s_and_b32 vcc_lo, exec_lo, s26
	s_wait_loadcnt_dscnt 0x101
	v_cvt_f32_f16_e32 v39, v39
	s_wait_loadcnt_dscnt 0x0
	v_cvt_f32_f16_e32 v40, v40
	ds_store_b32 v2, v39
	ds_store_b32 v36, v40
	s_wait_dscnt 0x0
	s_barrier_signal -1
	s_barrier_wait -1
	ds_load_2addr_b32 v[56:57], v37 offset1:16
	ds_load_2addr_b32 v[58:59], v37 offset0:64 offset1:80
	ds_load_2addr_b32 v[60:61], v37 offset0:128 offset1:144
	;; [unrolled: 1-line block ×6, first 2 shown]
	ds_load_b128 v[40:43], v38
	ds_load_b128 v[44:47], v38 offset:256
	ds_load_2addr_b32 v[70:71], v37 offset0:224 offset1:240
	ds_load_b128 v[48:51], v38 offset:512
	ds_load_b128 v[52:55], v38 offset:768
	s_wait_dscnt 0x0
	s_barrier_signal -1
	s_barrier_wait -1
	v_dual_mov_b32 v72, v57 :: v_dual_mov_b32 v73, v56
	v_dual_mov_b32 v56, v59 :: v_dual_mov_b32 v57, v58
	;; [unrolled: 1-line block ×6, first 2 shown]
	v_pk_fma_f32 v[28:29], v[72:73], v[40:41], v[28:29] op_sel_hi:[1,0,1]
	v_pk_fma_f32 v[24:25], v[72:73], v[44:45], v[24:25] op_sel_hi:[1,0,1]
	s_delay_alu instid0(VALU_DEP_4)
	v_pk_fma_f32 v[26:27], v[62:63], v[40:41], v[26:27] op_sel_hi:[1,0,1]
	v_pk_fma_f32 v[18:19], v[72:73], v[48:49], v[18:19] op_sel_hi:[1,0,1]
	;; [unrolled: 1-line block ×6, first 2 shown]
	v_dual_mov_b32 v66, v69 :: v_dual_mov_b32 v67, v68
	v_pk_fma_f32 v[28:29], v[56:57], v[40:41], v[28:29] op_sel:[0,1,0]
	v_pk_fma_f32 v[26:27], v[64:65], v[40:41], v[26:27] op_sel:[0,1,0]
	v_pk_fma_f32 v[24:25], v[56:57], v[44:45], v[24:25] op_sel:[0,1,0]
	v_pk_fma_f32 v[18:19], v[56:57], v[48:49], v[18:19] op_sel:[0,1,0]
	v_pk_fma_f32 v[14:15], v[56:57], v[52:53], v[14:15] op_sel:[0,1,0]
	v_pk_fma_f32 v[22:23], v[64:65], v[44:45], v[22:23] op_sel:[0,1,0]
	v_pk_fma_f32 v[16:17], v[64:65], v[48:49], v[16:17] op_sel:[0,1,0]
	v_pk_fma_f32 v[12:13], v[64:65], v[52:53], v[12:13] op_sel:[0,1,0]
	v_dual_mov_b32 v68, v43 :: v_dual_mov_b32 v74, v71
	v_dual_mov_b32 v75, v70 :: v_dual_mov_b32 v70, v47
	;; [unrolled: 1-line block ×3, first 2 shown]
	v_pk_fma_f32 v[28:29], v[58:59], v[42:43], v[28:29] op_sel_hi:[1,0,1]
	v_pk_fma_f32 v[26:27], v[66:67], v[42:43], v[26:27] op_sel_hi:[1,0,1]
	v_pk_fma_f32 v[24:25], v[58:59], v[46:47], v[24:25] op_sel_hi:[1,0,1]
	v_pk_fma_f32 v[22:23], v[66:67], v[46:47], v[22:23] op_sel_hi:[1,0,1]
	v_pk_fma_f32 v[18:19], v[58:59], v[50:51], v[18:19] op_sel_hi:[1,0,1]
	v_pk_fma_f32 v[16:17], v[66:67], v[50:51], v[16:17] op_sel_hi:[1,0,1]
	v_pk_fma_f32 v[14:15], v[58:59], v[54:55], v[14:15] op_sel_hi:[1,0,1]
	v_pk_fma_f32 v[12:13], v[66:67], v[54:55], v[12:13] op_sel_hi:[1,0,1]
	v_pk_fma_f32 v[28:29], v[60:61], v[68:69], v[28:29] op_sel_hi:[1,0,1]
	v_pk_fma_f32 v[26:27], v[74:75], v[68:69], v[26:27] op_sel_hi:[1,0,1]
	v_pk_fma_f32 v[24:25], v[60:61], v[70:71], v[24:25] op_sel_hi:[1,0,1]
	v_pk_fma_f32 v[22:23], v[74:75], v[70:71], v[22:23] op_sel_hi:[1,0,1]
	v_pk_fma_f32 v[18:19], v[60:61], v[76:77], v[18:19] op_sel_hi:[1,0,1]
	v_pk_fma_f32 v[16:17], v[74:75], v[76:77], v[16:17] op_sel_hi:[1,0,1]
	v_pk_fma_f32 v[14:15], v[60:61], v[78:79], v[14:15] op_sel_hi:[1,0,1]
	v_pk_fma_f32 v[12:13], v[74:75], v[78:79], v[12:13] op_sel_hi:[1,0,1]
	s_cbranch_vccnz .LBB119_5
.LBB119_6:                              ;   in Loop: Header=BB119_3 Depth=1
	s_wait_loadcnt 0x0
	v_add_nc_u64_e32 v[30:31], s[8:9], v[30:31]
	s_and_not1_b32 vcc_lo, exec_lo, s1
	s_delay_alu instid0(VALU_DEP_1) | instskip(NEXT) | instid1(VALU_DEP_1)
	v_lshl_add_u64 v[30:31], v[0:1], 2, v[30:31]
	v_add_nc_u64_e32 v[32:33], v[30:31], v[10:11]
	v_add_nc_u64_e32 v[30:31], s[20:21], v[30:31]
	s_cbranch_vccnz .LBB119_8
; %bb.7:                                ;   in Loop: Header=BB119_3 Depth=1
	v_dual_mul_f32 v39, s30, v29 :: v_dual_mul_f32 v40, s30, v28
	s_delay_alu instid0(VALU_DEP_2)
	v_add_nc_u64_e32 v[34:35], s[20:21], v[30:31]
	v_dual_mul_f32 v41, s30, v27 :: v_dual_mul_f32 v42, s30, v26
	s_clause 0x3
	flat_store_b32 v[32:33], v39
	flat_store_b32 v[32:33], v40 offset:64
	flat_store_b32 v[32:33], v41 offset:128
	;; [unrolled: 1-line block ×3, first 2 shown]
	s_wait_xcnt 0x1
	v_add_nc_u64_e32 v[40:41], v[30:31], v[10:11]
	v_dual_mul_f32 v39, s30, v25 :: v_dual_mul_f32 v44, s30, v24
	s_wait_xcnt 0x0
	v_add_nc_u64_e32 v[42:43], v[34:35], v[10:11]
	v_add_nc_u64_e32 v[34:35], s[20:21], v[34:35]
	v_dual_mul_f32 v45, s30, v23 :: v_dual_mul_f32 v46, s30, v22
	s_clause 0x3
	flat_store_b32 v[40:41], v39
	flat_store_b32 v[40:41], v44 offset:64
	flat_store_b32 v[40:41], v45 offset:128
	;; [unrolled: 1-line block ×3, first 2 shown]
	s_wait_xcnt 0x0
	v_dual_mul_f32 v39, s30, v19 :: v_dual_mul_f32 v40, s30, v18
	v_dual_mul_f32 v41, s30, v17 :: v_dual_mul_f32 v44, s30, v16
	v_add_nc_u64_e32 v[34:35], v[34:35], v[10:11]
	s_clause 0x3
	flat_store_b32 v[42:43], v39
	flat_store_b32 v[42:43], v40 offset:64
	flat_store_b32 v[42:43], v41 offset:128
	;; [unrolled: 1-line block ×3, first 2 shown]
	s_wait_xcnt 0x2
	v_dual_mul_f32 v39, s30, v15 :: v_dual_mul_f32 v40, s30, v14
	s_wait_xcnt 0x0
	v_dual_mul_f32 v41, s30, v13 :: v_dual_mul_f32 v42, s30, v12
	s_clause 0x3
	flat_store_b32 v[34:35], v39
	flat_store_b32 v[34:35], v40 offset:64
	flat_store_b32 v[34:35], v41 offset:128
	;; [unrolled: 1-line block ×3, first 2 shown]
	s_cbranch_execnz .LBB119_2
	s_branch .LBB119_9
.LBB119_8:                              ;   in Loop: Header=BB119_3 Depth=1
.LBB119_9:                              ;   in Loop: Header=BB119_3 Depth=1
	v_add_nc_u64_e32 v[20:21], s[16:17], v[20:21]
	s_delay_alu instid0(VALU_DEP_1) | instskip(SKIP_1) | instid1(VALU_DEP_1)
	v_lshl_add_u64 v[20:21], v[4:5], 2, v[20:21]
	s_wait_xcnt 0x0
	v_add_nc_u64_e32 v[34:35], v[20:21], v[10:11]
	v_add_nc_u64_e32 v[20:21], s[22:23], v[20:21]
	flat_load_b32 v39, v[34:35]
	s_wait_loadcnt_dscnt 0x0
	v_mul_f32_e32 v39, s33, v39
	s_delay_alu instid0(VALU_DEP_1) | instskip(SKIP_4) | instid1(VALU_DEP_1)
	v_fmac_f32_e32 v39, s30, v29
	flat_store_b32 v[32:33], v39
	flat_load_b32 v29, v[34:35] offset:64
	s_wait_loadcnt_dscnt 0x0
	v_mul_f32_e32 v29, s33, v29
	v_fmac_f32_e32 v29, s30, v28
	flat_store_b32 v[32:33], v29 offset:64
	flat_load_b32 v28, v[34:35] offset:128
	s_wait_loadcnt_dscnt 0x0
	v_mul_f32_e32 v28, s33, v28
	s_delay_alu instid0(VALU_DEP_1)
	v_fmac_f32_e32 v28, s30, v27
	flat_store_b32 v[32:33], v28 offset:128
	flat_load_b32 v27, v[34:35] offset:192
	s_wait_xcnt 0x1
	v_add_nc_u64_e32 v[28:29], v[20:21], v[10:11]
	v_add_nc_u64_e32 v[20:21], s[22:23], v[20:21]
	s_wait_loadcnt_dscnt 0x0
	v_mul_f32_e32 v27, s33, v27
	s_delay_alu instid0(VALU_DEP_1)
	v_fmac_f32_e32 v27, s30, v26
	flat_store_b32 v[32:33], v27 offset:192
	flat_load_b32 v26, v[28:29]
	s_wait_loadcnt_dscnt 0x0
	s_wait_xcnt 0x1
	v_mul_f32_e32 v32, s33, v26
	v_add_nc_u64_e32 v[26:27], v[30:31], v[10:11]
	s_delay_alu instid0(VALU_DEP_2) | instskip(SKIP_4) | instid1(VALU_DEP_1)
	v_fmac_f32_e32 v32, s30, v25
	flat_store_b32 v[26:27], v32
	flat_load_b32 v25, v[28:29] offset:64
	s_wait_loadcnt_dscnt 0x0
	v_mul_f32_e32 v25, s33, v25
	v_fmac_f32_e32 v25, s30, v24
	flat_store_b32 v[26:27], v25 offset:64
	flat_load_b32 v24, v[28:29] offset:128
	s_wait_loadcnt_dscnt 0x0
	v_mul_f32_e32 v24, s33, v24
	s_delay_alu instid0(VALU_DEP_1)
	v_fmac_f32_e32 v24, s30, v23
	flat_store_b32 v[26:27], v24 offset:128
	flat_load_b32 v23, v[28:29] offset:192
	s_wait_xcnt 0x1
	v_add_nc_u64_e32 v[24:25], v[20:21], v[10:11]
	s_wait_loadcnt_dscnt 0x0
	v_mul_f32_e32 v23, s33, v23
	s_delay_alu instid0(VALU_DEP_1)
	v_fmac_f32_e32 v23, s30, v22
	flat_store_b32 v[26:27], v23 offset:192
	flat_load_b32 v26, v[24:25]
	v_add_nc_u64_e32 v[22:23], s[20:21], v[30:31]
	s_wait_loadcnt_dscnt 0x0
	v_mul_f32_e32 v28, s33, v26
	s_delay_alu instid0(VALU_DEP_2) | instskip(NEXT) | instid1(VALU_DEP_2)
	v_add_nc_u64_e32 v[26:27], v[22:23], v[10:11]
	v_fmac_f32_e32 v28, s30, v19
	flat_store_b32 v[26:27], v28
	flat_load_b32 v19, v[24:25] offset:64
	s_wait_loadcnt_dscnt 0x0
	v_mul_f32_e32 v19, s33, v19
	s_delay_alu instid0(VALU_DEP_1) | instskip(SKIP_4) | instid1(VALU_DEP_1)
	v_fmac_f32_e32 v19, s30, v18
	flat_store_b32 v[26:27], v19 offset:64
	flat_load_b32 v18, v[24:25] offset:128
	s_wait_loadcnt_dscnt 0x0
	v_mul_f32_e32 v18, s33, v18
	v_fmac_f32_e32 v18, s30, v17
	flat_store_b32 v[26:27], v18 offset:128
	flat_load_b32 v17, v[24:25] offset:192
	s_wait_xcnt 0x1
	v_add_nc_u64_e32 v[18:19], s[22:23], v[20:21]
	s_delay_alu instid0(VALU_DEP_1) | instskip(SKIP_2) | instid1(VALU_DEP_1)
	v_add_nc_u64_e32 v[18:19], v[18:19], v[10:11]
	s_wait_loadcnt_dscnt 0x0
	v_mul_f32_e32 v17, s33, v17
	v_fmac_f32_e32 v17, s30, v16
	flat_store_b32 v[26:27], v17 offset:192
	flat_load_b32 v20, v[18:19]
	s_wait_xcnt 0x1
	v_add_nc_u64_e32 v[16:17], s[20:21], v[22:23]
	s_delay_alu instid0(VALU_DEP_1) | instskip(SKIP_2) | instid1(VALU_DEP_1)
	v_add_nc_u64_e32 v[16:17], v[16:17], v[10:11]
	s_wait_loadcnt_dscnt 0x0
	v_mul_f32_e32 v20, s33, v20
	v_fmac_f32_e32 v20, s30, v15
	flat_store_b32 v[16:17], v20
	flat_load_b32 v15, v[18:19] offset:64
	s_wait_loadcnt_dscnt 0x0
	v_mul_f32_e32 v15, s33, v15
	s_delay_alu instid0(VALU_DEP_1) | instskip(SKIP_4) | instid1(VALU_DEP_1)
	v_fmac_f32_e32 v15, s30, v14
	flat_store_b32 v[16:17], v15 offset:64
	flat_load_b32 v14, v[18:19] offset:128
	s_wait_loadcnt_dscnt 0x0
	v_mul_f32_e32 v14, s33, v14
	v_fmac_f32_e32 v14, s30, v13
	flat_store_b32 v[16:17], v14 offset:128
	flat_load_b32 v13, v[18:19] offset:192
	s_wait_loadcnt_dscnt 0x0
	v_mul_f32_e32 v13, s33, v13
	s_delay_alu instid0(VALU_DEP_1)
	v_fmac_f32_e32 v13, s30, v12
	flat_store_b32 v[16:17], v13 offset:192
	s_branch .LBB119_2
.LBB119_10:
	s_sendmsg sendmsg(MSG_DEALLOC_VGPRS)
	s_endpgm
	.section	.rodata,"a",@progbits
	.p2align	6, 0x0
	.amdhsa_kernel _ZN12_GLOBAL__N_127rocblas_gemm_batched_kernelIfLi16ELi16ELi64ELi64ELi4ELi64ELi4ELi4ELi64ELc78ELc67EKPKDF16_KPKfKPfEEvlllT_PT11_llSB_llS9_PT12_llPT13_lli
		.amdhsa_group_segment_fixed_size 2048
		.amdhsa_private_segment_fixed_size 0
		.amdhsa_kernarg_size 140
		.amdhsa_user_sgpr_count 2
		.amdhsa_user_sgpr_dispatch_ptr 0
		.amdhsa_user_sgpr_queue_ptr 0
		.amdhsa_user_sgpr_kernarg_segment_ptr 1
		.amdhsa_user_sgpr_dispatch_id 0
		.amdhsa_user_sgpr_kernarg_preload_length 0
		.amdhsa_user_sgpr_kernarg_preload_offset 0
		.amdhsa_user_sgpr_private_segment_size 0
		.amdhsa_wavefront_size32 1
		.amdhsa_uses_dynamic_stack 0
		.amdhsa_enable_private_segment 0
		.amdhsa_system_sgpr_workgroup_id_x 1
		.amdhsa_system_sgpr_workgroup_id_y 1
		.amdhsa_system_sgpr_workgroup_id_z 1
		.amdhsa_system_sgpr_workgroup_info 0
		.amdhsa_system_vgpr_workitem_id 1
		.amdhsa_next_free_vgpr 80
		.amdhsa_next_free_sgpr 38
		.amdhsa_named_barrier_count 0
		.amdhsa_reserve_vcc 1
		.amdhsa_float_round_mode_32 0
		.amdhsa_float_round_mode_16_64 0
		.amdhsa_float_denorm_mode_32 3
		.amdhsa_float_denorm_mode_16_64 3
		.amdhsa_fp16_overflow 0
		.amdhsa_memory_ordered 1
		.amdhsa_forward_progress 1
		.amdhsa_inst_pref_size 19
		.amdhsa_round_robin_scheduling 0
		.amdhsa_exception_fp_ieee_invalid_op 0
		.amdhsa_exception_fp_denorm_src 0
		.amdhsa_exception_fp_ieee_div_zero 0
		.amdhsa_exception_fp_ieee_overflow 0
		.amdhsa_exception_fp_ieee_underflow 0
		.amdhsa_exception_fp_ieee_inexact 0
		.amdhsa_exception_int_div_zero 0
	.end_amdhsa_kernel
	.section	.text._ZN12_GLOBAL__N_127rocblas_gemm_batched_kernelIfLi16ELi16ELi64ELi64ELi4ELi64ELi4ELi4ELi64ELc78ELc67EKPKDF16_KPKfKPfEEvlllT_PT11_llSB_llS9_PT12_llPT13_lli,"axG",@progbits,_ZN12_GLOBAL__N_127rocblas_gemm_batched_kernelIfLi16ELi16ELi64ELi64ELi4ELi64ELi4ELi4ELi64ELc78ELc67EKPKDF16_KPKfKPfEEvlllT_PT11_llSB_llS9_PT12_llPT13_lli,comdat
.Lfunc_end119:
	.size	_ZN12_GLOBAL__N_127rocblas_gemm_batched_kernelIfLi16ELi16ELi64ELi64ELi4ELi64ELi4ELi4ELi64ELc78ELc67EKPKDF16_KPKfKPfEEvlllT_PT11_llSB_llS9_PT12_llPT13_lli, .Lfunc_end119-_ZN12_GLOBAL__N_127rocblas_gemm_batched_kernelIfLi16ELi16ELi64ELi64ELi4ELi64ELi4ELi4ELi64ELc78ELc67EKPKDF16_KPKfKPfEEvlllT_PT11_llSB_llS9_PT12_llPT13_lli
                                        ; -- End function
	.set _ZN12_GLOBAL__N_127rocblas_gemm_batched_kernelIfLi16ELi16ELi64ELi64ELi4ELi64ELi4ELi4ELi64ELc78ELc67EKPKDF16_KPKfKPfEEvlllT_PT11_llSB_llS9_PT12_llPT13_lli.num_vgpr, 80
	.set _ZN12_GLOBAL__N_127rocblas_gemm_batched_kernelIfLi16ELi16ELi64ELi64ELi4ELi64ELi4ELi4ELi64ELc78ELc67EKPKDF16_KPKfKPfEEvlllT_PT11_llSB_llS9_PT12_llPT13_lli.num_agpr, 0
	.set _ZN12_GLOBAL__N_127rocblas_gemm_batched_kernelIfLi16ELi16ELi64ELi64ELi4ELi64ELi4ELi4ELi64ELc78ELc67EKPKDF16_KPKfKPfEEvlllT_PT11_llSB_llS9_PT12_llPT13_lli.numbered_sgpr, 38
	.set _ZN12_GLOBAL__N_127rocblas_gemm_batched_kernelIfLi16ELi16ELi64ELi64ELi4ELi64ELi4ELi4ELi64ELc78ELc67EKPKDF16_KPKfKPfEEvlllT_PT11_llSB_llS9_PT12_llPT13_lli.num_named_barrier, 0
	.set _ZN12_GLOBAL__N_127rocblas_gemm_batched_kernelIfLi16ELi16ELi64ELi64ELi4ELi64ELi4ELi4ELi64ELc78ELc67EKPKDF16_KPKfKPfEEvlllT_PT11_llSB_llS9_PT12_llPT13_lli.private_seg_size, 0
	.set _ZN12_GLOBAL__N_127rocblas_gemm_batched_kernelIfLi16ELi16ELi64ELi64ELi4ELi64ELi4ELi4ELi64ELc78ELc67EKPKDF16_KPKfKPfEEvlllT_PT11_llSB_llS9_PT12_llPT13_lli.uses_vcc, 1
	.set _ZN12_GLOBAL__N_127rocblas_gemm_batched_kernelIfLi16ELi16ELi64ELi64ELi4ELi64ELi4ELi4ELi64ELc78ELc67EKPKDF16_KPKfKPfEEvlllT_PT11_llSB_llS9_PT12_llPT13_lli.uses_flat_scratch, 1
	.set _ZN12_GLOBAL__N_127rocblas_gemm_batched_kernelIfLi16ELi16ELi64ELi64ELi4ELi64ELi4ELi4ELi64ELc78ELc67EKPKDF16_KPKfKPfEEvlllT_PT11_llSB_llS9_PT12_llPT13_lli.has_dyn_sized_stack, 0
	.set _ZN12_GLOBAL__N_127rocblas_gemm_batched_kernelIfLi16ELi16ELi64ELi64ELi4ELi64ELi4ELi4ELi64ELc78ELc67EKPKDF16_KPKfKPfEEvlllT_PT11_llSB_llS9_PT12_llPT13_lli.has_recursion, 0
	.set _ZN12_GLOBAL__N_127rocblas_gemm_batched_kernelIfLi16ELi16ELi64ELi64ELi4ELi64ELi4ELi4ELi64ELc78ELc67EKPKDF16_KPKfKPfEEvlllT_PT11_llSB_llS9_PT12_llPT13_lli.has_indirect_call, 0
	.section	.AMDGPU.csdata,"",@progbits
; Kernel info:
; codeLenInByte = 2408
; TotalNumSgprs: 40
; NumVgprs: 80
; ScratchSize: 0
; MemoryBound: 0
; FloatMode: 240
; IeeeMode: 1
; LDSByteSize: 2048 bytes/workgroup (compile time only)
; SGPRBlocks: 0
; VGPRBlocks: 4
; NumSGPRsForWavesPerEU: 40
; NumVGPRsForWavesPerEU: 80
; NamedBarCnt: 0
; Occupancy: 12
; WaveLimiterHint : 1
; COMPUTE_PGM_RSRC2:SCRATCH_EN: 0
; COMPUTE_PGM_RSRC2:USER_SGPR: 2
; COMPUTE_PGM_RSRC2:TRAP_HANDLER: 0
; COMPUTE_PGM_RSRC2:TGID_X_EN: 1
; COMPUTE_PGM_RSRC2:TGID_Y_EN: 1
; COMPUTE_PGM_RSRC2:TGID_Z_EN: 1
; COMPUTE_PGM_RSRC2:TIDIG_COMP_CNT: 1
	.section	.text._ZN12_GLOBAL__N_127rocblas_gemm_batched_kernelIfLi16ELi16ELi64ELi64ELi4ELi64ELi4ELi4ELi64ELc84ELc67EKPKDF16_KPKfKPfEEvlllT_PT11_llSB_llS9_PT12_llPT13_lli,"axG",@progbits,_ZN12_GLOBAL__N_127rocblas_gemm_batched_kernelIfLi16ELi16ELi64ELi64ELi4ELi64ELi4ELi4ELi64ELc84ELc67EKPKDF16_KPKfKPfEEvlllT_PT11_llSB_llS9_PT12_llPT13_lli,comdat
	.globl	_ZN12_GLOBAL__N_127rocblas_gemm_batched_kernelIfLi16ELi16ELi64ELi64ELi4ELi64ELi4ELi4ELi64ELc84ELc67EKPKDF16_KPKfKPfEEvlllT_PT11_llSB_llS9_PT12_llPT13_lli ; -- Begin function _ZN12_GLOBAL__N_127rocblas_gemm_batched_kernelIfLi16ELi16ELi64ELi64ELi4ELi64ELi4ELi4ELi64ELc84ELc67EKPKDF16_KPKfKPfEEvlllT_PT11_llSB_llS9_PT12_llPT13_lli
	.p2align	8
	.type	_ZN12_GLOBAL__N_127rocblas_gemm_batched_kernelIfLi16ELi16ELi64ELi64ELi4ELi64ELi4ELi4ELi64ELc84ELc67EKPKDF16_KPKfKPfEEvlllT_PT11_llSB_llS9_PT12_llPT13_lli,@function
_ZN12_GLOBAL__N_127rocblas_gemm_batched_kernelIfLi16ELi16ELi64ELi64ELi4ELi64ELi4ELi4ELi64ELc84ELc67EKPKDF16_KPKfKPfEEvlllT_PT11_llSB_llS9_PT12_llPT13_lli: ; @_ZN12_GLOBAL__N_127rocblas_gemm_batched_kernelIfLi16ELi16ELi64ELi64ELi4ELi64ELi4ELi4ELi64ELc84ELc67EKPKDF16_KPKfKPfEEvlllT_PT11_llSB_llS9_PT12_llPT13_lli
; %bb.0:
	s_load_b32 s31, s[0:1], 0x88
	s_bfe_u32 s2, ttmp6, 0x40014
	s_lshr_b32 s3, ttmp7, 16
	s_add_co_i32 s2, s2, 1
	s_bfe_u32 s4, ttmp6, 0x40008
	s_mul_i32 s2, s3, s2
	s_getreg_b32 s28, hwreg(HW_REG_IB_STS2, 6, 4)
	s_add_co_i32 s4, s4, s2
	s_cmp_eq_u32 s28, 0
	s_cselect_b32 s2, s3, s4
	s_mov_b32 s3, 0
	s_wait_kmcnt 0x0
	s_cmp_ge_i32 s2, s31
	s_cbranch_scc1 .LBB120_10
; %bb.1:
	v_bfe_u32 v2, v0, 10, 10
	v_and_b32_e32 v6, 0x3ff, v0
	s_bfe_u32 s30, ttmp6, 0x4000c
	s_bfe_u32 s34, ttmp6, 0x40010
	s_clause 0x2
	s_load_b256 s[4:11], s[0:1], 0x20
	s_load_b128 s[24:27], s[0:1], 0x40
	s_load_b128 s[20:23], s[0:1], 0x78
	v_dual_mov_b32 v3, 0 :: v_dual_lshlrev_b32 v14, 4, v2
	s_and_b32 s33, ttmp7, 0xffff
	s_add_co_i32 s30, s30, 1
	s_add_co_i32 s34, s34, 1
	s_and_b32 s29, ttmp6, 15
	s_mul_i32 s30, ttmp9, s30
	s_mul_i32 s34, s33, s34
	s_bfe_u32 s35, ttmp6, 0x40004
	v_dual_add_nc_u32 v7, v14, v6 :: v_dual_bitop2_b32 v16, 3, v0 bitop3:0x40
	s_add_co_i32 s29, s29, s30
	s_add_co_i32 s35, s35, s34
	s_cmp_eq_u32 s28, 0
	s_delay_alu instid0(VALU_DEP_1)
	v_dual_lshrrev_b32 v8, 2, v7 :: v_dual_bitop2_b32 v15, 63, v7 bitop3:0x40
	s_cselect_b32 s28, ttmp9, s29
	s_cselect_b32 s30, s33, s35
	s_ashr_i32 s29, s28, 31
	s_load_b256 s[12:19], s[0:1], 0x58
	s_lshl_b64 s[34:35], s[28:29], 6
	s_delay_alu instid0(SALU_CYCLE_1)
	v_dual_mov_b32 v9, v3 :: v_dual_bitop2_b32 v0, s34, v15 bitop3:0x54
	v_mov_b32_e32 v1, s35
	s_load_b32 s33, s[0:1], 0x50
	v_add_nc_u32_e32 v39, 0x400, v14
	s_wait_kmcnt 0x0
	v_mad_nc_u64_u32 v[10:11], s24, v16, v[8:9]
	v_lshlrev_b32_e32 v9, 2, v15
	v_mul_u64_e32 v[12:13], s[6:7], v[0:1]
	s_lshl_b32 s6, s30, 6
	s_mov_b32 s7, s3
	s_load_b96 s[28:30], s[0:1], 0x10
	v_add_nc_u64_e32 v[4:5], s[6:7], v[2:3]
	v_dual_lshrrev_b32 v2, 6, v7 :: v_dual_lshlrev_b32 v7, 2, v16
	v_lshlrev_b32_e32 v38, 2, v6
	v_mad_u32 v11, s25, v16, v11
	s_delay_alu instid0(VALU_DEP_3)
	v_lshl_or_b32 v36, v2, 8, v9
	v_mul_u64_e32 v[0:1], s[20:21], v[4:5]
	v_mul_u64_e32 v[4:5], s[14:15], v[4:5]
	v_lshl_or_b32 v15, v8, 4, v7
	v_dual_mov_b32 v7, v3 :: v_dual_lshlrev_b32 v2, 1, v2
	s_cmp_eq_f32 s33, 0
	s_delay_alu instid0(VALU_DEP_2)
	v_add_nc_u32_e32 v37, 0x400, v15
	v_add_nc_u64_e32 v[8:9], s[6:7], v[10:11]
	s_wait_xcnt 0x0
	s_cselect_b32 s1, -1, 0
	v_add_nc_u64_e32 v[10:11], s[34:35], v[6:7]
	s_wait_kmcnt 0x0
	v_cmp_gt_i64_e64 s0, s[28:29], 0
	s_lshl_b64 s[6:7], s[8:9], 1
	s_lshl_b64 s[20:21], s[20:21], 4
	;; [unrolled: 1-line block ×3, first 2 shown]
	v_lshlrev_b64_e32 v[6:7], 1, v[8:9]
	s_lshl_b64 s[8:9], s[22:23], 2
	v_lshlrev_b64_e32 v[10:11], 2, v[10:11]
	s_lshl_b64 s[14:15], s[20:21], 2
	s_lshl_b64 s[16:17], s[16:17], 2
	v_lshl_add_u64 v[8:9], v[12:13], 1, s[6:7]
	v_cndmask_b32_e64 v12, 0, 1, s0
	v_lshl_add_u64 v[6:7], s[26:27], 1, v[6:7]
	s_lshl_b64 s[6:7], s[24:25], 3
	s_lshl_b64 s[20:21], s[34:35], 2
	v_add_nc_u64_e32 v[8:9], v[8:9], v[2:3]
	v_cmp_ne_u32_e64 s0, 1, v12
	s_branch .LBB120_3
.LBB120_2:                              ;   in Loop: Header=BB120_3 Depth=1
	s_add_co_i32 s2, s2, 0x10000
	s_delay_alu instid0(SALU_CYCLE_1)
	s_cmp_lt_i32 s2, s31
	s_cbranch_scc0 .LBB120_10
.LBB120_3:                              ; =>This Loop Header: Depth=1
                                        ;     Child Loop BB120_5 Depth 2
	s_wait_xcnt 0x0
	v_dual_mov_b32 v2, s2 :: v_dual_mov_b32 v29, 0
	v_dual_mov_b32 v28, 0 :: v_dual_mov_b32 v27, 0
	;; [unrolled: 1-line block ×3, first 2 shown]
	s_clause 0x1
	global_load_b64 v[20:21], v2, s[12:13] scale_offset
	global_load_b64 v[30:31], v2, s[18:19] scale_offset
	v_dual_mov_b32 v24, 0 :: v_dual_mov_b32 v23, 0
	v_dual_mov_b32 v22, 0 :: v_dual_mov_b32 v19, 0
	v_dual_mov_b32 v18, 0 :: v_dual_mov_b32 v17, 0
	v_dual_mov_b32 v16, 0 :: v_dual_mov_b32 v15, 0
	v_dual_mov_b32 v14, 0 :: v_dual_mov_b32 v13, 0
	v_mov_b32_e32 v12, 0
	s_and_b32 vcc_lo, exec_lo, s0
	s_cbranch_vccnz .LBB120_6
; %bb.4:                                ;   in Loop: Header=BB120_3 Depth=1
	s_lshl_b64 s[22:23], s[2:3], 3
	v_mov_b32_e32 v12, 0
	s_add_nc_u64 s[24:25], s[10:11], s[22:23]
	s_add_nc_u64 s[22:23], s[4:5], s[22:23]
	s_clause 0x1
	global_load_b64 v[28:29], v3, s[24:25]
	global_load_b64 v[34:35], v3, s[22:23]
	s_wait_xcnt 0x0
	s_mov_b64 s[22:23], 0
	v_dual_mov_b32 v13, v12 :: v_dual_mov_b32 v14, v12
	v_dual_mov_b32 v15, v12 :: v_dual_mov_b32 v16, v12
	v_dual_mov_b32 v17, v12 :: v_dual_mov_b32 v18, v12
	v_dual_mov_b32 v19, v12 :: v_dual_mov_b32 v22, v12
	v_dual_mov_b32 v23, v12 :: v_dual_mov_b32 v24, v12
	v_dual_mov_b32 v25, v12 :: v_dual_mov_b32 v26, v12
	v_mov_b32_e32 v27, v12
	s_wait_loadcnt 0x1
	v_add_nc_u64_e32 v[32:33], v[28:29], v[6:7]
	s_wait_loadcnt 0x0
	v_add_nc_u64_e32 v[34:35], v[34:35], v[8:9]
	v_dual_mov_b32 v28, v12 :: v_dual_mov_b32 v29, v12
.LBB120_5:                              ;   Parent Loop BB120_3 Depth=1
                                        ; =>  This Inner Loop Header: Depth=2
	flat_load_u16 v2, v[34:35]
	flat_load_u16 v40, v[32:33]
	s_add_nc_u64 s[22:23], s[22:23], 4
	s_wait_xcnt 0x0
	v_add_nc_u64_e32 v[32:33], s[6:7], v[32:33]
	v_cmp_lt_i64_e64 s24, s[22:23], s[28:29]
	v_add_nc_u64_e32 v[34:35], 8, v[34:35]
	s_and_b32 vcc_lo, exec_lo, s24
	s_wait_loadcnt_dscnt 0x101
	v_cvt_f32_f16_e32 v2, v2
	s_wait_loadcnt_dscnt 0x0
	v_cvt_f32_f16_e32 v40, v40
	ds_store_b32 v36, v2
	ds_store_b32 v37, v40
	s_wait_dscnt 0x0
	s_barrier_signal -1
	s_barrier_wait -1
	ds_load_2addr_b32 v[56:57], v38 offset1:16
	ds_load_2addr_b32 v[58:59], v38 offset0:64 offset1:80
	ds_load_2addr_b32 v[60:61], v38 offset0:128 offset1:144
	;; [unrolled: 1-line block ×6, first 2 shown]
	ds_load_b128 v[40:43], v39
	ds_load_b128 v[44:47], v39 offset:256
	ds_load_2addr_b32 v[70:71], v38 offset0:224 offset1:240
	ds_load_b128 v[48:51], v39 offset:512
	ds_load_b128 v[52:55], v39 offset:768
	s_wait_dscnt 0x0
	s_barrier_signal -1
	s_barrier_wait -1
	v_dual_mov_b32 v72, v57 :: v_dual_mov_b32 v73, v56
	v_dual_mov_b32 v56, v59 :: v_dual_mov_b32 v57, v58
	;; [unrolled: 1-line block ×6, first 2 shown]
	v_pk_fma_f32 v[28:29], v[72:73], v[40:41], v[28:29] op_sel_hi:[1,0,1]
	v_pk_fma_f32 v[24:25], v[72:73], v[44:45], v[24:25] op_sel_hi:[1,0,1]
	s_delay_alu instid0(VALU_DEP_4)
	v_pk_fma_f32 v[26:27], v[62:63], v[40:41], v[26:27] op_sel_hi:[1,0,1]
	v_pk_fma_f32 v[18:19], v[72:73], v[48:49], v[18:19] op_sel_hi:[1,0,1]
	;; [unrolled: 1-line block ×6, first 2 shown]
	v_dual_mov_b32 v66, v69 :: v_dual_mov_b32 v67, v68
	v_pk_fma_f32 v[28:29], v[56:57], v[40:41], v[28:29] op_sel:[0,1,0]
	v_pk_fma_f32 v[26:27], v[64:65], v[40:41], v[26:27] op_sel:[0,1,0]
	;; [unrolled: 1-line block ×8, first 2 shown]
	v_dual_mov_b32 v2, v43 :: v_dual_mov_b32 v68, v71
	v_dual_mov_b32 v69, v70 :: v_dual_mov_b32 v70, v47
	v_dual_mov_b32 v74, v51 :: v_dual_mov_b32 v76, v55
	v_pk_fma_f32 v[28:29], v[58:59], v[42:43], v[28:29] op_sel_hi:[1,0,1]
	v_pk_fma_f32 v[26:27], v[66:67], v[42:43], v[26:27] op_sel_hi:[1,0,1]
	;; [unrolled: 1-line block ×16, first 2 shown]
	s_cbranch_vccnz .LBB120_5
.LBB120_6:                              ;   in Loop: Header=BB120_3 Depth=1
	s_wait_loadcnt 0x0
	v_add_nc_u64_e32 v[30:31], s[8:9], v[30:31]
	s_and_not1_b32 vcc_lo, exec_lo, s1
	s_delay_alu instid0(VALU_DEP_1) | instskip(NEXT) | instid1(VALU_DEP_1)
	v_lshl_add_u64 v[30:31], v[0:1], 2, v[30:31]
	v_add_nc_u64_e32 v[32:33], v[30:31], v[10:11]
	v_add_nc_u64_e32 v[30:31], s[14:15], v[30:31]
	s_cbranch_vccnz .LBB120_8
; %bb.7:                                ;   in Loop: Header=BB120_3 Depth=1
	s_wait_xcnt 0x0
	v_dual_mul_f32 v2, s30, v29 :: v_dual_mul_f32 v40, s30, v28
	s_delay_alu instid0(VALU_DEP_2)
	v_add_nc_u64_e32 v[34:35], s[14:15], v[30:31]
	v_dual_mul_f32 v41, s30, v27 :: v_dual_mul_f32 v42, s30, v26
	s_clause 0x3
	flat_store_b32 v[32:33], v2
	flat_store_b32 v[32:33], v40 offset:64
	flat_store_b32 v[32:33], v41 offset:128
	flat_store_b32 v[32:33], v42 offset:192
	s_wait_xcnt 0x1
	v_add_nc_u64_e32 v[40:41], v[30:31], v[10:11]
	v_dual_mul_f32 v2, s30, v25 :: v_dual_mul_f32 v44, s30, v24
	s_wait_xcnt 0x0
	v_add_nc_u64_e32 v[42:43], v[34:35], v[10:11]
	v_add_nc_u64_e32 v[34:35], s[14:15], v[34:35]
	v_dual_mul_f32 v45, s30, v23 :: v_dual_mul_f32 v46, s30, v22
	s_clause 0x3
	flat_store_b32 v[40:41], v2
	flat_store_b32 v[40:41], v44 offset:64
	flat_store_b32 v[40:41], v45 offset:128
	;; [unrolled: 1-line block ×3, first 2 shown]
	s_wait_xcnt 0x0
	v_dual_mul_f32 v2, s30, v19 :: v_dual_mul_f32 v40, s30, v18
	v_dual_mul_f32 v41, s30, v17 :: v_dual_mul_f32 v44, s30, v16
	v_add_nc_u64_e32 v[34:35], v[34:35], v[10:11]
	s_clause 0x3
	flat_store_b32 v[42:43], v2
	flat_store_b32 v[42:43], v40 offset:64
	flat_store_b32 v[42:43], v41 offset:128
	flat_store_b32 v[42:43], v44 offset:192
	s_wait_xcnt 0x2
	v_dual_mul_f32 v2, s30, v15 :: v_dual_mul_f32 v40, s30, v14
	s_wait_xcnt 0x0
	v_dual_mul_f32 v41, s30, v13 :: v_dual_mul_f32 v42, s30, v12
	s_clause 0x3
	flat_store_b32 v[34:35], v2
	flat_store_b32 v[34:35], v40 offset:64
	flat_store_b32 v[34:35], v41 offset:128
	;; [unrolled: 1-line block ×3, first 2 shown]
	s_cbranch_execnz .LBB120_2
	s_branch .LBB120_9
.LBB120_8:                              ;   in Loop: Header=BB120_3 Depth=1
.LBB120_9:                              ;   in Loop: Header=BB120_3 Depth=1
	v_add_nc_u64_e32 v[20:21], s[16:17], v[20:21]
	s_delay_alu instid0(VALU_DEP_1) | instskip(SKIP_1) | instid1(VALU_DEP_1)
	v_lshl_add_u64 v[20:21], v[4:5], 2, v[20:21]
	s_wait_xcnt 0x0
	v_add_nc_u64_e32 v[34:35], v[20:21], v[10:11]
	v_add_nc_u64_e32 v[20:21], s[20:21], v[20:21]
	flat_load_b32 v2, v[34:35]
	s_wait_loadcnt_dscnt 0x0
	v_mul_f32_e32 v2, s33, v2
	s_delay_alu instid0(VALU_DEP_1) | instskip(SKIP_4) | instid1(VALU_DEP_1)
	v_fmac_f32_e32 v2, s30, v29
	flat_store_b32 v[32:33], v2
	flat_load_b32 v2, v[34:35] offset:64
	s_wait_loadcnt_dscnt 0x0
	v_mul_f32_e32 v2, s33, v2
	v_fmac_f32_e32 v2, s30, v28
	v_add_nc_u64_e32 v[28:29], v[20:21], v[10:11]
	v_add_nc_u64_e32 v[20:21], s[20:21], v[20:21]
	flat_store_b32 v[32:33], v2 offset:64
	flat_load_b32 v2, v[34:35] offset:128
	s_wait_loadcnt_dscnt 0x0
	v_mul_f32_e32 v2, s33, v2
	s_delay_alu instid0(VALU_DEP_1) | instskip(SKIP_4) | instid1(VALU_DEP_1)
	v_fmac_f32_e32 v2, s30, v27
	flat_store_b32 v[32:33], v2 offset:128
	flat_load_b32 v2, v[34:35] offset:192
	s_wait_loadcnt_dscnt 0x0
	v_mul_f32_e32 v2, s33, v2
	v_fmac_f32_e32 v2, s30, v26
	v_add_nc_u64_e32 v[26:27], v[30:31], v[10:11]
	flat_store_b32 v[32:33], v2 offset:192
	flat_load_b32 v2, v[28:29]
	s_wait_loadcnt_dscnt 0x0
	v_mul_f32_e32 v2, s33, v2
	s_delay_alu instid0(VALU_DEP_1) | instskip(SKIP_4) | instid1(VALU_DEP_1)
	v_fmac_f32_e32 v2, s30, v25
	flat_store_b32 v[26:27], v2
	flat_load_b32 v2, v[28:29] offset:64
	s_wait_loadcnt_dscnt 0x0
	v_mul_f32_e32 v2, s33, v2
	v_fmac_f32_e32 v2, s30, v24
	v_add_nc_u64_e32 v[24:25], v[20:21], v[10:11]
	flat_store_b32 v[26:27], v2 offset:64
	flat_load_b32 v2, v[28:29] offset:128
	s_wait_loadcnt_dscnt 0x0
	v_mul_f32_e32 v2, s33, v2
	s_delay_alu instid0(VALU_DEP_1) | instskip(SKIP_4) | instid1(VALU_DEP_1)
	v_fmac_f32_e32 v2, s30, v23
	flat_store_b32 v[26:27], v2 offset:128
	flat_load_b32 v2, v[28:29] offset:192
	s_wait_loadcnt_dscnt 0x0
	v_mul_f32_e32 v2, s33, v2
	v_fmac_f32_e32 v2, s30, v22
	v_add_nc_u64_e32 v[22:23], s[14:15], v[30:31]
	flat_store_b32 v[26:27], v2 offset:192
	flat_load_b32 v2, v[24:25]
	v_add_nc_u64_e32 v[26:27], v[22:23], v[10:11]
	s_wait_loadcnt_dscnt 0x0
	v_mul_f32_e32 v2, s33, v2
	s_delay_alu instid0(VALU_DEP_1) | instskip(SKIP_4) | instid1(VALU_DEP_1)
	v_fmac_f32_e32 v2, s30, v19
	flat_store_b32 v[26:27], v2
	flat_load_b32 v2, v[24:25] offset:64
	s_wait_loadcnt_dscnt 0x0
	v_mul_f32_e32 v2, s33, v2
	v_fmac_f32_e32 v2, s30, v18
	v_add_nc_u64_e32 v[18:19], s[20:21], v[20:21]
	flat_store_b32 v[26:27], v2 offset:64
	flat_load_b32 v2, v[24:25] offset:128
	v_add_nc_u64_e32 v[18:19], v[18:19], v[10:11]
	s_wait_loadcnt_dscnt 0x0
	v_mul_f32_e32 v2, s33, v2
	s_delay_alu instid0(VALU_DEP_1) | instskip(SKIP_4) | instid1(VALU_DEP_1)
	v_fmac_f32_e32 v2, s30, v17
	flat_store_b32 v[26:27], v2 offset:128
	flat_load_b32 v2, v[24:25] offset:192
	s_wait_loadcnt_dscnt 0x0
	v_mul_f32_e32 v2, s33, v2
	v_fmac_f32_e32 v2, s30, v16
	v_add_nc_u64_e32 v[16:17], s[14:15], v[22:23]
	flat_store_b32 v[26:27], v2 offset:192
	flat_load_b32 v2, v[18:19]
	v_add_nc_u64_e32 v[16:17], v[16:17], v[10:11]
	s_wait_loadcnt_dscnt 0x0
	v_mul_f32_e32 v2, s33, v2
	s_delay_alu instid0(VALU_DEP_1) | instskip(SKIP_4) | instid1(VALU_DEP_1)
	v_fmac_f32_e32 v2, s30, v15
	flat_store_b32 v[16:17], v2
	flat_load_b32 v2, v[18:19] offset:64
	s_wait_loadcnt_dscnt 0x0
	v_mul_f32_e32 v2, s33, v2
	v_fmac_f32_e32 v2, s30, v14
	flat_store_b32 v[16:17], v2 offset:64
	flat_load_b32 v2, v[18:19] offset:128
	s_wait_loadcnt_dscnt 0x0
	v_mul_f32_e32 v2, s33, v2
	s_delay_alu instid0(VALU_DEP_1) | instskip(SKIP_4) | instid1(VALU_DEP_1)
	v_fmac_f32_e32 v2, s30, v13
	flat_store_b32 v[16:17], v2 offset:128
	flat_load_b32 v2, v[18:19] offset:192
	s_wait_loadcnt_dscnt 0x0
	v_mul_f32_e32 v2, s33, v2
	v_fmac_f32_e32 v2, s30, v12
	flat_store_b32 v[16:17], v2 offset:192
	s_branch .LBB120_2
.LBB120_10:
	s_sendmsg sendmsg(MSG_DEALLOC_VGPRS)
	s_endpgm
	.section	.rodata,"a",@progbits
	.p2align	6, 0x0
	.amdhsa_kernel _ZN12_GLOBAL__N_127rocblas_gemm_batched_kernelIfLi16ELi16ELi64ELi64ELi4ELi64ELi4ELi4ELi64ELc84ELc67EKPKDF16_KPKfKPfEEvlllT_PT11_llSB_llS9_PT12_llPT13_lli
		.amdhsa_group_segment_fixed_size 2048
		.amdhsa_private_segment_fixed_size 0
		.amdhsa_kernarg_size 140
		.amdhsa_user_sgpr_count 2
		.amdhsa_user_sgpr_dispatch_ptr 0
		.amdhsa_user_sgpr_queue_ptr 0
		.amdhsa_user_sgpr_kernarg_segment_ptr 1
		.amdhsa_user_sgpr_dispatch_id 0
		.amdhsa_user_sgpr_kernarg_preload_length 0
		.amdhsa_user_sgpr_kernarg_preload_offset 0
		.amdhsa_user_sgpr_private_segment_size 0
		.amdhsa_wavefront_size32 1
		.amdhsa_uses_dynamic_stack 0
		.amdhsa_enable_private_segment 0
		.amdhsa_system_sgpr_workgroup_id_x 1
		.amdhsa_system_sgpr_workgroup_id_y 1
		.amdhsa_system_sgpr_workgroup_id_z 1
		.amdhsa_system_sgpr_workgroup_info 0
		.amdhsa_system_vgpr_workitem_id 1
		.amdhsa_next_free_vgpr 78
		.amdhsa_next_free_sgpr 36
		.amdhsa_named_barrier_count 0
		.amdhsa_reserve_vcc 1
		.amdhsa_float_round_mode_32 0
		.amdhsa_float_round_mode_16_64 0
		.amdhsa_float_denorm_mode_32 3
		.amdhsa_float_denorm_mode_16_64 3
		.amdhsa_fp16_overflow 0
		.amdhsa_memory_ordered 1
		.amdhsa_forward_progress 1
		.amdhsa_inst_pref_size 19
		.amdhsa_round_robin_scheduling 0
		.amdhsa_exception_fp_ieee_invalid_op 0
		.amdhsa_exception_fp_denorm_src 0
		.amdhsa_exception_fp_ieee_div_zero 0
		.amdhsa_exception_fp_ieee_overflow 0
		.amdhsa_exception_fp_ieee_underflow 0
		.amdhsa_exception_fp_ieee_inexact 0
		.amdhsa_exception_int_div_zero 0
	.end_amdhsa_kernel
	.section	.text._ZN12_GLOBAL__N_127rocblas_gemm_batched_kernelIfLi16ELi16ELi64ELi64ELi4ELi64ELi4ELi4ELi64ELc84ELc67EKPKDF16_KPKfKPfEEvlllT_PT11_llSB_llS9_PT12_llPT13_lli,"axG",@progbits,_ZN12_GLOBAL__N_127rocblas_gemm_batched_kernelIfLi16ELi16ELi64ELi64ELi4ELi64ELi4ELi4ELi64ELc84ELc67EKPKDF16_KPKfKPfEEvlllT_PT11_llSB_llS9_PT12_llPT13_lli,comdat
.Lfunc_end120:
	.size	_ZN12_GLOBAL__N_127rocblas_gemm_batched_kernelIfLi16ELi16ELi64ELi64ELi4ELi64ELi4ELi4ELi64ELc84ELc67EKPKDF16_KPKfKPfEEvlllT_PT11_llSB_llS9_PT12_llPT13_lli, .Lfunc_end120-_ZN12_GLOBAL__N_127rocblas_gemm_batched_kernelIfLi16ELi16ELi64ELi64ELi4ELi64ELi4ELi4ELi64ELc84ELc67EKPKDF16_KPKfKPfEEvlllT_PT11_llSB_llS9_PT12_llPT13_lli
                                        ; -- End function
	.set _ZN12_GLOBAL__N_127rocblas_gemm_batched_kernelIfLi16ELi16ELi64ELi64ELi4ELi64ELi4ELi4ELi64ELc84ELc67EKPKDF16_KPKfKPfEEvlllT_PT11_llSB_llS9_PT12_llPT13_lli.num_vgpr, 78
	.set _ZN12_GLOBAL__N_127rocblas_gemm_batched_kernelIfLi16ELi16ELi64ELi64ELi4ELi64ELi4ELi4ELi64ELc84ELc67EKPKDF16_KPKfKPfEEvlllT_PT11_llSB_llS9_PT12_llPT13_lli.num_agpr, 0
	.set _ZN12_GLOBAL__N_127rocblas_gemm_batched_kernelIfLi16ELi16ELi64ELi64ELi4ELi64ELi4ELi4ELi64ELc84ELc67EKPKDF16_KPKfKPfEEvlllT_PT11_llSB_llS9_PT12_llPT13_lli.numbered_sgpr, 36
	.set _ZN12_GLOBAL__N_127rocblas_gemm_batched_kernelIfLi16ELi16ELi64ELi64ELi4ELi64ELi4ELi4ELi64ELc84ELc67EKPKDF16_KPKfKPfEEvlllT_PT11_llSB_llS9_PT12_llPT13_lli.num_named_barrier, 0
	.set _ZN12_GLOBAL__N_127rocblas_gemm_batched_kernelIfLi16ELi16ELi64ELi64ELi4ELi64ELi4ELi4ELi64ELc84ELc67EKPKDF16_KPKfKPfEEvlllT_PT11_llSB_llS9_PT12_llPT13_lli.private_seg_size, 0
	.set _ZN12_GLOBAL__N_127rocblas_gemm_batched_kernelIfLi16ELi16ELi64ELi64ELi4ELi64ELi4ELi4ELi64ELc84ELc67EKPKDF16_KPKfKPfEEvlllT_PT11_llSB_llS9_PT12_llPT13_lli.uses_vcc, 1
	.set _ZN12_GLOBAL__N_127rocblas_gemm_batched_kernelIfLi16ELi16ELi64ELi64ELi4ELi64ELi4ELi4ELi64ELc84ELc67EKPKDF16_KPKfKPfEEvlllT_PT11_llSB_llS9_PT12_llPT13_lli.uses_flat_scratch, 1
	.set _ZN12_GLOBAL__N_127rocblas_gemm_batched_kernelIfLi16ELi16ELi64ELi64ELi4ELi64ELi4ELi4ELi64ELc84ELc67EKPKDF16_KPKfKPfEEvlllT_PT11_llSB_llS9_PT12_llPT13_lli.has_dyn_sized_stack, 0
	.set _ZN12_GLOBAL__N_127rocblas_gemm_batched_kernelIfLi16ELi16ELi64ELi64ELi4ELi64ELi4ELi4ELi64ELc84ELc67EKPKDF16_KPKfKPfEEvlllT_PT11_llSB_llS9_PT12_llPT13_lli.has_recursion, 0
	.set _ZN12_GLOBAL__N_127rocblas_gemm_batched_kernelIfLi16ELi16ELi64ELi64ELi4ELi64ELi4ELi4ELi64ELc84ELc67EKPKDF16_KPKfKPfEEvlllT_PT11_llSB_llS9_PT12_llPT13_lli.has_indirect_call, 0
	.section	.AMDGPU.csdata,"",@progbits
; Kernel info:
; codeLenInByte = 2376
; TotalNumSgprs: 38
; NumVgprs: 78
; ScratchSize: 0
; MemoryBound: 0
; FloatMode: 240
; IeeeMode: 1
; LDSByteSize: 2048 bytes/workgroup (compile time only)
; SGPRBlocks: 0
; VGPRBlocks: 4
; NumSGPRsForWavesPerEU: 38
; NumVGPRsForWavesPerEU: 78
; NamedBarCnt: 0
; Occupancy: 12
; WaveLimiterHint : 1
; COMPUTE_PGM_RSRC2:SCRATCH_EN: 0
; COMPUTE_PGM_RSRC2:USER_SGPR: 2
; COMPUTE_PGM_RSRC2:TRAP_HANDLER: 0
; COMPUTE_PGM_RSRC2:TGID_X_EN: 1
; COMPUTE_PGM_RSRC2:TGID_Y_EN: 1
; COMPUTE_PGM_RSRC2:TGID_Z_EN: 1
; COMPUTE_PGM_RSRC2:TIDIG_COMP_CNT: 1
	.section	.text._ZN12_GLOBAL__N_127rocblas_gemm_batched_kernelIfLi16ELi16ELi32ELi32ELi8ELi32ELi8ELi8ELi32ELc78ELc78EKPKDF16_KPKfKPfEEvlllT_PT11_llSB_llS9_PT12_llPT13_lli,"axG",@progbits,_ZN12_GLOBAL__N_127rocblas_gemm_batched_kernelIfLi16ELi16ELi32ELi32ELi8ELi32ELi8ELi8ELi32ELc78ELc78EKPKDF16_KPKfKPfEEvlllT_PT11_llSB_llS9_PT12_llPT13_lli,comdat
	.globl	_ZN12_GLOBAL__N_127rocblas_gemm_batched_kernelIfLi16ELi16ELi32ELi32ELi8ELi32ELi8ELi8ELi32ELc78ELc78EKPKDF16_KPKfKPfEEvlllT_PT11_llSB_llS9_PT12_llPT13_lli ; -- Begin function _ZN12_GLOBAL__N_127rocblas_gemm_batched_kernelIfLi16ELi16ELi32ELi32ELi8ELi32ELi8ELi8ELi32ELc78ELc78EKPKDF16_KPKfKPfEEvlllT_PT11_llSB_llS9_PT12_llPT13_lli
	.p2align	8
	.type	_ZN12_GLOBAL__N_127rocblas_gemm_batched_kernelIfLi16ELi16ELi32ELi32ELi8ELi32ELi8ELi8ELi32ELc78ELc78EKPKDF16_KPKfKPfEEvlllT_PT11_llSB_llS9_PT12_llPT13_lli,@function
_ZN12_GLOBAL__N_127rocblas_gemm_batched_kernelIfLi16ELi16ELi32ELi32ELi8ELi32ELi8ELi8ELi32ELc78ELc78EKPKDF16_KPKfKPfEEvlllT_PT11_llSB_llS9_PT12_llPT13_lli: ; @_ZN12_GLOBAL__N_127rocblas_gemm_batched_kernelIfLi16ELi16ELi32ELi32ELi8ELi32ELi8ELi8ELi32ELc78ELc78EKPKDF16_KPKfKPfEEvlllT_PT11_llSB_llS9_PT12_llPT13_lli
; %bb.0:
	s_load_b32 s31, s[0:1], 0x88
	s_bfe_u32 s2, ttmp6, 0x40014
	s_lshr_b32 s3, ttmp7, 16
	s_add_co_i32 s2, s2, 1
	s_bfe_u32 s4, ttmp6, 0x40008
	s_mul_i32 s2, s3, s2
	s_getreg_b32 s12, hwreg(HW_REG_IB_STS2, 6, 4)
	s_add_co_i32 s4, s4, s2
	s_cmp_eq_u32 s12, 0
	s_cselect_b32 s2, s3, s4
	s_mov_b32 s3, 0
	s_wait_kmcnt 0x0
	s_cmp_ge_i32 s2, s31
	s_cbranch_scc1 .LBB121_10
; %bb.1:
	v_bfe_u32 v2, v0, 10, 10
	v_and_b32_e32 v6, 0x3ff, v0
	s_clause 0x1
	s_load_b256 s[4:11], s[0:1], 0x20
	s_load_b128 s[20:23], s[0:1], 0x40
	s_bfe_u32 s14, ttmp6, 0x4000c
	s_bfe_u32 s15, ttmp6, 0x40010
	s_add_co_i32 s14, s14, 1
	s_and_b32 s16, ttmp7, 0xffff
	s_add_co_i32 s15, s15, 1
	v_lshl_add_u32 v14, v2, 4, v6
	v_mov_b32_e32 v3, 0
	s_and_b32 s13, ttmp6, 15
	s_mul_i32 s14, ttmp9, s14
	s_mul_i32 s15, s16, s15
	s_bfe_u32 s17, ttmp6, 0x40004
	s_add_co_i32 s13, s13, s14
	s_add_co_i32 s17, s17, s15
	s_cmp_eq_u32 s12, 0
	v_dual_mov_b32 v9, v3 :: v_dual_lshrrev_b32 v8, 3, v14
	v_lshrrev_b32_e32 v16, 5, v14
	s_cselect_b32 s12, s16, s17
	s_cselect_b32 s28, ttmp9, s13
	s_lshl_b32 s34, s12, 5
	s_mov_b32 s35, s3
	s_clause 0x2
	s_load_b128 s[24:27], s[0:1], 0x78
	s_load_b256 s[12:19], s[0:1], 0x58
	s_load_b32 s33, s[0:1], 0x50
	v_add_nc_u64_e32 v[4:5], s[34:35], v[8:9]
	s_ashr_i32 s29, s28, 31
	v_dual_mov_b32 v7, v3 :: v_dual_bitop2_b32 v17, 7, v0 bitop3:0x40
	v_dual_mov_b32 v15, v3 :: v_dual_bitop2_b32 v14, 31, v14 bitop3:0x40
	v_lshlrev_b32_e32 v24, 2, v6
	s_wait_kmcnt 0x0
	s_delay_alu instid0(VALU_DEP_4)
	v_mul_u64_e32 v[10:11], s[20:21], v[4:5]
	s_lshl_b64 s[20:21], s[28:29], 5
	v_add_nc_u64_e32 v[4:5], s[34:35], v[2:3]
	v_mad_nc_u64_u32 v[12:13], s6, v16, s[20:21]
	s_load_b96 s[28:30], s[0:1], 0x10
	v_lshlrev_b32_e32 v9, 2, v17
	v_lshl_add_u32 v25, v2, 5, 0x400
	v_lshlrev_b32_e32 v2, 2, v14
	v_mul_u64_e32 v[0:1], s[24:25], v[4:5]
	v_mul_u64_e32 v[4:5], s[14:15], v[4:5]
	v_lshl_or_b32 v18, v8, 5, v9
	v_add_nc_u64_e32 v[8:9], s[20:21], v[6:7]
	v_mad_u32 v13, s7, v16, v13
	s_cmp_eq_f32 s33, 0
	v_lshl_or_b32 v26, v16, 7, v2
	v_lshlrev_b32_e32 v2, 1, v17
	v_add_nc_u32_e32 v27, 0x400, v18
	s_wait_xcnt 0x0
	s_cselect_b32 s1, -1, 0
	s_lshl_b64 s[20:21], s[22:23], 1
	v_lshlrev_b64_e32 v[8:9], 2, v[8:9]
	s_lshl_b64 s[14:15], s[14:15], 4
	s_lshl_b64 s[6:7], s[6:7], 4
	s_wait_kmcnt 0x0
	v_cmp_gt_i64_e64 s0, s[28:29], 0
	v_add_nc_u64_e32 v[6:7], v[12:13], v[14:15]
	s_lshl_b64 s[16:17], s[16:17], 2
	v_cndmask_b32_e64 v14, 0, 1, s0
	v_lshl_add_u64 v[10:11], v[10:11], 1, s[20:21]
	s_delay_alu instid0(VALU_DEP_3) | instskip(SKIP_1) | instid1(VALU_DEP_3)
	v_lshlrev_b64_e32 v[12:13], 1, v[6:7]
	s_lshl_b64 s[20:21], s[24:25], 4
	v_cmp_ne_u32_e64 s0, 1, v14
	s_delay_alu instid0(VALU_DEP_3) | instskip(NEXT) | instid1(VALU_DEP_3)
	v_add_nc_u64_e32 v[6:7], v[10:11], v[2:3]
	v_lshl_add_u64 v[10:11], s[8:9], 1, v[12:13]
	s_lshl_b64 s[8:9], s[26:27], 2
	s_branch .LBB121_3
.LBB121_2:                              ;   in Loop: Header=BB121_3 Depth=1
	s_add_co_i32 s2, s2, 0x10000
	s_delay_alu instid0(SALU_CYCLE_1)
	s_cmp_lt_i32 s2, s31
	s_cbranch_scc0 .LBB121_10
.LBB121_3:                              ; =>This Loop Header: Depth=1
                                        ;     Child Loop BB121_5 Depth 2
	s_wait_xcnt 0x0
	v_dual_mov_b32 v2, s2 :: v_dual_mov_b32 v19, 0
	v_dual_mov_b32 v18, 0 :: v_dual_mov_b32 v15, 0
	v_mov_b32_e32 v14, 0
	s_clause 0x1
	global_load_b64 v[12:13], v2, s[12:13] scale_offset
	global_load_b64 v[16:17], v2, s[18:19] scale_offset
	s_and_b32 vcc_lo, exec_lo, s0
	s_cbranch_vccnz .LBB121_6
; %bb.4:                                ;   in Loop: Header=BB121_3 Depth=1
	s_lshl_b64 s[22:23], s[2:3], 3
	v_mov_b32_e32 v14, 0
	s_add_nc_u64 s[24:25], s[10:11], s[22:23]
	s_add_nc_u64 s[22:23], s[4:5], s[22:23]
	s_clause 0x1
	global_load_b64 v[18:19], v3, s[24:25]
	global_load_b64 v[22:23], v3, s[22:23]
	s_wait_xcnt 0x0
	s_mov_b64 s[22:23], 0
	v_mov_b32_e32 v15, v14
	s_wait_loadcnt 0x1
	v_add_nc_u64_e32 v[20:21], v[18:19], v[6:7]
	s_wait_loadcnt 0x0
	v_add_nc_u64_e32 v[22:23], v[22:23], v[10:11]
	v_dual_mov_b32 v18, v14 :: v_dual_mov_b32 v19, v14
.LBB121_5:                              ;   Parent Loop BB121_3 Depth=1
                                        ; =>  This Inner Loop Header: Depth=2
	flat_load_u16 v2, v[22:23]
	flat_load_u16 v28, v[20:21]
	s_add_nc_u64 s[22:23], s[22:23], 8
	s_wait_xcnt 0x0
	v_add_nc_u64_e32 v[20:21], 16, v[20:21]
	v_cmp_lt_i64_e64 s24, s[22:23], s[28:29]
	v_add_nc_u64_e32 v[22:23], s[6:7], v[22:23]
	s_and_b32 vcc_lo, exec_lo, s24
	s_wait_loadcnt_dscnt 0x101
	v_cvt_f32_f16_e32 v2, v2
	s_wait_loadcnt_dscnt 0x0
	v_cvt_f32_f16_e32 v28, v28
	ds_store_b32 v26, v2
	ds_store_b32 v27, v28
	s_wait_dscnt 0x0
	s_barrier_signal -1
	s_barrier_wait -1
	ds_load_2addr_b32 v[44:45], v24 offset1:16
	ds_load_2addr_b32 v[46:47], v24 offset0:32 offset1:48
	ds_load_b128 v[28:31], v25
	ds_load_2addr_b32 v[48:49], v24 offset0:64 offset1:80
	ds_load_b128 v[32:35], v25 offset:512
	ds_load_2addr_b32 v[50:51], v24 offset0:96 offset1:112
	ds_load_b128 v[36:39], v25 offset:16
	;; [unrolled: 2-line block ×3, first 2 shown]
	ds_load_2addr_b32 v[54:55], v24 offset0:160 offset1:176
	ds_load_2addr_b32 v[56:57], v24 offset0:192 offset1:208
	;; [unrolled: 1-line block ×3, first 2 shown]
	s_wait_dscnt 0x0
	s_barrier_signal -1
	s_barrier_wait -1
	v_dual_mov_b32 v60, v45 :: v_dual_mov_b32 v61, v44
	v_dual_mov_b32 v44, v47 :: v_dual_mov_b32 v45, v46
	;; [unrolled: 1-line block ×3, first 2 shown]
	s_delay_alu instid0(VALU_DEP_3) | instskip(SKIP_3) | instid1(VALU_DEP_4)
	v_pk_fma_f32 v[18:19], v[60:61], v[28:29], v[18:19] op_sel_hi:[1,0,1]
	v_pk_fma_f32 v[14:15], v[60:61], v[32:33], v[14:15] op_sel_hi:[1,0,1]
	v_dual_mov_b32 v48, v51 :: v_dual_mov_b32 v49, v50
	v_mov_b32_e32 v2, v31
	v_pk_fma_f32 v[18:19], v[44:45], v[28:29], v[18:19] op_sel:[0,1,0]
	s_delay_alu instid0(VALU_DEP_4) | instskip(SKIP_2) | instid1(VALU_DEP_4)
	v_pk_fma_f32 v[14:15], v[44:45], v[32:33], v[14:15] op_sel:[0,1,0]
	v_dual_mov_b32 v28, v35 :: v_dual_mov_b32 v32, v59
	v_mov_b32_e32 v33, v58
	v_pk_fma_f32 v[18:19], v[46:47], v[30:31], v[18:19] op_sel_hi:[1,0,1]
	s_delay_alu instid0(VALU_DEP_4) | instskip(SKIP_1) | instid1(VALU_DEP_3)
	v_pk_fma_f32 v[14:15], v[46:47], v[34:35], v[14:15] op_sel_hi:[1,0,1]
	v_dual_mov_b32 v30, v53 :: v_dual_mov_b32 v31, v52
	v_pk_fma_f32 v[18:19], v[48:49], v[2:3], v[18:19] op_sel_hi:[1,0,1]
	s_delay_alu instid0(VALU_DEP_3) | instskip(SKIP_2) | instid1(VALU_DEP_4)
	v_pk_fma_f32 v[14:15], v[48:49], v[28:29], v[14:15] op_sel_hi:[1,0,1]
	v_dual_mov_b32 v28, v55 :: v_dual_mov_b32 v29, v54
	v_mov_b32_e32 v2, v39
	v_pk_fma_f32 v[18:19], v[30:31], v[36:37], v[18:19] op_sel_hi:[1,0,1]
	s_delay_alu instid0(VALU_DEP_4) | instskip(SKIP_1) | instid1(VALU_DEP_3)
	v_pk_fma_f32 v[14:15], v[30:31], v[40:41], v[14:15] op_sel_hi:[1,0,1]
	v_dual_mov_b32 v30, v57 :: v_dual_mov_b32 v31, v56
	v_pk_fma_f32 v[18:19], v[28:29], v[36:37], v[18:19] op_sel:[0,1,0]
	s_delay_alu instid0(VALU_DEP_3) | instskip(SKIP_1) | instid1(VALU_DEP_3)
	v_pk_fma_f32 v[14:15], v[28:29], v[40:41], v[14:15] op_sel:[0,1,0]
	v_mov_b32_e32 v28, v43
	v_pk_fma_f32 v[18:19], v[30:31], v[38:39], v[18:19] op_sel_hi:[1,0,1]
	s_delay_alu instid0(VALU_DEP_3) | instskip(NEXT) | instid1(VALU_DEP_2)
	v_pk_fma_f32 v[14:15], v[30:31], v[42:43], v[14:15] op_sel_hi:[1,0,1]
	v_pk_fma_f32 v[18:19], v[32:33], v[2:3], v[18:19] op_sel_hi:[1,0,1]
	s_delay_alu instid0(VALU_DEP_2)
	v_pk_fma_f32 v[14:15], v[32:33], v[28:29], v[14:15] op_sel_hi:[1,0,1]
	s_cbranch_vccnz .LBB121_5
.LBB121_6:                              ;   in Loop: Header=BB121_3 Depth=1
	s_wait_loadcnt 0x0
	v_add_nc_u64_e32 v[16:17], s[8:9], v[16:17]
	s_and_not1_b32 vcc_lo, exec_lo, s1
	s_delay_alu instid0(VALU_DEP_1) | instskip(NEXT) | instid1(VALU_DEP_1)
	v_lshl_add_u64 v[16:17], v[0:1], 2, v[16:17]
	v_add_nc_u64_e32 v[20:21], v[16:17], v[8:9]
	v_lshl_add_u64 v[16:17], s[20:21], 2, v[16:17]
	s_cbranch_vccnz .LBB121_8
; %bb.7:                                ;   in Loop: Header=BB121_3 Depth=1
	s_delay_alu instid0(VALU_DEP_1)
	v_add_nc_u64_e32 v[22:23], v[16:17], v[8:9]
	s_wait_xcnt 0x0
	v_dual_mul_f32 v2, s30, v19 :: v_dual_mul_f32 v28, s30, v18
	v_dual_mul_f32 v29, s30, v15 :: v_dual_mul_f32 v30, s30, v14
	s_clause 0x3
	flat_store_b32 v[20:21], v2
	flat_store_b32 v[20:21], v28 offset:64
	flat_store_b32 v[22:23], v29
	flat_store_b32 v[22:23], v30 offset:64
	s_cbranch_execnz .LBB121_2
	s_branch .LBB121_9
.LBB121_8:                              ;   in Loop: Header=BB121_3 Depth=1
.LBB121_9:                              ;   in Loop: Header=BB121_3 Depth=1
	v_add_nc_u64_e32 v[12:13], s[16:17], v[12:13]
	s_delay_alu instid0(VALU_DEP_2) | instskip(NEXT) | instid1(VALU_DEP_2)
	v_add_nc_u64_e32 v[16:17], v[16:17], v[8:9]
	v_lshl_add_u64 v[12:13], v[4:5], 2, v[12:13]
	s_wait_xcnt 0x0
	s_delay_alu instid0(VALU_DEP_1) | instskip(SKIP_1) | instid1(VALU_DEP_1)
	v_add_nc_u64_e32 v[22:23], v[12:13], v[8:9]
	v_lshl_add_u64 v[12:13], s[14:15], 2, v[12:13]
	v_add_nc_u64_e32 v[12:13], v[12:13], v[8:9]
	flat_load_b32 v2, v[22:23]
	s_wait_loadcnt_dscnt 0x0
	v_mul_f32_e32 v2, s33, v2
	s_delay_alu instid0(VALU_DEP_1) | instskip(SKIP_4) | instid1(VALU_DEP_1)
	v_fmac_f32_e32 v2, s30, v19
	flat_store_b32 v[20:21], v2
	flat_load_b32 v2, v[22:23] offset:64
	s_wait_loadcnt_dscnt 0x0
	v_mul_f32_e32 v2, s33, v2
	v_fmac_f32_e32 v2, s30, v18
	flat_store_b32 v[20:21], v2 offset:64
	flat_load_b32 v2, v[12:13]
	s_wait_loadcnt_dscnt 0x0
	v_mul_f32_e32 v2, s33, v2
	s_delay_alu instid0(VALU_DEP_1) | instskip(SKIP_4) | instid1(VALU_DEP_1)
	v_fmac_f32_e32 v2, s30, v15
	flat_store_b32 v[16:17], v2
	flat_load_b32 v2, v[12:13] offset:64
	s_wait_loadcnt_dscnt 0x0
	v_mul_f32_e32 v2, s33, v2
	v_fmac_f32_e32 v2, s30, v14
	flat_store_b32 v[16:17], v2 offset:64
	s_branch .LBB121_2
.LBB121_10:
	s_endpgm
	.section	.rodata,"a",@progbits
	.p2align	6, 0x0
	.amdhsa_kernel _ZN12_GLOBAL__N_127rocblas_gemm_batched_kernelIfLi16ELi16ELi32ELi32ELi8ELi32ELi8ELi8ELi32ELc78ELc78EKPKDF16_KPKfKPfEEvlllT_PT11_llSB_llS9_PT12_llPT13_lli
		.amdhsa_group_segment_fixed_size 2048
		.amdhsa_private_segment_fixed_size 0
		.amdhsa_kernarg_size 140
		.amdhsa_user_sgpr_count 2
		.amdhsa_user_sgpr_dispatch_ptr 0
		.amdhsa_user_sgpr_queue_ptr 0
		.amdhsa_user_sgpr_kernarg_segment_ptr 1
		.amdhsa_user_sgpr_dispatch_id 0
		.amdhsa_user_sgpr_kernarg_preload_length 0
		.amdhsa_user_sgpr_kernarg_preload_offset 0
		.amdhsa_user_sgpr_private_segment_size 0
		.amdhsa_wavefront_size32 1
		.amdhsa_uses_dynamic_stack 0
		.amdhsa_enable_private_segment 0
		.amdhsa_system_sgpr_workgroup_id_x 1
		.amdhsa_system_sgpr_workgroup_id_y 1
		.amdhsa_system_sgpr_workgroup_id_z 1
		.amdhsa_system_sgpr_workgroup_info 0
		.amdhsa_system_vgpr_workitem_id 1
		.amdhsa_next_free_vgpr 62
		.amdhsa_next_free_sgpr 36
		.amdhsa_named_barrier_count 0
		.amdhsa_reserve_vcc 1
		.amdhsa_float_round_mode_32 0
		.amdhsa_float_round_mode_16_64 0
		.amdhsa_float_denorm_mode_32 3
		.amdhsa_float_denorm_mode_16_64 3
		.amdhsa_fp16_overflow 0
		.amdhsa_memory_ordered 1
		.amdhsa_forward_progress 1
		.amdhsa_inst_pref_size 12
		.amdhsa_round_robin_scheduling 0
		.amdhsa_exception_fp_ieee_invalid_op 0
		.amdhsa_exception_fp_denorm_src 0
		.amdhsa_exception_fp_ieee_div_zero 0
		.amdhsa_exception_fp_ieee_overflow 0
		.amdhsa_exception_fp_ieee_underflow 0
		.amdhsa_exception_fp_ieee_inexact 0
		.amdhsa_exception_int_div_zero 0
	.end_amdhsa_kernel
	.section	.text._ZN12_GLOBAL__N_127rocblas_gemm_batched_kernelIfLi16ELi16ELi32ELi32ELi8ELi32ELi8ELi8ELi32ELc78ELc78EKPKDF16_KPKfKPfEEvlllT_PT11_llSB_llS9_PT12_llPT13_lli,"axG",@progbits,_ZN12_GLOBAL__N_127rocblas_gemm_batched_kernelIfLi16ELi16ELi32ELi32ELi8ELi32ELi8ELi8ELi32ELc78ELc78EKPKDF16_KPKfKPfEEvlllT_PT11_llSB_llS9_PT12_llPT13_lli,comdat
.Lfunc_end121:
	.size	_ZN12_GLOBAL__N_127rocblas_gemm_batched_kernelIfLi16ELi16ELi32ELi32ELi8ELi32ELi8ELi8ELi32ELc78ELc78EKPKDF16_KPKfKPfEEvlllT_PT11_llSB_llS9_PT12_llPT13_lli, .Lfunc_end121-_ZN12_GLOBAL__N_127rocblas_gemm_batched_kernelIfLi16ELi16ELi32ELi32ELi8ELi32ELi8ELi8ELi32ELc78ELc78EKPKDF16_KPKfKPfEEvlllT_PT11_llSB_llS9_PT12_llPT13_lli
                                        ; -- End function
	.set _ZN12_GLOBAL__N_127rocblas_gemm_batched_kernelIfLi16ELi16ELi32ELi32ELi8ELi32ELi8ELi8ELi32ELc78ELc78EKPKDF16_KPKfKPfEEvlllT_PT11_llSB_llS9_PT12_llPT13_lli.num_vgpr, 62
	.set _ZN12_GLOBAL__N_127rocblas_gemm_batched_kernelIfLi16ELi16ELi32ELi32ELi8ELi32ELi8ELi8ELi32ELc78ELc78EKPKDF16_KPKfKPfEEvlllT_PT11_llSB_llS9_PT12_llPT13_lli.num_agpr, 0
	.set _ZN12_GLOBAL__N_127rocblas_gemm_batched_kernelIfLi16ELi16ELi32ELi32ELi8ELi32ELi8ELi8ELi32ELc78ELc78EKPKDF16_KPKfKPfEEvlllT_PT11_llSB_llS9_PT12_llPT13_lli.numbered_sgpr, 36
	.set _ZN12_GLOBAL__N_127rocblas_gemm_batched_kernelIfLi16ELi16ELi32ELi32ELi8ELi32ELi8ELi8ELi32ELc78ELc78EKPKDF16_KPKfKPfEEvlllT_PT11_llSB_llS9_PT12_llPT13_lli.num_named_barrier, 0
	.set _ZN12_GLOBAL__N_127rocblas_gemm_batched_kernelIfLi16ELi16ELi32ELi32ELi8ELi32ELi8ELi8ELi32ELc78ELc78EKPKDF16_KPKfKPfEEvlllT_PT11_llSB_llS9_PT12_llPT13_lli.private_seg_size, 0
	.set _ZN12_GLOBAL__N_127rocblas_gemm_batched_kernelIfLi16ELi16ELi32ELi32ELi8ELi32ELi8ELi8ELi32ELc78ELc78EKPKDF16_KPKfKPfEEvlllT_PT11_llSB_llS9_PT12_llPT13_lli.uses_vcc, 1
	.set _ZN12_GLOBAL__N_127rocblas_gemm_batched_kernelIfLi16ELi16ELi32ELi32ELi8ELi32ELi8ELi8ELi32ELc78ELc78EKPKDF16_KPKfKPfEEvlllT_PT11_llSB_llS9_PT12_llPT13_lli.uses_flat_scratch, 1
	.set _ZN12_GLOBAL__N_127rocblas_gemm_batched_kernelIfLi16ELi16ELi32ELi32ELi8ELi32ELi8ELi8ELi32ELc78ELc78EKPKDF16_KPKfKPfEEvlllT_PT11_llSB_llS9_PT12_llPT13_lli.has_dyn_sized_stack, 0
	.set _ZN12_GLOBAL__N_127rocblas_gemm_batched_kernelIfLi16ELi16ELi32ELi32ELi8ELi32ELi8ELi8ELi32ELc78ELc78EKPKDF16_KPKfKPfEEvlllT_PT11_llSB_llS9_PT12_llPT13_lli.has_recursion, 0
	.set _ZN12_GLOBAL__N_127rocblas_gemm_batched_kernelIfLi16ELi16ELi32ELi32ELi8ELi32ELi8ELi8ELi32ELc78ELc78EKPKDF16_KPKfKPfEEvlllT_PT11_llSB_llS9_PT12_llPT13_lli.has_indirect_call, 0
	.section	.AMDGPU.csdata,"",@progbits
; Kernel info:
; codeLenInByte = 1432
; TotalNumSgprs: 38
; NumVgprs: 62
; ScratchSize: 0
; MemoryBound: 0
; FloatMode: 240
; IeeeMode: 1
; LDSByteSize: 2048 bytes/workgroup (compile time only)
; SGPRBlocks: 0
; VGPRBlocks: 3
; NumSGPRsForWavesPerEU: 38
; NumVGPRsForWavesPerEU: 62
; NamedBarCnt: 0
; Occupancy: 16
; WaveLimiterHint : 1
; COMPUTE_PGM_RSRC2:SCRATCH_EN: 0
; COMPUTE_PGM_RSRC2:USER_SGPR: 2
; COMPUTE_PGM_RSRC2:TRAP_HANDLER: 0
; COMPUTE_PGM_RSRC2:TGID_X_EN: 1
; COMPUTE_PGM_RSRC2:TGID_Y_EN: 1
; COMPUTE_PGM_RSRC2:TGID_Z_EN: 1
; COMPUTE_PGM_RSRC2:TIDIG_COMP_CNT: 1
	.section	.text._ZN12_GLOBAL__N_127rocblas_gemm_batched_kernelIfLi16ELi16ELi32ELi32ELi8ELi32ELi8ELi8ELi32ELc84ELc78EKPKDF16_KPKfKPfEEvlllT_PT11_llSB_llS9_PT12_llPT13_lli,"axG",@progbits,_ZN12_GLOBAL__N_127rocblas_gemm_batched_kernelIfLi16ELi16ELi32ELi32ELi8ELi32ELi8ELi8ELi32ELc84ELc78EKPKDF16_KPKfKPfEEvlllT_PT11_llSB_llS9_PT12_llPT13_lli,comdat
	.globl	_ZN12_GLOBAL__N_127rocblas_gemm_batched_kernelIfLi16ELi16ELi32ELi32ELi8ELi32ELi8ELi8ELi32ELc84ELc78EKPKDF16_KPKfKPfEEvlllT_PT11_llSB_llS9_PT12_llPT13_lli ; -- Begin function _ZN12_GLOBAL__N_127rocblas_gemm_batched_kernelIfLi16ELi16ELi32ELi32ELi8ELi32ELi8ELi8ELi32ELc84ELc78EKPKDF16_KPKfKPfEEvlllT_PT11_llSB_llS9_PT12_llPT13_lli
	.p2align	8
	.type	_ZN12_GLOBAL__N_127rocblas_gemm_batched_kernelIfLi16ELi16ELi32ELi32ELi8ELi32ELi8ELi8ELi32ELc84ELc78EKPKDF16_KPKfKPfEEvlllT_PT11_llSB_llS9_PT12_llPT13_lli,@function
_ZN12_GLOBAL__N_127rocblas_gemm_batched_kernelIfLi16ELi16ELi32ELi32ELi8ELi32ELi8ELi8ELi32ELc84ELc78EKPKDF16_KPKfKPfEEvlllT_PT11_llSB_llS9_PT12_llPT13_lli: ; @_ZN12_GLOBAL__N_127rocblas_gemm_batched_kernelIfLi16ELi16ELi32ELi32ELi8ELi32ELi8ELi8ELi32ELc84ELc78EKPKDF16_KPKfKPfEEvlllT_PT11_llSB_llS9_PT12_llPT13_lli
; %bb.0:
	s_load_b32 s31, s[0:1], 0x88
	s_bfe_u32 s2, ttmp6, 0x40014
	s_lshr_b32 s3, ttmp7, 16
	s_add_co_i32 s2, s2, 1
	s_bfe_u32 s4, ttmp6, 0x40008
	s_mul_i32 s2, s3, s2
	s_getreg_b32 s12, hwreg(HW_REG_IB_STS2, 6, 4)
	s_add_co_i32 s4, s4, s2
	s_cmp_eq_u32 s12, 0
	s_cselect_b32 s2, s3, s4
	s_mov_b32 s3, 0
	s_wait_kmcnt 0x0
	s_cmp_ge_i32 s2, s31
	s_cbranch_scc1 .LBB122_10
; %bb.1:
	v_bfe_u32 v2, v0, 10, 10
	v_and_b32_e32 v6, 0x3ff, v0
	s_bfe_u32 s13, ttmp6, 0x4000c
	s_bfe_u32 s15, ttmp6, 0x40010
	s_clause 0x2
	s_load_b256 s[4:11], s[0:1], 0x20
	s_load_b128 s[20:23], s[0:1], 0x40
	s_load_b32 s33, s[0:1], 0x50
	s_add_co_i32 s13, s13, 1
	s_and_b32 s16, ttmp7, 0xffff
	s_add_co_i32 s15, s15, 1
	v_lshl_add_u32 v14, v2, 4, v6
	v_mov_b32_e32 v3, 0
	s_and_b32 s14, ttmp6, 15
	s_mul_i32 s13, ttmp9, s13
	s_mul_i32 s15, s16, s15
	s_bfe_u32 s17, ttmp6, 0x40004
	s_add_co_i32 s14, s14, s13
	s_add_co_i32 s17, s17, s15
	s_cmp_eq_u32 s12, 0
	v_dual_mov_b32 v9, v3 :: v_dual_lshrrev_b32 v8, 3, v14
	v_and_b32_e32 v15, 31, v14
	s_cselect_b32 s13, s16, s17
	s_cselect_b32 s12, ttmp9, s14
	s_lshl_b32 s28, s13, 5
	s_mov_b32 s29, s3
	s_ashr_i32 s13, s12, 31
	v_add_nc_u64_e32 v[4:5], s[28:29], v[8:9]
	s_load_b128 s[24:27], s[0:1], 0x78
	s_lshl_b64 s[34:35], s[12:13], 5
	s_load_b256 s[12:19], s[0:1], 0x58
	v_dual_mov_b32 v11, s35 :: v_dual_bitop2_b32 v10, s34, v15 bitop3:0x54
	v_dual_mov_b32 v7, v3 :: v_dual_bitop2_b32 v9, 7, v0 bitop3:0x40
	s_wait_kmcnt 0x0
	v_mul_u64_e32 v[12:13], s[20:21], v[4:5]
	v_add_nc_u64_e32 v[4:5], s[28:29], v[2:3]
	v_mul_u64_e32 v[10:11], s[6:7], v[10:11]
	s_load_b96 s[28:30], s[0:1], 0x10
	s_cmp_eq_f32 s33, 0
	v_dual_lshlrev_b32 v16, 2, v9 :: v_dual_lshlrev_b32 v24, 2, v6
	v_lshl_add_u32 v25, v2, 5, 0x400
	s_wait_xcnt 0x0
	s_cselect_b32 s1, -1, 0
	s_lshl_b64 s[6:7], s[22:23], 1
	v_dual_lshrrev_b32 v17, 5, v14 :: v_dual_lshlrev_b32 v2, 1, v9
	v_lshlrev_b32_e32 v18, 2, v15
	v_mul_u64_e32 v[0:1], s[24:25], v[4:5]
	v_add_nc_u64_e32 v[14:15], s[34:35], v[6:7]
	v_mul_u64_e32 v[4:5], s[14:15], v[4:5]
	v_lshl_or_b32 v16, v8, 5, v16
	s_lshl_b64 s[16:17], s[16:17], 2
	s_delay_alu instid0(VALU_DEP_1)
	v_add_nc_u32_e32 v27, 0x400, v16
	s_wait_kmcnt 0x0
	v_cmp_gt_i64_e64 s0, s[28:29], 0
	v_lshl_add_u64 v[12:13], v[12:13], 1, s[6:7]
	s_lshl_b64 s[6:7], s[8:9], 1
	s_lshl_b64 s[8:9], s[14:15], 4
	v_lshl_add_u64 v[8:9], v[10:11], 1, s[6:7]
	v_lshlrev_b64_e32 v[10:11], 2, v[14:15]
	v_add_nc_u64_e32 v[6:7], v[12:13], v[2:3]
	v_lshlrev_b32_e32 v2, 1, v17
	v_cndmask_b32_e64 v12, 0, 1, s0
	v_lshl_or_b32 v26, v17, 7, v18
	s_lshl_b64 s[6:7], s[24:25], 4
	s_lshl_b64 s[14:15], s[26:27], 2
	v_add_nc_u64_e32 v[8:9], v[8:9], v[2:3]
	v_cmp_ne_u32_e64 s0, 1, v12
	s_branch .LBB122_3
.LBB122_2:                              ;   in Loop: Header=BB122_3 Depth=1
	s_add_co_i32 s2, s2, 0x10000
	s_delay_alu instid0(SALU_CYCLE_1)
	s_cmp_lt_i32 s2, s31
	s_cbranch_scc0 .LBB122_10
.LBB122_3:                              ; =>This Loop Header: Depth=1
                                        ;     Child Loop BB122_5 Depth 2
	s_wait_xcnt 0x0
	v_dual_mov_b32 v2, s2 :: v_dual_mov_b32 v19, 0
	v_dual_mov_b32 v18, 0 :: v_dual_mov_b32 v15, 0
	v_mov_b32_e32 v14, 0
	s_clause 0x1
	global_load_b64 v[12:13], v2, s[12:13] scale_offset
	global_load_b64 v[16:17], v2, s[18:19] scale_offset
	s_and_b32 vcc_lo, exec_lo, s0
	s_cbranch_vccnz .LBB122_6
; %bb.4:                                ;   in Loop: Header=BB122_3 Depth=1
	s_lshl_b64 s[20:21], s[2:3], 3
	v_mov_b32_e32 v14, 0
	s_add_nc_u64 s[22:23], s[10:11], s[20:21]
	s_add_nc_u64 s[20:21], s[4:5], s[20:21]
	s_clause 0x1
	global_load_b64 v[18:19], v3, s[22:23]
	global_load_b64 v[22:23], v3, s[20:21]
	s_wait_xcnt 0x0
	s_mov_b64 s[20:21], 0
	v_mov_b32_e32 v15, v14
	s_wait_loadcnt 0x1
	v_add_nc_u64_e32 v[20:21], v[18:19], v[6:7]
	s_wait_loadcnt 0x0
	v_add_nc_u64_e32 v[22:23], v[22:23], v[8:9]
	v_dual_mov_b32 v18, v14 :: v_dual_mov_b32 v19, v14
.LBB122_5:                              ;   Parent Loop BB122_3 Depth=1
                                        ; =>  This Inner Loop Header: Depth=2
	flat_load_u16 v2, v[22:23]
	flat_load_u16 v28, v[20:21]
	s_add_nc_u64 s[20:21], s[20:21], 8
	s_wait_xcnt 0x0
	v_add_nc_u64_e32 v[20:21], 16, v[20:21]
	v_cmp_lt_i64_e64 s22, s[20:21], s[28:29]
	v_add_nc_u64_e32 v[22:23], 16, v[22:23]
	s_and_b32 vcc_lo, exec_lo, s22
	s_wait_loadcnt_dscnt 0x101
	v_cvt_f32_f16_e32 v2, v2
	s_wait_loadcnt_dscnt 0x0
	v_cvt_f32_f16_e32 v28, v28
	ds_store_b32 v26, v2
	ds_store_b32 v27, v28
	s_wait_dscnt 0x0
	s_barrier_signal -1
	s_barrier_wait -1
	ds_load_2addr_b32 v[44:45], v24 offset1:16
	ds_load_2addr_b32 v[46:47], v24 offset0:32 offset1:48
	ds_load_b128 v[28:31], v25
	ds_load_2addr_b32 v[48:49], v24 offset0:64 offset1:80
	ds_load_b128 v[32:35], v25 offset:512
	ds_load_2addr_b32 v[50:51], v24 offset0:96 offset1:112
	ds_load_b128 v[36:39], v25 offset:16
	;; [unrolled: 2-line block ×3, first 2 shown]
	ds_load_2addr_b32 v[54:55], v24 offset0:160 offset1:176
	ds_load_2addr_b32 v[56:57], v24 offset0:192 offset1:208
	;; [unrolled: 1-line block ×3, first 2 shown]
	s_wait_dscnt 0x0
	s_barrier_signal -1
	s_barrier_wait -1
	v_dual_mov_b32 v60, v45 :: v_dual_mov_b32 v61, v44
	v_dual_mov_b32 v44, v47 :: v_dual_mov_b32 v45, v46
	;; [unrolled: 1-line block ×3, first 2 shown]
	s_delay_alu instid0(VALU_DEP_3) | instskip(SKIP_3) | instid1(VALU_DEP_4)
	v_pk_fma_f32 v[18:19], v[60:61], v[28:29], v[18:19] op_sel_hi:[1,0,1]
	v_pk_fma_f32 v[14:15], v[60:61], v[32:33], v[14:15] op_sel_hi:[1,0,1]
	v_dual_mov_b32 v48, v51 :: v_dual_mov_b32 v49, v50
	v_mov_b32_e32 v2, v31
	v_pk_fma_f32 v[18:19], v[44:45], v[28:29], v[18:19] op_sel:[0,1,0]
	s_delay_alu instid0(VALU_DEP_4) | instskip(SKIP_2) | instid1(VALU_DEP_4)
	v_pk_fma_f32 v[14:15], v[44:45], v[32:33], v[14:15] op_sel:[0,1,0]
	v_dual_mov_b32 v28, v35 :: v_dual_mov_b32 v32, v59
	v_mov_b32_e32 v33, v58
	v_pk_fma_f32 v[18:19], v[46:47], v[30:31], v[18:19] op_sel_hi:[1,0,1]
	s_delay_alu instid0(VALU_DEP_4) | instskip(SKIP_1) | instid1(VALU_DEP_3)
	v_pk_fma_f32 v[14:15], v[46:47], v[34:35], v[14:15] op_sel_hi:[1,0,1]
	v_dual_mov_b32 v30, v53 :: v_dual_mov_b32 v31, v52
	v_pk_fma_f32 v[18:19], v[48:49], v[2:3], v[18:19] op_sel_hi:[1,0,1]
	s_delay_alu instid0(VALU_DEP_3) | instskip(SKIP_2) | instid1(VALU_DEP_4)
	v_pk_fma_f32 v[14:15], v[48:49], v[28:29], v[14:15] op_sel_hi:[1,0,1]
	v_dual_mov_b32 v28, v55 :: v_dual_mov_b32 v29, v54
	v_mov_b32_e32 v2, v39
	v_pk_fma_f32 v[18:19], v[30:31], v[36:37], v[18:19] op_sel_hi:[1,0,1]
	s_delay_alu instid0(VALU_DEP_4) | instskip(SKIP_1) | instid1(VALU_DEP_3)
	v_pk_fma_f32 v[14:15], v[30:31], v[40:41], v[14:15] op_sel_hi:[1,0,1]
	v_dual_mov_b32 v30, v57 :: v_dual_mov_b32 v31, v56
	v_pk_fma_f32 v[18:19], v[28:29], v[36:37], v[18:19] op_sel:[0,1,0]
	s_delay_alu instid0(VALU_DEP_3) | instskip(SKIP_1) | instid1(VALU_DEP_3)
	v_pk_fma_f32 v[14:15], v[28:29], v[40:41], v[14:15] op_sel:[0,1,0]
	v_mov_b32_e32 v28, v43
	v_pk_fma_f32 v[18:19], v[30:31], v[38:39], v[18:19] op_sel_hi:[1,0,1]
	s_delay_alu instid0(VALU_DEP_3) | instskip(NEXT) | instid1(VALU_DEP_2)
	v_pk_fma_f32 v[14:15], v[30:31], v[42:43], v[14:15] op_sel_hi:[1,0,1]
	v_pk_fma_f32 v[18:19], v[32:33], v[2:3], v[18:19] op_sel_hi:[1,0,1]
	s_delay_alu instid0(VALU_DEP_2)
	v_pk_fma_f32 v[14:15], v[32:33], v[28:29], v[14:15] op_sel_hi:[1,0,1]
	s_cbranch_vccnz .LBB122_5
.LBB122_6:                              ;   in Loop: Header=BB122_3 Depth=1
	s_wait_loadcnt 0x0
	v_add_nc_u64_e32 v[16:17], s[14:15], v[16:17]
	s_and_not1_b32 vcc_lo, exec_lo, s1
	s_delay_alu instid0(VALU_DEP_1) | instskip(NEXT) | instid1(VALU_DEP_1)
	v_lshl_add_u64 v[16:17], v[0:1], 2, v[16:17]
	v_add_nc_u64_e32 v[20:21], v[16:17], v[10:11]
	v_lshl_add_u64 v[16:17], s[6:7], 2, v[16:17]
	s_cbranch_vccnz .LBB122_8
; %bb.7:                                ;   in Loop: Header=BB122_3 Depth=1
	s_delay_alu instid0(VALU_DEP_1)
	v_add_nc_u64_e32 v[22:23], v[16:17], v[10:11]
	s_wait_xcnt 0x0
	v_dual_mul_f32 v2, s30, v19 :: v_dual_mul_f32 v28, s30, v18
	v_dual_mul_f32 v29, s30, v15 :: v_dual_mul_f32 v30, s30, v14
	s_clause 0x3
	flat_store_b32 v[20:21], v2
	flat_store_b32 v[20:21], v28 offset:64
	flat_store_b32 v[22:23], v29
	flat_store_b32 v[22:23], v30 offset:64
	s_cbranch_execnz .LBB122_2
	s_branch .LBB122_9
.LBB122_8:                              ;   in Loop: Header=BB122_3 Depth=1
.LBB122_9:                              ;   in Loop: Header=BB122_3 Depth=1
	v_add_nc_u64_e32 v[12:13], s[16:17], v[12:13]
	s_delay_alu instid0(VALU_DEP_2) | instskip(NEXT) | instid1(VALU_DEP_2)
	v_add_nc_u64_e32 v[16:17], v[16:17], v[10:11]
	v_lshl_add_u64 v[12:13], v[4:5], 2, v[12:13]
	s_wait_xcnt 0x0
	s_delay_alu instid0(VALU_DEP_1) | instskip(SKIP_1) | instid1(VALU_DEP_1)
	v_add_nc_u64_e32 v[22:23], v[12:13], v[10:11]
	v_lshl_add_u64 v[12:13], s[8:9], 2, v[12:13]
	v_add_nc_u64_e32 v[12:13], v[12:13], v[10:11]
	flat_load_b32 v2, v[22:23]
	s_wait_loadcnt_dscnt 0x0
	v_mul_f32_e32 v2, s33, v2
	s_delay_alu instid0(VALU_DEP_1) | instskip(SKIP_4) | instid1(VALU_DEP_1)
	v_fmac_f32_e32 v2, s30, v19
	flat_store_b32 v[20:21], v2
	flat_load_b32 v2, v[22:23] offset:64
	s_wait_loadcnt_dscnt 0x0
	v_mul_f32_e32 v2, s33, v2
	v_fmac_f32_e32 v2, s30, v18
	flat_store_b32 v[20:21], v2 offset:64
	flat_load_b32 v2, v[12:13]
	s_wait_loadcnt_dscnt 0x0
	v_mul_f32_e32 v2, s33, v2
	s_delay_alu instid0(VALU_DEP_1) | instskip(SKIP_4) | instid1(VALU_DEP_1)
	v_fmac_f32_e32 v2, s30, v15
	flat_store_b32 v[16:17], v2
	flat_load_b32 v2, v[12:13] offset:64
	s_wait_loadcnt_dscnt 0x0
	v_mul_f32_e32 v2, s33, v2
	v_fmac_f32_e32 v2, s30, v14
	flat_store_b32 v[16:17], v2 offset:64
	s_branch .LBB122_2
.LBB122_10:
	s_endpgm
	.section	.rodata,"a",@progbits
	.p2align	6, 0x0
	.amdhsa_kernel _ZN12_GLOBAL__N_127rocblas_gemm_batched_kernelIfLi16ELi16ELi32ELi32ELi8ELi32ELi8ELi8ELi32ELc84ELc78EKPKDF16_KPKfKPfEEvlllT_PT11_llSB_llS9_PT12_llPT13_lli
		.amdhsa_group_segment_fixed_size 2048
		.amdhsa_private_segment_fixed_size 0
		.amdhsa_kernarg_size 140
		.amdhsa_user_sgpr_count 2
		.amdhsa_user_sgpr_dispatch_ptr 0
		.amdhsa_user_sgpr_queue_ptr 0
		.amdhsa_user_sgpr_kernarg_segment_ptr 1
		.amdhsa_user_sgpr_dispatch_id 0
		.amdhsa_user_sgpr_kernarg_preload_length 0
		.amdhsa_user_sgpr_kernarg_preload_offset 0
		.amdhsa_user_sgpr_private_segment_size 0
		.amdhsa_wavefront_size32 1
		.amdhsa_uses_dynamic_stack 0
		.amdhsa_enable_private_segment 0
		.amdhsa_system_sgpr_workgroup_id_x 1
		.amdhsa_system_sgpr_workgroup_id_y 1
		.amdhsa_system_sgpr_workgroup_id_z 1
		.amdhsa_system_sgpr_workgroup_info 0
		.amdhsa_system_vgpr_workitem_id 1
		.amdhsa_next_free_vgpr 62
		.amdhsa_next_free_sgpr 36
		.amdhsa_named_barrier_count 0
		.amdhsa_reserve_vcc 1
		.amdhsa_float_round_mode_32 0
		.amdhsa_float_round_mode_16_64 0
		.amdhsa_float_denorm_mode_32 3
		.amdhsa_float_denorm_mode_16_64 3
		.amdhsa_fp16_overflow 0
		.amdhsa_memory_ordered 1
		.amdhsa_forward_progress 1
		.amdhsa_inst_pref_size 12
		.amdhsa_round_robin_scheduling 0
		.amdhsa_exception_fp_ieee_invalid_op 0
		.amdhsa_exception_fp_denorm_src 0
		.amdhsa_exception_fp_ieee_div_zero 0
		.amdhsa_exception_fp_ieee_overflow 0
		.amdhsa_exception_fp_ieee_underflow 0
		.amdhsa_exception_fp_ieee_inexact 0
		.amdhsa_exception_int_div_zero 0
	.end_amdhsa_kernel
	.section	.text._ZN12_GLOBAL__N_127rocblas_gemm_batched_kernelIfLi16ELi16ELi32ELi32ELi8ELi32ELi8ELi8ELi32ELc84ELc78EKPKDF16_KPKfKPfEEvlllT_PT11_llSB_llS9_PT12_llPT13_lli,"axG",@progbits,_ZN12_GLOBAL__N_127rocblas_gemm_batched_kernelIfLi16ELi16ELi32ELi32ELi8ELi32ELi8ELi8ELi32ELc84ELc78EKPKDF16_KPKfKPfEEvlllT_PT11_llSB_llS9_PT12_llPT13_lli,comdat
.Lfunc_end122:
	.size	_ZN12_GLOBAL__N_127rocblas_gemm_batched_kernelIfLi16ELi16ELi32ELi32ELi8ELi32ELi8ELi8ELi32ELc84ELc78EKPKDF16_KPKfKPfEEvlllT_PT11_llSB_llS9_PT12_llPT13_lli, .Lfunc_end122-_ZN12_GLOBAL__N_127rocblas_gemm_batched_kernelIfLi16ELi16ELi32ELi32ELi8ELi32ELi8ELi8ELi32ELc84ELc78EKPKDF16_KPKfKPfEEvlllT_PT11_llSB_llS9_PT12_llPT13_lli
                                        ; -- End function
	.set _ZN12_GLOBAL__N_127rocblas_gemm_batched_kernelIfLi16ELi16ELi32ELi32ELi8ELi32ELi8ELi8ELi32ELc84ELc78EKPKDF16_KPKfKPfEEvlllT_PT11_llSB_llS9_PT12_llPT13_lli.num_vgpr, 62
	.set _ZN12_GLOBAL__N_127rocblas_gemm_batched_kernelIfLi16ELi16ELi32ELi32ELi8ELi32ELi8ELi8ELi32ELc84ELc78EKPKDF16_KPKfKPfEEvlllT_PT11_llSB_llS9_PT12_llPT13_lli.num_agpr, 0
	.set _ZN12_GLOBAL__N_127rocblas_gemm_batched_kernelIfLi16ELi16ELi32ELi32ELi8ELi32ELi8ELi8ELi32ELc84ELc78EKPKDF16_KPKfKPfEEvlllT_PT11_llSB_llS9_PT12_llPT13_lli.numbered_sgpr, 36
	.set _ZN12_GLOBAL__N_127rocblas_gemm_batched_kernelIfLi16ELi16ELi32ELi32ELi8ELi32ELi8ELi8ELi32ELc84ELc78EKPKDF16_KPKfKPfEEvlllT_PT11_llSB_llS9_PT12_llPT13_lli.num_named_barrier, 0
	.set _ZN12_GLOBAL__N_127rocblas_gemm_batched_kernelIfLi16ELi16ELi32ELi32ELi8ELi32ELi8ELi8ELi32ELc84ELc78EKPKDF16_KPKfKPfEEvlllT_PT11_llSB_llS9_PT12_llPT13_lli.private_seg_size, 0
	.set _ZN12_GLOBAL__N_127rocblas_gemm_batched_kernelIfLi16ELi16ELi32ELi32ELi8ELi32ELi8ELi8ELi32ELc84ELc78EKPKDF16_KPKfKPfEEvlllT_PT11_llSB_llS9_PT12_llPT13_lli.uses_vcc, 1
	.set _ZN12_GLOBAL__N_127rocblas_gemm_batched_kernelIfLi16ELi16ELi32ELi32ELi8ELi32ELi8ELi8ELi32ELc84ELc78EKPKDF16_KPKfKPfEEvlllT_PT11_llSB_llS9_PT12_llPT13_lli.uses_flat_scratch, 1
	.set _ZN12_GLOBAL__N_127rocblas_gemm_batched_kernelIfLi16ELi16ELi32ELi32ELi8ELi32ELi8ELi8ELi32ELc84ELc78EKPKDF16_KPKfKPfEEvlllT_PT11_llSB_llS9_PT12_llPT13_lli.has_dyn_sized_stack, 0
	.set _ZN12_GLOBAL__N_127rocblas_gemm_batched_kernelIfLi16ELi16ELi32ELi32ELi8ELi32ELi8ELi8ELi32ELc84ELc78EKPKDF16_KPKfKPfEEvlllT_PT11_llSB_llS9_PT12_llPT13_lli.has_recursion, 0
	.set _ZN12_GLOBAL__N_127rocblas_gemm_batched_kernelIfLi16ELi16ELi32ELi32ELi8ELi32ELi8ELi8ELi32ELc84ELc78EKPKDF16_KPKfKPfEEvlllT_PT11_llSB_llS9_PT12_llPT13_lli.has_indirect_call, 0
	.section	.AMDGPU.csdata,"",@progbits
; Kernel info:
; codeLenInByte = 1420
; TotalNumSgprs: 38
; NumVgprs: 62
; ScratchSize: 0
; MemoryBound: 0
; FloatMode: 240
; IeeeMode: 1
; LDSByteSize: 2048 bytes/workgroup (compile time only)
; SGPRBlocks: 0
; VGPRBlocks: 3
; NumSGPRsForWavesPerEU: 38
; NumVGPRsForWavesPerEU: 62
; NamedBarCnt: 0
; Occupancy: 16
; WaveLimiterHint : 1
; COMPUTE_PGM_RSRC2:SCRATCH_EN: 0
; COMPUTE_PGM_RSRC2:USER_SGPR: 2
; COMPUTE_PGM_RSRC2:TRAP_HANDLER: 0
; COMPUTE_PGM_RSRC2:TGID_X_EN: 1
; COMPUTE_PGM_RSRC2:TGID_Y_EN: 1
; COMPUTE_PGM_RSRC2:TGID_Z_EN: 1
; COMPUTE_PGM_RSRC2:TIDIG_COMP_CNT: 1
	.section	.text._ZN12_GLOBAL__N_127rocblas_gemm_batched_kernelIfLi16ELi16ELi32ELi32ELi8ELi32ELi8ELi8ELi32ELc78ELc84EKPKDF16_KPKfKPfEEvlllT_PT11_llSB_llS9_PT12_llPT13_lli,"axG",@progbits,_ZN12_GLOBAL__N_127rocblas_gemm_batched_kernelIfLi16ELi16ELi32ELi32ELi8ELi32ELi8ELi8ELi32ELc78ELc84EKPKDF16_KPKfKPfEEvlllT_PT11_llSB_llS9_PT12_llPT13_lli,comdat
	.globl	_ZN12_GLOBAL__N_127rocblas_gemm_batched_kernelIfLi16ELi16ELi32ELi32ELi8ELi32ELi8ELi8ELi32ELc78ELc84EKPKDF16_KPKfKPfEEvlllT_PT11_llSB_llS9_PT12_llPT13_lli ; -- Begin function _ZN12_GLOBAL__N_127rocblas_gemm_batched_kernelIfLi16ELi16ELi32ELi32ELi8ELi32ELi8ELi8ELi32ELc78ELc84EKPKDF16_KPKfKPfEEvlllT_PT11_llSB_llS9_PT12_llPT13_lli
	.p2align	8
	.type	_ZN12_GLOBAL__N_127rocblas_gemm_batched_kernelIfLi16ELi16ELi32ELi32ELi8ELi32ELi8ELi8ELi32ELc78ELc84EKPKDF16_KPKfKPfEEvlllT_PT11_llSB_llS9_PT12_llPT13_lli,@function
_ZN12_GLOBAL__N_127rocblas_gemm_batched_kernelIfLi16ELi16ELi32ELi32ELi8ELi32ELi8ELi8ELi32ELc78ELc84EKPKDF16_KPKfKPfEEvlllT_PT11_llSB_llS9_PT12_llPT13_lli: ; @_ZN12_GLOBAL__N_127rocblas_gemm_batched_kernelIfLi16ELi16ELi32ELi32ELi8ELi32ELi8ELi8ELi32ELc78ELc84EKPKDF16_KPKfKPfEEvlllT_PT11_llSB_llS9_PT12_llPT13_lli
; %bb.0:
	s_load_b32 s31, s[0:1], 0x88
	s_bfe_u32 s2, ttmp6, 0x40014
	s_lshr_b32 s3, ttmp7, 16
	s_add_co_i32 s2, s2, 1
	s_bfe_u32 s4, ttmp6, 0x40008
	s_mul_i32 s2, s3, s2
	s_getreg_b32 s28, hwreg(HW_REG_IB_STS2, 6, 4)
	s_add_co_i32 s4, s4, s2
	s_cmp_eq_u32 s28, 0
	s_cselect_b32 s2, s3, s4
	s_mov_b32 s3, 0
	s_wait_kmcnt 0x0
	s_cmp_ge_i32 s2, s31
	s_cbranch_scc1 .LBB123_10
; %bb.1:
	s_clause 0x2
	s_load_b256 s[4:11], s[0:1], 0x20
	s_load_b128 s[24:27], s[0:1], 0x40
	s_load_b32 s33, s[0:1], 0x50
	v_bfe_u32 v2, v0, 10, 10
	v_and_b32_e32 v6, 0x3ff, v0
	s_bfe_u32 s29, ttmp6, 0x4000c
	s_bfe_u32 s34, ttmp6, 0x40010
	s_add_co_i32 s29, s29, 1
	s_and_b32 s35, ttmp7, 0xffff
	s_add_co_i32 s34, s34, 1
	v_lshl_add_u32 v1, v2, 4, v6
	v_dual_mov_b32 v3, 0 :: v_dual_bitop2_b32 v0, 7, v0 bitop3:0x40
	s_clause 0x1
	s_load_b128 s[20:23], s[0:1], 0x78
	s_load_b256 s[12:19], s[0:1], 0x58
	s_and_b32 s30, ttmp6, 15
	s_mul_i32 s29, ttmp9, s29
	s_mul_i32 s34, s35, s34
	s_bfe_u32 s36, ttmp6, 0x40004
	s_add_co_i32 s30, s30, s29
	s_add_co_i32 s36, s36, s34
	s_cmp_eq_u32 s28, 0
	v_dual_mov_b32 v9, v3 :: v_dual_lshrrev_b32 v8, 3, v1
	s_cselect_b32 s28, ttmp9, s30
	v_dual_lshrrev_b32 v16, 5, v1 :: v_dual_bitop2_b32 v14, 31, v1 bitop3:0x40
	s_cselect_b32 s30, s35, s36
	s_ashr_i32 s29, s28, 31
	s_wait_kmcnt 0x0
	v_mad_nc_u64_u32 v[10:11], s24, v0, v[8:9]
	s_lshl_b64 s[34:35], s[28:29], 5
	s_lshl_b32 s36, s30, 5
	s_mov_b32 s37, s3
	v_mad_nc_u64_u32 v[12:13], s6, v16, s[34:35]
	v_add_nc_u64_e32 v[4:5], s[36:37], v[2:3]
	s_load_b96 s[28:30], s[0:1], 0x10
	v_dual_lshlrev_b32 v7, 2, v0 :: v_dual_lshlrev_b32 v9, 2, v14
	v_dual_mov_b32 v15, v3 :: v_dual_lshlrev_b32 v26, 2, v6
	v_mad_u32 v11, s25, v0, v11
	s_delay_alu instid0(VALU_DEP_4)
	v_mul_u64_e32 v[0:1], s[20:21], v[4:5]
	v_mul_u64_e32 v[4:5], s[14:15], v[4:5]
	v_lshl_or_b32 v17, v8, 5, v7
	v_mad_u32 v13, s7, v16, v13
	v_mov_b32_e32 v7, v3
	v_lshl_or_b32 v24, v16, 7, v9
	s_cmp_eq_f32 s33, 0
	v_add_nc_u32_e32 v25, 0x400, v17
	v_lshl_add_u32 v2, v2, 5, 0x400
	v_add_nc_u64_e32 v[8:9], s[36:37], v[10:11]
	s_wait_xcnt 0x0
	s_cselect_b32 s1, -1, 0
	s_lshl_b64 s[20:21], s[20:21], 4
	s_lshl_b64 s[14:15], s[14:15], 4
	v_add_nc_u64_e32 v[10:11], v[12:13], v[14:15]
	s_wait_kmcnt 0x0
	v_cmp_gt_i64_e64 s0, s[28:29], 0
	v_add_nc_u64_e32 v[12:13], s[34:35], v[6:7]
	v_lshlrev_b64_e32 v[8:9], 1, v[8:9]
	s_lshl_b64 s[24:25], s[24:25], 4
	s_lshl_b64 s[6:7], s[6:7], 4
	;; [unrolled: 1-line block ×3, first 2 shown]
	v_lshlrev_b64_e32 v[10:11], 1, v[10:11]
	v_cndmask_b32_e64 v14, 0, 1, s0
	s_delay_alu instid0(VALU_DEP_3) | instskip(SKIP_1) | instid1(VALU_DEP_3)
	v_lshl_add_u64 v[6:7], s[26:27], 1, v[8:9]
	v_lshlrev_b64_e32 v[8:9], 2, v[12:13]
	v_cmp_ne_u32_e64 s0, 1, v14
	v_lshl_add_u64 v[10:11], s[8:9], 1, v[10:11]
	s_lshl_b64 s[8:9], s[22:23], 2
	s_branch .LBB123_3
.LBB123_2:                              ;   in Loop: Header=BB123_3 Depth=1
	s_add_co_i32 s2, s2, 0x10000
	s_delay_alu instid0(SALU_CYCLE_1)
	s_cmp_lt_i32 s2, s31
	s_cbranch_scc0 .LBB123_10
.LBB123_3:                              ; =>This Loop Header: Depth=1
                                        ;     Child Loop BB123_5 Depth 2
	v_dual_mov_b32 v14, s2 :: v_dual_mov_b32 v19, 0
	v_dual_mov_b32 v18, 0 :: v_dual_mov_b32 v15, 0
	s_and_b32 vcc_lo, exec_lo, s0
	s_clause 0x1
	global_load_b64 v[12:13], v14, s[12:13] scale_offset
	global_load_b64 v[16:17], v14, s[18:19] scale_offset
	s_wait_xcnt 0x0
	v_mov_b32_e32 v14, 0
	s_cbranch_vccnz .LBB123_6
; %bb.4:                                ;   in Loop: Header=BB123_3 Depth=1
	s_lshl_b64 s[22:23], s[2:3], 3
	v_mov_b32_e32 v14, 0
	s_add_nc_u64 s[26:27], s[10:11], s[22:23]
	s_add_nc_u64 s[22:23], s[4:5], s[22:23]
	s_clause 0x1
	global_load_b64 v[18:19], v3, s[26:27]
	global_load_b64 v[22:23], v3, s[22:23]
	s_wait_xcnt 0x0
	s_mov_b64 s[22:23], 0
	v_mov_b32_e32 v15, v14
	s_wait_loadcnt 0x1
	v_add_nc_u64_e32 v[20:21], v[18:19], v[6:7]
	s_wait_loadcnt 0x0
	v_add_nc_u64_e32 v[22:23], v[22:23], v[10:11]
	v_dual_mov_b32 v18, v14 :: v_dual_mov_b32 v19, v14
.LBB123_5:                              ;   Parent Loop BB123_3 Depth=1
                                        ; =>  This Inner Loop Header: Depth=2
	flat_load_u16 v27, v[22:23]
	flat_load_u16 v28, v[20:21]
	s_add_nc_u64 s[22:23], s[22:23], 8
	s_wait_xcnt 0x0
	v_add_nc_u64_e32 v[20:21], s[24:25], v[20:21]
	v_cmp_lt_i64_e64 s26, s[22:23], s[28:29]
	v_add_nc_u64_e32 v[22:23], s[6:7], v[22:23]
	s_and_b32 vcc_lo, exec_lo, s26
	s_wait_loadcnt_dscnt 0x101
	v_cvt_f32_f16_e32 v27, v27
	s_wait_loadcnt_dscnt 0x0
	v_cvt_f32_f16_e32 v28, v28
	ds_store_b32 v24, v27
	ds_store_b32 v25, v28
	s_wait_dscnt 0x0
	s_barrier_signal -1
	s_barrier_wait -1
	ds_load_2addr_b32 v[44:45], v26 offset1:16
	ds_load_2addr_b32 v[46:47], v26 offset0:32 offset1:48
	ds_load_b128 v[28:31], v2
	ds_load_2addr_b32 v[48:49], v26 offset0:64 offset1:80
	ds_load_b128 v[32:35], v2 offset:512
	ds_load_2addr_b32 v[50:51], v26 offset0:96 offset1:112
	ds_load_b128 v[36:39], v2 offset:16
	;; [unrolled: 2-line block ×3, first 2 shown]
	ds_load_2addr_b32 v[54:55], v26 offset0:160 offset1:176
	ds_load_2addr_b32 v[56:57], v26 offset0:192 offset1:208
	;; [unrolled: 1-line block ×3, first 2 shown]
	s_wait_dscnt 0x0
	s_barrier_signal -1
	s_barrier_wait -1
	v_dual_mov_b32 v60, v45 :: v_dual_mov_b32 v61, v44
	v_dual_mov_b32 v44, v47 :: v_dual_mov_b32 v45, v46
	;; [unrolled: 1-line block ×3, first 2 shown]
	s_delay_alu instid0(VALU_DEP_3) | instskip(SKIP_3) | instid1(VALU_DEP_4)
	v_pk_fma_f32 v[18:19], v[60:61], v[28:29], v[18:19] op_sel_hi:[1,0,1]
	v_pk_fma_f32 v[14:15], v[60:61], v[32:33], v[14:15] op_sel_hi:[1,0,1]
	v_dual_mov_b32 v48, v51 :: v_dual_mov_b32 v49, v50
	v_mov_b32_e32 v50, v31
	v_pk_fma_f32 v[18:19], v[44:45], v[28:29], v[18:19] op_sel:[0,1,0]
	s_delay_alu instid0(VALU_DEP_4) | instskip(SKIP_2) | instid1(VALU_DEP_4)
	v_pk_fma_f32 v[14:15], v[44:45], v[32:33], v[14:15] op_sel:[0,1,0]
	v_dual_mov_b32 v28, v35 :: v_dual_mov_b32 v32, v59
	v_mov_b32_e32 v33, v58
	v_pk_fma_f32 v[18:19], v[46:47], v[30:31], v[18:19] op_sel_hi:[1,0,1]
	s_delay_alu instid0(VALU_DEP_4) | instskip(SKIP_2) | instid1(VALU_DEP_4)
	v_pk_fma_f32 v[14:15], v[46:47], v[34:35], v[14:15] op_sel_hi:[1,0,1]
	v_dual_mov_b32 v30, v53 :: v_dual_mov_b32 v31, v52
	v_mov_b32_e32 v34, v43
	v_pk_fma_f32 v[18:19], v[48:49], v[50:51], v[18:19] op_sel_hi:[1,0,1]
	s_delay_alu instid0(VALU_DEP_4) | instskip(SKIP_1) | instid1(VALU_DEP_3)
	v_pk_fma_f32 v[14:15], v[48:49], v[28:29], v[14:15] op_sel_hi:[1,0,1]
	v_dual_mov_b32 v28, v55 :: v_dual_mov_b32 v29, v54
	v_pk_fma_f32 v[18:19], v[30:31], v[36:37], v[18:19] op_sel_hi:[1,0,1]
	s_delay_alu instid0(VALU_DEP_3) | instskip(SKIP_1) | instid1(VALU_DEP_3)
	v_pk_fma_f32 v[14:15], v[30:31], v[40:41], v[14:15] op_sel_hi:[1,0,1]
	v_dual_mov_b32 v30, v57 :: v_dual_mov_b32 v31, v56
	v_pk_fma_f32 v[18:19], v[28:29], v[36:37], v[18:19] op_sel:[0,1,0]
	s_delay_alu instid0(VALU_DEP_3) | instskip(SKIP_1) | instid1(VALU_DEP_3)
	v_pk_fma_f32 v[14:15], v[28:29], v[40:41], v[14:15] op_sel:[0,1,0]
	v_mov_b32_e32 v28, v39
	v_pk_fma_f32 v[18:19], v[30:31], v[38:39], v[18:19] op_sel_hi:[1,0,1]
	s_delay_alu instid0(VALU_DEP_3) | instskip(NEXT) | instid1(VALU_DEP_2)
	v_pk_fma_f32 v[14:15], v[30:31], v[42:43], v[14:15] op_sel_hi:[1,0,1]
	v_pk_fma_f32 v[18:19], v[32:33], v[28:29], v[18:19] op_sel_hi:[1,0,1]
	s_delay_alu instid0(VALU_DEP_2)
	v_pk_fma_f32 v[14:15], v[32:33], v[34:35], v[14:15] op_sel_hi:[1,0,1]
	s_cbranch_vccnz .LBB123_5
.LBB123_6:                              ;   in Loop: Header=BB123_3 Depth=1
	s_wait_loadcnt 0x0
	v_add_nc_u64_e32 v[16:17], s[8:9], v[16:17]
	s_and_not1_b32 vcc_lo, exec_lo, s1
	s_delay_alu instid0(VALU_DEP_1) | instskip(NEXT) | instid1(VALU_DEP_1)
	v_lshl_add_u64 v[16:17], v[0:1], 2, v[16:17]
	v_add_nc_u64_e32 v[20:21], v[16:17], v[8:9]
	v_lshl_add_u64 v[16:17], s[20:21], 2, v[16:17]
	s_cbranch_vccnz .LBB123_8
; %bb.7:                                ;   in Loop: Header=BB123_3 Depth=1
	s_delay_alu instid0(VALU_DEP_1)
	v_add_nc_u64_e32 v[22:23], v[16:17], v[8:9]
	v_dual_mul_f32 v27, s30, v19 :: v_dual_mul_f32 v28, s30, v18
	v_dual_mul_f32 v29, s30, v15 :: v_dual_mul_f32 v30, s30, v14
	s_clause 0x3
	flat_store_b32 v[20:21], v27
	flat_store_b32 v[20:21], v28 offset:64
	flat_store_b32 v[22:23], v29
	flat_store_b32 v[22:23], v30 offset:64
	s_cbranch_execnz .LBB123_2
	s_branch .LBB123_9
.LBB123_8:                              ;   in Loop: Header=BB123_3 Depth=1
.LBB123_9:                              ;   in Loop: Header=BB123_3 Depth=1
	v_add_nc_u64_e32 v[12:13], s[16:17], v[12:13]
	s_delay_alu instid0(VALU_DEP_2) | instskip(NEXT) | instid1(VALU_DEP_2)
	v_add_nc_u64_e32 v[16:17], v[16:17], v[8:9]
	v_lshl_add_u64 v[12:13], v[4:5], 2, v[12:13]
	s_wait_xcnt 0x0
	s_delay_alu instid0(VALU_DEP_1) | instskip(SKIP_1) | instid1(VALU_DEP_1)
	v_add_nc_u64_e32 v[22:23], v[12:13], v[8:9]
	v_lshl_add_u64 v[12:13], s[14:15], 2, v[12:13]
	v_add_nc_u64_e32 v[12:13], v[12:13], v[8:9]
	flat_load_b32 v27, v[22:23]
	s_wait_loadcnt_dscnt 0x0
	v_mul_f32_e32 v27, s33, v27
	s_delay_alu instid0(VALU_DEP_1) | instskip(SKIP_4) | instid1(VALU_DEP_1)
	v_fmac_f32_e32 v27, s30, v19
	flat_store_b32 v[20:21], v27
	flat_load_b32 v19, v[22:23] offset:64
	s_wait_loadcnt_dscnt 0x0
	v_mul_f32_e32 v19, s33, v19
	v_fmac_f32_e32 v19, s30, v18
	flat_store_b32 v[20:21], v19 offset:64
	flat_load_b32 v18, v[12:13]
	s_wait_loadcnt_dscnt 0x0
	v_mul_f32_e32 v18, s33, v18
	s_delay_alu instid0(VALU_DEP_1)
	v_fmac_f32_e32 v18, s30, v15
	flat_store_b32 v[16:17], v18
	flat_load_b32 v12, v[12:13] offset:64
	s_wait_loadcnt_dscnt 0x0
	s_wait_xcnt 0x0
	v_mul_f32_e32 v12, s33, v12
	s_delay_alu instid0(VALU_DEP_1)
	v_fmac_f32_e32 v12, s30, v14
	flat_store_b32 v[16:17], v12 offset:64
	s_branch .LBB123_2
.LBB123_10:
	s_endpgm
	.section	.rodata,"a",@progbits
	.p2align	6, 0x0
	.amdhsa_kernel _ZN12_GLOBAL__N_127rocblas_gemm_batched_kernelIfLi16ELi16ELi32ELi32ELi8ELi32ELi8ELi8ELi32ELc78ELc84EKPKDF16_KPKfKPfEEvlllT_PT11_llSB_llS9_PT12_llPT13_lli
		.amdhsa_group_segment_fixed_size 2048
		.amdhsa_private_segment_fixed_size 0
		.amdhsa_kernarg_size 140
		.amdhsa_user_sgpr_count 2
		.amdhsa_user_sgpr_dispatch_ptr 0
		.amdhsa_user_sgpr_queue_ptr 0
		.amdhsa_user_sgpr_kernarg_segment_ptr 1
		.amdhsa_user_sgpr_dispatch_id 0
		.amdhsa_user_sgpr_kernarg_preload_length 0
		.amdhsa_user_sgpr_kernarg_preload_offset 0
		.amdhsa_user_sgpr_private_segment_size 0
		.amdhsa_wavefront_size32 1
		.amdhsa_uses_dynamic_stack 0
		.amdhsa_enable_private_segment 0
		.amdhsa_system_sgpr_workgroup_id_x 1
		.amdhsa_system_sgpr_workgroup_id_y 1
		.amdhsa_system_sgpr_workgroup_id_z 1
		.amdhsa_system_sgpr_workgroup_info 0
		.amdhsa_system_vgpr_workitem_id 1
		.amdhsa_next_free_vgpr 62
		.amdhsa_next_free_sgpr 38
		.amdhsa_named_barrier_count 0
		.amdhsa_reserve_vcc 1
		.amdhsa_float_round_mode_32 0
		.amdhsa_float_round_mode_16_64 0
		.amdhsa_float_denorm_mode_32 3
		.amdhsa_float_denorm_mode_16_64 3
		.amdhsa_fp16_overflow 0
		.amdhsa_memory_ordered 1
		.amdhsa_forward_progress 1
		.amdhsa_inst_pref_size 12
		.amdhsa_round_robin_scheduling 0
		.amdhsa_exception_fp_ieee_invalid_op 0
		.amdhsa_exception_fp_denorm_src 0
		.amdhsa_exception_fp_ieee_div_zero 0
		.amdhsa_exception_fp_ieee_overflow 0
		.amdhsa_exception_fp_ieee_underflow 0
		.amdhsa_exception_fp_ieee_inexact 0
		.amdhsa_exception_int_div_zero 0
	.end_amdhsa_kernel
	.section	.text._ZN12_GLOBAL__N_127rocblas_gemm_batched_kernelIfLi16ELi16ELi32ELi32ELi8ELi32ELi8ELi8ELi32ELc78ELc84EKPKDF16_KPKfKPfEEvlllT_PT11_llSB_llS9_PT12_llPT13_lli,"axG",@progbits,_ZN12_GLOBAL__N_127rocblas_gemm_batched_kernelIfLi16ELi16ELi32ELi32ELi8ELi32ELi8ELi8ELi32ELc78ELc84EKPKDF16_KPKfKPfEEvlllT_PT11_llSB_llS9_PT12_llPT13_lli,comdat
.Lfunc_end123:
	.size	_ZN12_GLOBAL__N_127rocblas_gemm_batched_kernelIfLi16ELi16ELi32ELi32ELi8ELi32ELi8ELi8ELi32ELc78ELc84EKPKDF16_KPKfKPfEEvlllT_PT11_llSB_llS9_PT12_llPT13_lli, .Lfunc_end123-_ZN12_GLOBAL__N_127rocblas_gemm_batched_kernelIfLi16ELi16ELi32ELi32ELi8ELi32ELi8ELi8ELi32ELc78ELc84EKPKDF16_KPKfKPfEEvlllT_PT11_llSB_llS9_PT12_llPT13_lli
                                        ; -- End function
	.set _ZN12_GLOBAL__N_127rocblas_gemm_batched_kernelIfLi16ELi16ELi32ELi32ELi8ELi32ELi8ELi8ELi32ELc78ELc84EKPKDF16_KPKfKPfEEvlllT_PT11_llSB_llS9_PT12_llPT13_lli.num_vgpr, 62
	.set _ZN12_GLOBAL__N_127rocblas_gemm_batched_kernelIfLi16ELi16ELi32ELi32ELi8ELi32ELi8ELi8ELi32ELc78ELc84EKPKDF16_KPKfKPfEEvlllT_PT11_llSB_llS9_PT12_llPT13_lli.num_agpr, 0
	.set _ZN12_GLOBAL__N_127rocblas_gemm_batched_kernelIfLi16ELi16ELi32ELi32ELi8ELi32ELi8ELi8ELi32ELc78ELc84EKPKDF16_KPKfKPfEEvlllT_PT11_llSB_llS9_PT12_llPT13_lli.numbered_sgpr, 38
	.set _ZN12_GLOBAL__N_127rocblas_gemm_batched_kernelIfLi16ELi16ELi32ELi32ELi8ELi32ELi8ELi8ELi32ELc78ELc84EKPKDF16_KPKfKPfEEvlllT_PT11_llSB_llS9_PT12_llPT13_lli.num_named_barrier, 0
	.set _ZN12_GLOBAL__N_127rocblas_gemm_batched_kernelIfLi16ELi16ELi32ELi32ELi8ELi32ELi8ELi8ELi32ELc78ELc84EKPKDF16_KPKfKPfEEvlllT_PT11_llSB_llS9_PT12_llPT13_lli.private_seg_size, 0
	.set _ZN12_GLOBAL__N_127rocblas_gemm_batched_kernelIfLi16ELi16ELi32ELi32ELi8ELi32ELi8ELi8ELi32ELc78ELc84EKPKDF16_KPKfKPfEEvlllT_PT11_llSB_llS9_PT12_llPT13_lli.uses_vcc, 1
	.set _ZN12_GLOBAL__N_127rocblas_gemm_batched_kernelIfLi16ELi16ELi32ELi32ELi8ELi32ELi8ELi8ELi32ELc78ELc84EKPKDF16_KPKfKPfEEvlllT_PT11_llSB_llS9_PT12_llPT13_lli.uses_flat_scratch, 1
	.set _ZN12_GLOBAL__N_127rocblas_gemm_batched_kernelIfLi16ELi16ELi32ELi32ELi8ELi32ELi8ELi8ELi32ELc78ELc84EKPKDF16_KPKfKPfEEvlllT_PT11_llSB_llS9_PT12_llPT13_lli.has_dyn_sized_stack, 0
	.set _ZN12_GLOBAL__N_127rocblas_gemm_batched_kernelIfLi16ELi16ELi32ELi32ELi8ELi32ELi8ELi8ELi32ELc78ELc84EKPKDF16_KPKfKPfEEvlllT_PT11_llSB_llS9_PT12_llPT13_lli.has_recursion, 0
	.set _ZN12_GLOBAL__N_127rocblas_gemm_batched_kernelIfLi16ELi16ELi32ELi32ELi8ELi32ELi8ELi8ELi32ELc78ELc84EKPKDF16_KPKfKPfEEvlllT_PT11_llSB_llS9_PT12_llPT13_lli.has_indirect_call, 0
	.section	.AMDGPU.csdata,"",@progbits
; Kernel info:
; codeLenInByte = 1440
; TotalNumSgprs: 40
; NumVgprs: 62
; ScratchSize: 0
; MemoryBound: 0
; FloatMode: 240
; IeeeMode: 1
; LDSByteSize: 2048 bytes/workgroup (compile time only)
; SGPRBlocks: 0
; VGPRBlocks: 3
; NumSGPRsForWavesPerEU: 40
; NumVGPRsForWavesPerEU: 62
; NamedBarCnt: 0
; Occupancy: 16
; WaveLimiterHint : 1
; COMPUTE_PGM_RSRC2:SCRATCH_EN: 0
; COMPUTE_PGM_RSRC2:USER_SGPR: 2
; COMPUTE_PGM_RSRC2:TRAP_HANDLER: 0
; COMPUTE_PGM_RSRC2:TGID_X_EN: 1
; COMPUTE_PGM_RSRC2:TGID_Y_EN: 1
; COMPUTE_PGM_RSRC2:TGID_Z_EN: 1
; COMPUTE_PGM_RSRC2:TIDIG_COMP_CNT: 1
	.section	.text._ZN12_GLOBAL__N_127rocblas_gemm_batched_kernelIfLi16ELi16ELi32ELi32ELi8ELi32ELi8ELi8ELi32ELc84ELc84EKPKDF16_KPKfKPfEEvlllT_PT11_llSB_llS9_PT12_llPT13_lli,"axG",@progbits,_ZN12_GLOBAL__N_127rocblas_gemm_batched_kernelIfLi16ELi16ELi32ELi32ELi8ELi32ELi8ELi8ELi32ELc84ELc84EKPKDF16_KPKfKPfEEvlllT_PT11_llSB_llS9_PT12_llPT13_lli,comdat
	.globl	_ZN12_GLOBAL__N_127rocblas_gemm_batched_kernelIfLi16ELi16ELi32ELi32ELi8ELi32ELi8ELi8ELi32ELc84ELc84EKPKDF16_KPKfKPfEEvlllT_PT11_llSB_llS9_PT12_llPT13_lli ; -- Begin function _ZN12_GLOBAL__N_127rocblas_gemm_batched_kernelIfLi16ELi16ELi32ELi32ELi8ELi32ELi8ELi8ELi32ELc84ELc84EKPKDF16_KPKfKPfEEvlllT_PT11_llSB_llS9_PT12_llPT13_lli
	.p2align	8
	.type	_ZN12_GLOBAL__N_127rocblas_gemm_batched_kernelIfLi16ELi16ELi32ELi32ELi8ELi32ELi8ELi8ELi32ELc84ELc84EKPKDF16_KPKfKPfEEvlllT_PT11_llSB_llS9_PT12_llPT13_lli,@function
_ZN12_GLOBAL__N_127rocblas_gemm_batched_kernelIfLi16ELi16ELi32ELi32ELi8ELi32ELi8ELi8ELi32ELc84ELc84EKPKDF16_KPKfKPfEEvlllT_PT11_llSB_llS9_PT12_llPT13_lli: ; @_ZN12_GLOBAL__N_127rocblas_gemm_batched_kernelIfLi16ELi16ELi32ELi32ELi8ELi32ELi8ELi8ELi32ELc84ELc84EKPKDF16_KPKfKPfEEvlllT_PT11_llSB_llS9_PT12_llPT13_lli
; %bb.0:
	s_load_b32 s31, s[0:1], 0x88
	s_bfe_u32 s2, ttmp6, 0x40014
	s_lshr_b32 s3, ttmp7, 16
	s_add_co_i32 s2, s2, 1
	s_bfe_u32 s4, ttmp6, 0x40008
	s_mul_i32 s2, s3, s2
	s_getreg_b32 s28, hwreg(HW_REG_IB_STS2, 6, 4)
	s_add_co_i32 s4, s4, s2
	s_cmp_eq_u32 s28, 0
	s_cselect_b32 s2, s3, s4
	s_mov_b32 s3, 0
	s_wait_kmcnt 0x0
	s_cmp_ge_i32 s2, s31
	s_cbranch_scc1 .LBB124_10
; %bb.1:
	v_bfe_u32 v2, v0, 10, 10
	v_and_b32_e32 v6, 0x3ff, v0
	s_bfe_u32 s29, ttmp6, 0x4000c
	s_bfe_u32 s33, ttmp6, 0x40010
	s_add_co_i32 s29, s29, 1
	s_and_b32 s34, ttmp7, 0xffff
	s_add_co_i32 s33, s33, 1
	s_clause 0x3
	s_load_b256 s[4:11], s[0:1], 0x20
	s_load_b128 s[24:27], s[0:1], 0x40
	s_load_b128 s[20:23], s[0:1], 0x78
	s_load_b256 s[12:19], s[0:1], 0x58
	s_and_b32 s30, ttmp6, 15
	s_mul_i32 s29, ttmp9, s29
	s_mul_i32 s33, s34, s33
	s_bfe_u32 s35, ttmp6, 0x40004
	v_lshl_add_u32 v7, v2, 4, v6
	s_add_co_i32 s30, s30, s29
	s_add_co_i32 s35, s35, s33
	s_cmp_eq_u32 s28, 0
	s_delay_alu instid0(VALU_DEP_1)
	v_dual_mov_b32 v3, 0 :: v_dual_bitop2_b32 v14, 31, v7 bitop3:0x40
	s_cselect_b32 s28, ttmp9, s30
	s_cselect_b32 s30, s34, s35
	s_ashr_i32 s29, s28, 31
	v_lshrrev_b32_e32 v8, 3, v7
	s_lshl_b64 s[34:35], s[28:29], 5
	s_delay_alu instid0(SALU_CYCLE_1)
	v_dual_mov_b32 v1, s35 :: v_dual_bitop2_b32 v15, 7, v0 bitop3:0x40
	v_dual_mov_b32 v9, v3 :: v_dual_bitop2_b32 v0, s34, v14 bitop3:0x54
	v_lshrrev_b32_e32 v16, 5, v7
	s_load_b32 s33, s[0:1], 0x50
	v_lshlrev_b32_e32 v14, 2, v14
	s_wait_kmcnt 0x0
	v_mul_u64_e32 v[10:11], s[6:7], v[0:1]
	s_lshl_b32 s6, s30, 5
	v_mad_nc_u64_u32 v[12:13], s24, v15, v[8:9]
	s_mov_b32 s7, s3
	s_load_b96 s[28:30], s[0:1], 0x10
	v_add_nc_u64_e32 v[4:5], s[6:7], v[2:3]
	v_dual_lshlrev_b32 v9, 2, v15 :: v_dual_mov_b32 v7, v3
	v_lshlrev_b32_e32 v26, 2, v6
	v_lshl_or_b32 v24, v16, 7, v14
	v_lshl_add_u32 v27, v2, 5, 0x400
	v_lshlrev_b32_e32 v2, 1, v16
	v_mul_u64_e32 v[0:1], s[20:21], v[4:5]
	v_mul_u64_e32 v[4:5], s[14:15], v[4:5]
	v_mad_u32 v13, s25, v15, v13
	v_lshl_or_b32 v15, v8, 5, v9
	s_cmp_eq_f32 s33, 0
	s_delay_alu instid0(VALU_DEP_1)
	v_add_nc_u32_e32 v25, 0x400, v15
	s_wait_xcnt 0x0
	s_cselect_b32 s1, -1, 0
	s_lshl_b64 s[16:17], s[16:17], 2
	s_wait_kmcnt 0x0
	v_cmp_gt_i64_e64 s0, s[28:29], 0
	s_delay_alu instid0(VALU_DEP_4)
	v_add_nc_u64_e32 v[8:9], s[6:7], v[12:13]
	v_add_nc_u64_e32 v[12:13], s[34:35], v[6:7]
	s_lshl_b64 s[6:7], s[8:9], 1
	s_lshl_b64 s[8:9], s[14:15], 4
	;; [unrolled: 1-line block ×3, first 2 shown]
	v_cndmask_b32_e64 v16, 0, 1, s0
	s_delay_alu instid0(VALU_DEP_3)
	v_lshlrev_b64_e32 v[14:15], 1, v[8:9]
	v_lshl_add_u64 v[6:7], v[10:11], 1, s[6:7]
	v_lshlrev_b64_e32 v[8:9], 2, v[12:13]
	s_lshl_b64 s[6:7], s[20:21], 4
	v_cmp_ne_u32_e64 s0, 1, v16
	s_lshl_b64 s[20:21], s[22:23], 2
	v_add_nc_u64_e32 v[6:7], v[6:7], v[2:3]
	v_lshl_add_u64 v[10:11], s[26:27], 1, v[14:15]
	s_branch .LBB124_3
.LBB124_2:                              ;   in Loop: Header=BB124_3 Depth=1
	s_add_co_i32 s2, s2, 0x10000
	s_delay_alu instid0(SALU_CYCLE_1)
	s_cmp_lt_i32 s2, s31
	s_cbranch_scc0 .LBB124_10
.LBB124_3:                              ; =>This Loop Header: Depth=1
                                        ;     Child Loop BB124_5 Depth 2
	s_wait_xcnt 0x0
	v_dual_mov_b32 v2, s2 :: v_dual_mov_b32 v19, 0
	v_dual_mov_b32 v18, 0 :: v_dual_mov_b32 v15, 0
	v_mov_b32_e32 v14, 0
	s_clause 0x1
	global_load_b64 v[12:13], v2, s[12:13] scale_offset
	global_load_b64 v[16:17], v2, s[18:19] scale_offset
	s_and_b32 vcc_lo, exec_lo, s0
	s_cbranch_vccnz .LBB124_6
; %bb.4:                                ;   in Loop: Header=BB124_3 Depth=1
	s_lshl_b64 s[22:23], s[2:3], 3
	v_mov_b32_e32 v14, 0
	s_add_nc_u64 s[24:25], s[10:11], s[22:23]
	s_add_nc_u64 s[22:23], s[4:5], s[22:23]
	s_clause 0x1
	global_load_b64 v[18:19], v3, s[24:25]
	global_load_b64 v[22:23], v3, s[22:23]
	s_wait_xcnt 0x0
	s_mov_b64 s[22:23], 0
	v_mov_b32_e32 v15, v14
	s_wait_loadcnt 0x1
	v_add_nc_u64_e32 v[20:21], v[18:19], v[10:11]
	s_wait_loadcnt 0x0
	v_add_nc_u64_e32 v[22:23], v[22:23], v[6:7]
	v_dual_mov_b32 v18, v14 :: v_dual_mov_b32 v19, v14
.LBB124_5:                              ;   Parent Loop BB124_3 Depth=1
                                        ; =>  This Inner Loop Header: Depth=2
	flat_load_u16 v2, v[22:23]
	flat_load_u16 v28, v[20:21]
	s_add_nc_u64 s[22:23], s[22:23], 8
	s_wait_xcnt 0x0
	v_add_nc_u64_e32 v[20:21], s[14:15], v[20:21]
	v_cmp_lt_i64_e64 s24, s[22:23], s[28:29]
	v_add_nc_u64_e32 v[22:23], 16, v[22:23]
	s_and_b32 vcc_lo, exec_lo, s24
	s_wait_loadcnt_dscnt 0x101
	v_cvt_f32_f16_e32 v2, v2
	s_wait_loadcnt_dscnt 0x0
	v_cvt_f32_f16_e32 v28, v28
	ds_store_b32 v24, v2
	ds_store_b32 v25, v28
	s_wait_dscnt 0x0
	s_barrier_signal -1
	s_barrier_wait -1
	ds_load_2addr_b32 v[44:45], v26 offset1:16
	ds_load_2addr_b32 v[46:47], v26 offset0:32 offset1:48
	ds_load_b128 v[28:31], v27
	ds_load_2addr_b32 v[48:49], v26 offset0:64 offset1:80
	ds_load_b128 v[32:35], v27 offset:512
	ds_load_2addr_b32 v[50:51], v26 offset0:96 offset1:112
	ds_load_b128 v[36:39], v27 offset:16
	;; [unrolled: 2-line block ×3, first 2 shown]
	ds_load_2addr_b32 v[54:55], v26 offset0:160 offset1:176
	ds_load_2addr_b32 v[56:57], v26 offset0:192 offset1:208
	;; [unrolled: 1-line block ×3, first 2 shown]
	s_wait_dscnt 0x0
	s_barrier_signal -1
	s_barrier_wait -1
	v_dual_mov_b32 v60, v45 :: v_dual_mov_b32 v61, v44
	v_dual_mov_b32 v44, v47 :: v_dual_mov_b32 v45, v46
	;; [unrolled: 1-line block ×3, first 2 shown]
	s_delay_alu instid0(VALU_DEP_3) | instskip(SKIP_3) | instid1(VALU_DEP_4)
	v_pk_fma_f32 v[18:19], v[60:61], v[28:29], v[18:19] op_sel_hi:[1,0,1]
	v_pk_fma_f32 v[14:15], v[60:61], v[32:33], v[14:15] op_sel_hi:[1,0,1]
	v_dual_mov_b32 v48, v51 :: v_dual_mov_b32 v49, v50
	v_mov_b32_e32 v2, v31
	v_pk_fma_f32 v[18:19], v[44:45], v[28:29], v[18:19] op_sel:[0,1,0]
	s_delay_alu instid0(VALU_DEP_4) | instskip(SKIP_2) | instid1(VALU_DEP_4)
	v_pk_fma_f32 v[14:15], v[44:45], v[32:33], v[14:15] op_sel:[0,1,0]
	v_dual_mov_b32 v28, v35 :: v_dual_mov_b32 v32, v59
	v_mov_b32_e32 v33, v58
	v_pk_fma_f32 v[18:19], v[46:47], v[30:31], v[18:19] op_sel_hi:[1,0,1]
	s_delay_alu instid0(VALU_DEP_4) | instskip(SKIP_1) | instid1(VALU_DEP_3)
	v_pk_fma_f32 v[14:15], v[46:47], v[34:35], v[14:15] op_sel_hi:[1,0,1]
	v_dual_mov_b32 v30, v53 :: v_dual_mov_b32 v31, v52
	v_pk_fma_f32 v[18:19], v[48:49], v[2:3], v[18:19] op_sel_hi:[1,0,1]
	s_delay_alu instid0(VALU_DEP_3) | instskip(SKIP_2) | instid1(VALU_DEP_4)
	v_pk_fma_f32 v[14:15], v[48:49], v[28:29], v[14:15] op_sel_hi:[1,0,1]
	v_dual_mov_b32 v28, v55 :: v_dual_mov_b32 v29, v54
	v_mov_b32_e32 v2, v39
	v_pk_fma_f32 v[18:19], v[30:31], v[36:37], v[18:19] op_sel_hi:[1,0,1]
	s_delay_alu instid0(VALU_DEP_4) | instskip(SKIP_1) | instid1(VALU_DEP_3)
	v_pk_fma_f32 v[14:15], v[30:31], v[40:41], v[14:15] op_sel_hi:[1,0,1]
	v_dual_mov_b32 v30, v57 :: v_dual_mov_b32 v31, v56
	v_pk_fma_f32 v[18:19], v[28:29], v[36:37], v[18:19] op_sel:[0,1,0]
	s_delay_alu instid0(VALU_DEP_3) | instskip(SKIP_1) | instid1(VALU_DEP_3)
	v_pk_fma_f32 v[14:15], v[28:29], v[40:41], v[14:15] op_sel:[0,1,0]
	v_mov_b32_e32 v28, v43
	v_pk_fma_f32 v[18:19], v[30:31], v[38:39], v[18:19] op_sel_hi:[1,0,1]
	s_delay_alu instid0(VALU_DEP_3) | instskip(NEXT) | instid1(VALU_DEP_2)
	v_pk_fma_f32 v[14:15], v[30:31], v[42:43], v[14:15] op_sel_hi:[1,0,1]
	v_pk_fma_f32 v[18:19], v[32:33], v[2:3], v[18:19] op_sel_hi:[1,0,1]
	s_delay_alu instid0(VALU_DEP_2)
	v_pk_fma_f32 v[14:15], v[32:33], v[28:29], v[14:15] op_sel_hi:[1,0,1]
	s_cbranch_vccnz .LBB124_5
.LBB124_6:                              ;   in Loop: Header=BB124_3 Depth=1
	s_wait_loadcnt 0x0
	v_add_nc_u64_e32 v[16:17], s[20:21], v[16:17]
	s_and_not1_b32 vcc_lo, exec_lo, s1
	s_delay_alu instid0(VALU_DEP_1) | instskip(NEXT) | instid1(VALU_DEP_1)
	v_lshl_add_u64 v[16:17], v[0:1], 2, v[16:17]
	v_add_nc_u64_e32 v[20:21], v[16:17], v[8:9]
	v_lshl_add_u64 v[16:17], s[6:7], 2, v[16:17]
	s_cbranch_vccnz .LBB124_8
; %bb.7:                                ;   in Loop: Header=BB124_3 Depth=1
	s_delay_alu instid0(VALU_DEP_1)
	v_add_nc_u64_e32 v[22:23], v[16:17], v[8:9]
	s_wait_xcnt 0x0
	v_dual_mul_f32 v2, s30, v19 :: v_dual_mul_f32 v28, s30, v18
	v_dual_mul_f32 v29, s30, v15 :: v_dual_mul_f32 v30, s30, v14
	s_clause 0x3
	flat_store_b32 v[20:21], v2
	flat_store_b32 v[20:21], v28 offset:64
	flat_store_b32 v[22:23], v29
	flat_store_b32 v[22:23], v30 offset:64
	s_cbranch_execnz .LBB124_2
	s_branch .LBB124_9
.LBB124_8:                              ;   in Loop: Header=BB124_3 Depth=1
.LBB124_9:                              ;   in Loop: Header=BB124_3 Depth=1
	v_add_nc_u64_e32 v[12:13], s[16:17], v[12:13]
	s_delay_alu instid0(VALU_DEP_2) | instskip(NEXT) | instid1(VALU_DEP_2)
	v_add_nc_u64_e32 v[16:17], v[16:17], v[8:9]
	v_lshl_add_u64 v[12:13], v[4:5], 2, v[12:13]
	s_wait_xcnt 0x0
	s_delay_alu instid0(VALU_DEP_1) | instskip(SKIP_1) | instid1(VALU_DEP_1)
	v_add_nc_u64_e32 v[22:23], v[12:13], v[8:9]
	v_lshl_add_u64 v[12:13], s[8:9], 2, v[12:13]
	v_add_nc_u64_e32 v[12:13], v[12:13], v[8:9]
	flat_load_b32 v2, v[22:23]
	s_wait_loadcnt_dscnt 0x0
	v_mul_f32_e32 v2, s33, v2
	s_delay_alu instid0(VALU_DEP_1) | instskip(SKIP_4) | instid1(VALU_DEP_1)
	v_fmac_f32_e32 v2, s30, v19
	flat_store_b32 v[20:21], v2
	flat_load_b32 v2, v[22:23] offset:64
	s_wait_loadcnt_dscnt 0x0
	v_mul_f32_e32 v2, s33, v2
	v_fmac_f32_e32 v2, s30, v18
	flat_store_b32 v[20:21], v2 offset:64
	flat_load_b32 v2, v[12:13]
	s_wait_loadcnt_dscnt 0x0
	v_mul_f32_e32 v2, s33, v2
	s_delay_alu instid0(VALU_DEP_1) | instskip(SKIP_4) | instid1(VALU_DEP_1)
	v_fmac_f32_e32 v2, s30, v15
	flat_store_b32 v[16:17], v2
	flat_load_b32 v2, v[12:13] offset:64
	s_wait_loadcnt_dscnt 0x0
	v_mul_f32_e32 v2, s33, v2
	v_fmac_f32_e32 v2, s30, v14
	flat_store_b32 v[16:17], v2 offset:64
	s_branch .LBB124_2
.LBB124_10:
	s_endpgm
	.section	.rodata,"a",@progbits
	.p2align	6, 0x0
	.amdhsa_kernel _ZN12_GLOBAL__N_127rocblas_gemm_batched_kernelIfLi16ELi16ELi32ELi32ELi8ELi32ELi8ELi8ELi32ELc84ELc84EKPKDF16_KPKfKPfEEvlllT_PT11_llSB_llS9_PT12_llPT13_lli
		.amdhsa_group_segment_fixed_size 2048
		.amdhsa_private_segment_fixed_size 0
		.amdhsa_kernarg_size 140
		.amdhsa_user_sgpr_count 2
		.amdhsa_user_sgpr_dispatch_ptr 0
		.amdhsa_user_sgpr_queue_ptr 0
		.amdhsa_user_sgpr_kernarg_segment_ptr 1
		.amdhsa_user_sgpr_dispatch_id 0
		.amdhsa_user_sgpr_kernarg_preload_length 0
		.amdhsa_user_sgpr_kernarg_preload_offset 0
		.amdhsa_user_sgpr_private_segment_size 0
		.amdhsa_wavefront_size32 1
		.amdhsa_uses_dynamic_stack 0
		.amdhsa_enable_private_segment 0
		.amdhsa_system_sgpr_workgroup_id_x 1
		.amdhsa_system_sgpr_workgroup_id_y 1
		.amdhsa_system_sgpr_workgroup_id_z 1
		.amdhsa_system_sgpr_workgroup_info 0
		.amdhsa_system_vgpr_workitem_id 1
		.amdhsa_next_free_vgpr 62
		.amdhsa_next_free_sgpr 36
		.amdhsa_named_barrier_count 0
		.amdhsa_reserve_vcc 1
		.amdhsa_float_round_mode_32 0
		.amdhsa_float_round_mode_16_64 0
		.amdhsa_float_denorm_mode_32 3
		.amdhsa_float_denorm_mode_16_64 3
		.amdhsa_fp16_overflow 0
		.amdhsa_memory_ordered 1
		.amdhsa_forward_progress 1
		.amdhsa_inst_pref_size 12
		.amdhsa_round_robin_scheduling 0
		.amdhsa_exception_fp_ieee_invalid_op 0
		.amdhsa_exception_fp_denorm_src 0
		.amdhsa_exception_fp_ieee_div_zero 0
		.amdhsa_exception_fp_ieee_overflow 0
		.amdhsa_exception_fp_ieee_underflow 0
		.amdhsa_exception_fp_ieee_inexact 0
		.amdhsa_exception_int_div_zero 0
	.end_amdhsa_kernel
	.section	.text._ZN12_GLOBAL__N_127rocblas_gemm_batched_kernelIfLi16ELi16ELi32ELi32ELi8ELi32ELi8ELi8ELi32ELc84ELc84EKPKDF16_KPKfKPfEEvlllT_PT11_llSB_llS9_PT12_llPT13_lli,"axG",@progbits,_ZN12_GLOBAL__N_127rocblas_gemm_batched_kernelIfLi16ELi16ELi32ELi32ELi8ELi32ELi8ELi8ELi32ELc84ELc84EKPKDF16_KPKfKPfEEvlllT_PT11_llSB_llS9_PT12_llPT13_lli,comdat
.Lfunc_end124:
	.size	_ZN12_GLOBAL__N_127rocblas_gemm_batched_kernelIfLi16ELi16ELi32ELi32ELi8ELi32ELi8ELi8ELi32ELc84ELc84EKPKDF16_KPKfKPfEEvlllT_PT11_llSB_llS9_PT12_llPT13_lli, .Lfunc_end124-_ZN12_GLOBAL__N_127rocblas_gemm_batched_kernelIfLi16ELi16ELi32ELi32ELi8ELi32ELi8ELi8ELi32ELc84ELc84EKPKDF16_KPKfKPfEEvlllT_PT11_llSB_llS9_PT12_llPT13_lli
                                        ; -- End function
	.set _ZN12_GLOBAL__N_127rocblas_gemm_batched_kernelIfLi16ELi16ELi32ELi32ELi8ELi32ELi8ELi8ELi32ELc84ELc84EKPKDF16_KPKfKPfEEvlllT_PT11_llSB_llS9_PT12_llPT13_lli.num_vgpr, 62
	.set _ZN12_GLOBAL__N_127rocblas_gemm_batched_kernelIfLi16ELi16ELi32ELi32ELi8ELi32ELi8ELi8ELi32ELc84ELc84EKPKDF16_KPKfKPfEEvlllT_PT11_llSB_llS9_PT12_llPT13_lli.num_agpr, 0
	.set _ZN12_GLOBAL__N_127rocblas_gemm_batched_kernelIfLi16ELi16ELi32ELi32ELi8ELi32ELi8ELi8ELi32ELc84ELc84EKPKDF16_KPKfKPfEEvlllT_PT11_llSB_llS9_PT12_llPT13_lli.numbered_sgpr, 36
	.set _ZN12_GLOBAL__N_127rocblas_gemm_batched_kernelIfLi16ELi16ELi32ELi32ELi8ELi32ELi8ELi8ELi32ELc84ELc84EKPKDF16_KPKfKPfEEvlllT_PT11_llSB_llS9_PT12_llPT13_lli.num_named_barrier, 0
	.set _ZN12_GLOBAL__N_127rocblas_gemm_batched_kernelIfLi16ELi16ELi32ELi32ELi8ELi32ELi8ELi8ELi32ELc84ELc84EKPKDF16_KPKfKPfEEvlllT_PT11_llSB_llS9_PT12_llPT13_lli.private_seg_size, 0
	.set _ZN12_GLOBAL__N_127rocblas_gemm_batched_kernelIfLi16ELi16ELi32ELi32ELi8ELi32ELi8ELi8ELi32ELc84ELc84EKPKDF16_KPKfKPfEEvlllT_PT11_llSB_llS9_PT12_llPT13_lli.uses_vcc, 1
	.set _ZN12_GLOBAL__N_127rocblas_gemm_batched_kernelIfLi16ELi16ELi32ELi32ELi8ELi32ELi8ELi8ELi32ELc84ELc84EKPKDF16_KPKfKPfEEvlllT_PT11_llSB_llS9_PT12_llPT13_lli.uses_flat_scratch, 1
	.set _ZN12_GLOBAL__N_127rocblas_gemm_batched_kernelIfLi16ELi16ELi32ELi32ELi8ELi32ELi8ELi8ELi32ELc84ELc84EKPKDF16_KPKfKPfEEvlllT_PT11_llSB_llS9_PT12_llPT13_lli.has_dyn_sized_stack, 0
	.set _ZN12_GLOBAL__N_127rocblas_gemm_batched_kernelIfLi16ELi16ELi32ELi32ELi8ELi32ELi8ELi8ELi32ELc84ELc84EKPKDF16_KPKfKPfEEvlllT_PT11_llSB_llS9_PT12_llPT13_lli.has_recursion, 0
	.set _ZN12_GLOBAL__N_127rocblas_gemm_batched_kernelIfLi16ELi16ELi32ELi32ELi8ELi32ELi8ELi8ELi32ELc84ELc84EKPKDF16_KPKfKPfEEvlllT_PT11_llSB_llS9_PT12_llPT13_lli.has_indirect_call, 0
	.section	.AMDGPU.csdata,"",@progbits
; Kernel info:
; codeLenInByte = 1444
; TotalNumSgprs: 38
; NumVgprs: 62
; ScratchSize: 0
; MemoryBound: 0
; FloatMode: 240
; IeeeMode: 1
; LDSByteSize: 2048 bytes/workgroup (compile time only)
; SGPRBlocks: 0
; VGPRBlocks: 3
; NumSGPRsForWavesPerEU: 38
; NumVGPRsForWavesPerEU: 62
; NamedBarCnt: 0
; Occupancy: 16
; WaveLimiterHint : 1
; COMPUTE_PGM_RSRC2:SCRATCH_EN: 0
; COMPUTE_PGM_RSRC2:USER_SGPR: 2
; COMPUTE_PGM_RSRC2:TRAP_HANDLER: 0
; COMPUTE_PGM_RSRC2:TGID_X_EN: 1
; COMPUTE_PGM_RSRC2:TGID_Y_EN: 1
; COMPUTE_PGM_RSRC2:TGID_Z_EN: 1
; COMPUTE_PGM_RSRC2:TIDIG_COMP_CNT: 1
	.section	.text._ZN12_GLOBAL__N_127rocblas_gemm_batched_kernelIfLi16ELi16ELi32ELi32ELi8ELi32ELi8ELi8ELi32ELc67ELc67EKPKDF16_KPKfKPfEEvlllT_PT11_llSB_llS9_PT12_llPT13_lli,"axG",@progbits,_ZN12_GLOBAL__N_127rocblas_gemm_batched_kernelIfLi16ELi16ELi32ELi32ELi8ELi32ELi8ELi8ELi32ELc67ELc67EKPKDF16_KPKfKPfEEvlllT_PT11_llSB_llS9_PT12_llPT13_lli,comdat
	.globl	_ZN12_GLOBAL__N_127rocblas_gemm_batched_kernelIfLi16ELi16ELi32ELi32ELi8ELi32ELi8ELi8ELi32ELc67ELc67EKPKDF16_KPKfKPfEEvlllT_PT11_llSB_llS9_PT12_llPT13_lli ; -- Begin function _ZN12_GLOBAL__N_127rocblas_gemm_batched_kernelIfLi16ELi16ELi32ELi32ELi8ELi32ELi8ELi8ELi32ELc67ELc67EKPKDF16_KPKfKPfEEvlllT_PT11_llSB_llS9_PT12_llPT13_lli
	.p2align	8
	.type	_ZN12_GLOBAL__N_127rocblas_gemm_batched_kernelIfLi16ELi16ELi32ELi32ELi8ELi32ELi8ELi8ELi32ELc67ELc67EKPKDF16_KPKfKPfEEvlllT_PT11_llSB_llS9_PT12_llPT13_lli,@function
_ZN12_GLOBAL__N_127rocblas_gemm_batched_kernelIfLi16ELi16ELi32ELi32ELi8ELi32ELi8ELi8ELi32ELc67ELc67EKPKDF16_KPKfKPfEEvlllT_PT11_llSB_llS9_PT12_llPT13_lli: ; @_ZN12_GLOBAL__N_127rocblas_gemm_batched_kernelIfLi16ELi16ELi32ELi32ELi8ELi32ELi8ELi8ELi32ELc67ELc67EKPKDF16_KPKfKPfEEvlllT_PT11_llSB_llS9_PT12_llPT13_lli
; %bb.0:
	s_load_b32 s31, s[0:1], 0x88
	s_bfe_u32 s2, ttmp6, 0x40014
	s_lshr_b32 s3, ttmp7, 16
	s_add_co_i32 s2, s2, 1
	s_bfe_u32 s4, ttmp6, 0x40008
	s_mul_i32 s2, s3, s2
	s_getreg_b32 s28, hwreg(HW_REG_IB_STS2, 6, 4)
	s_add_co_i32 s4, s4, s2
	s_cmp_eq_u32 s28, 0
	s_cselect_b32 s2, s3, s4
	s_mov_b32 s3, 0
	s_wait_kmcnt 0x0
	s_cmp_ge_i32 s2, s31
	s_cbranch_scc1 .LBB125_10
; %bb.1:
	v_bfe_u32 v2, v0, 10, 10
	v_and_b32_e32 v6, 0x3ff, v0
	s_bfe_u32 s29, ttmp6, 0x4000c
	s_bfe_u32 s33, ttmp6, 0x40010
	s_add_co_i32 s29, s29, 1
	s_and_b32 s34, ttmp7, 0xffff
	s_add_co_i32 s33, s33, 1
	s_clause 0x3
	s_load_b256 s[4:11], s[0:1], 0x20
	s_load_b128 s[24:27], s[0:1], 0x40
	s_load_b128 s[20:23], s[0:1], 0x78
	s_load_b256 s[12:19], s[0:1], 0x58
	s_and_b32 s30, ttmp6, 15
	s_mul_i32 s29, ttmp9, s29
	s_mul_i32 s33, s34, s33
	s_bfe_u32 s35, ttmp6, 0x40004
	v_lshl_add_u32 v7, v2, 4, v6
	s_add_co_i32 s30, s30, s29
	s_add_co_i32 s35, s35, s33
	s_cmp_eq_u32 s28, 0
	s_delay_alu instid0(VALU_DEP_1)
	v_dual_mov_b32 v3, 0 :: v_dual_bitop2_b32 v14, 31, v7 bitop3:0x40
	s_cselect_b32 s28, ttmp9, s30
	s_cselect_b32 s30, s34, s35
	s_ashr_i32 s29, s28, 31
	v_lshrrev_b32_e32 v8, 3, v7
	s_lshl_b64 s[34:35], s[28:29], 5
	s_delay_alu instid0(SALU_CYCLE_1)
	v_dual_mov_b32 v1, s35 :: v_dual_bitop2_b32 v15, 7, v0 bitop3:0x40
	v_dual_mov_b32 v9, v3 :: v_dual_bitop2_b32 v0, s34, v14 bitop3:0x54
	v_lshrrev_b32_e32 v16, 5, v7
	s_load_b32 s33, s[0:1], 0x50
	v_lshlrev_b32_e32 v14, 2, v14
	s_wait_kmcnt 0x0
	v_mul_u64_e32 v[10:11], s[6:7], v[0:1]
	s_lshl_b32 s6, s30, 5
	v_mad_nc_u64_u32 v[12:13], s24, v15, v[8:9]
	s_mov_b32 s7, s3
	s_load_b96 s[28:30], s[0:1], 0x10
	v_add_nc_u64_e32 v[4:5], s[6:7], v[2:3]
	v_dual_lshlrev_b32 v9, 2, v15 :: v_dual_mov_b32 v7, v3
	v_lshlrev_b32_e32 v26, 2, v6
	v_lshl_or_b32 v24, v16, 7, v14
	v_lshl_add_u32 v27, v2, 5, 0x400
	v_lshlrev_b32_e32 v2, 1, v16
	v_mul_u64_e32 v[0:1], s[20:21], v[4:5]
	v_mul_u64_e32 v[4:5], s[14:15], v[4:5]
	v_mad_u32 v13, s25, v15, v13
	v_lshl_or_b32 v15, v8, 5, v9
	s_cmp_eq_f32 s33, 0
	s_delay_alu instid0(VALU_DEP_1)
	v_add_nc_u32_e32 v25, 0x400, v15
	s_wait_xcnt 0x0
	s_cselect_b32 s1, -1, 0
	s_lshl_b64 s[16:17], s[16:17], 2
	s_wait_kmcnt 0x0
	v_cmp_gt_i64_e64 s0, s[28:29], 0
	s_delay_alu instid0(VALU_DEP_4)
	v_add_nc_u64_e32 v[8:9], s[6:7], v[12:13]
	v_add_nc_u64_e32 v[12:13], s[34:35], v[6:7]
	s_lshl_b64 s[6:7], s[8:9], 1
	s_lshl_b64 s[8:9], s[14:15], 4
	s_lshl_b64 s[14:15], s[24:25], 4
	v_cndmask_b32_e64 v16, 0, 1, s0
	s_delay_alu instid0(VALU_DEP_3)
	v_lshlrev_b64_e32 v[14:15], 1, v[8:9]
	v_lshl_add_u64 v[6:7], v[10:11], 1, s[6:7]
	v_lshlrev_b64_e32 v[8:9], 2, v[12:13]
	s_lshl_b64 s[6:7], s[20:21], 4
	v_cmp_ne_u32_e64 s0, 1, v16
	s_lshl_b64 s[20:21], s[22:23], 2
	v_add_nc_u64_e32 v[6:7], v[6:7], v[2:3]
	v_lshl_add_u64 v[10:11], s[26:27], 1, v[14:15]
	s_branch .LBB125_3
.LBB125_2:                              ;   in Loop: Header=BB125_3 Depth=1
	s_add_co_i32 s2, s2, 0x10000
	s_delay_alu instid0(SALU_CYCLE_1)
	s_cmp_lt_i32 s2, s31
	s_cbranch_scc0 .LBB125_10
.LBB125_3:                              ; =>This Loop Header: Depth=1
                                        ;     Child Loop BB125_5 Depth 2
	s_wait_xcnt 0x0
	v_dual_mov_b32 v2, s2 :: v_dual_mov_b32 v19, 0
	v_dual_mov_b32 v18, 0 :: v_dual_mov_b32 v15, 0
	v_mov_b32_e32 v14, 0
	s_clause 0x1
	global_load_b64 v[12:13], v2, s[12:13] scale_offset
	global_load_b64 v[16:17], v2, s[18:19] scale_offset
	s_and_b32 vcc_lo, exec_lo, s0
	s_cbranch_vccnz .LBB125_6
; %bb.4:                                ;   in Loop: Header=BB125_3 Depth=1
	s_lshl_b64 s[22:23], s[2:3], 3
	v_mov_b32_e32 v14, 0
	s_add_nc_u64 s[24:25], s[10:11], s[22:23]
	s_add_nc_u64 s[22:23], s[4:5], s[22:23]
	s_clause 0x1
	global_load_b64 v[18:19], v3, s[24:25]
	global_load_b64 v[22:23], v3, s[22:23]
	s_wait_xcnt 0x0
	s_mov_b64 s[22:23], 0
	v_mov_b32_e32 v15, v14
	s_wait_loadcnt 0x1
	v_add_nc_u64_e32 v[20:21], v[18:19], v[10:11]
	s_wait_loadcnt 0x0
	v_add_nc_u64_e32 v[22:23], v[22:23], v[6:7]
	v_dual_mov_b32 v18, v14 :: v_dual_mov_b32 v19, v14
.LBB125_5:                              ;   Parent Loop BB125_3 Depth=1
                                        ; =>  This Inner Loop Header: Depth=2
	flat_load_u16 v2, v[22:23]
	flat_load_u16 v28, v[20:21]
	s_add_nc_u64 s[22:23], s[22:23], 8
	s_wait_xcnt 0x0
	v_add_nc_u64_e32 v[20:21], s[14:15], v[20:21]
	v_cmp_lt_i64_e64 s24, s[22:23], s[28:29]
	v_add_nc_u64_e32 v[22:23], 16, v[22:23]
	s_and_b32 vcc_lo, exec_lo, s24
	s_wait_loadcnt_dscnt 0x101
	v_cvt_f32_f16_e32 v2, v2
	s_wait_loadcnt_dscnt 0x0
	v_cvt_f32_f16_e32 v28, v28
	ds_store_b32 v24, v2
	ds_store_b32 v25, v28
	s_wait_dscnt 0x0
	s_barrier_signal -1
	s_barrier_wait -1
	ds_load_2addr_b32 v[44:45], v26 offset1:16
	ds_load_2addr_b32 v[46:47], v26 offset0:32 offset1:48
	ds_load_b128 v[28:31], v27
	ds_load_2addr_b32 v[48:49], v26 offset0:64 offset1:80
	ds_load_b128 v[32:35], v27 offset:512
	ds_load_2addr_b32 v[50:51], v26 offset0:96 offset1:112
	ds_load_b128 v[36:39], v27 offset:16
	;; [unrolled: 2-line block ×3, first 2 shown]
	ds_load_2addr_b32 v[54:55], v26 offset0:160 offset1:176
	ds_load_2addr_b32 v[56:57], v26 offset0:192 offset1:208
	;; [unrolled: 1-line block ×3, first 2 shown]
	s_wait_dscnt 0x0
	s_barrier_signal -1
	s_barrier_wait -1
	v_dual_mov_b32 v60, v45 :: v_dual_mov_b32 v61, v44
	v_dual_mov_b32 v44, v47 :: v_dual_mov_b32 v45, v46
	;; [unrolled: 1-line block ×3, first 2 shown]
	s_delay_alu instid0(VALU_DEP_3) | instskip(SKIP_3) | instid1(VALU_DEP_4)
	v_pk_fma_f32 v[18:19], v[60:61], v[28:29], v[18:19] op_sel_hi:[1,0,1]
	v_pk_fma_f32 v[14:15], v[60:61], v[32:33], v[14:15] op_sel_hi:[1,0,1]
	v_dual_mov_b32 v48, v51 :: v_dual_mov_b32 v49, v50
	v_mov_b32_e32 v2, v31
	v_pk_fma_f32 v[18:19], v[44:45], v[28:29], v[18:19] op_sel:[0,1,0]
	s_delay_alu instid0(VALU_DEP_4) | instskip(SKIP_2) | instid1(VALU_DEP_4)
	v_pk_fma_f32 v[14:15], v[44:45], v[32:33], v[14:15] op_sel:[0,1,0]
	v_dual_mov_b32 v28, v35 :: v_dual_mov_b32 v32, v59
	v_mov_b32_e32 v33, v58
	v_pk_fma_f32 v[18:19], v[46:47], v[30:31], v[18:19] op_sel_hi:[1,0,1]
	s_delay_alu instid0(VALU_DEP_4) | instskip(SKIP_1) | instid1(VALU_DEP_3)
	v_pk_fma_f32 v[14:15], v[46:47], v[34:35], v[14:15] op_sel_hi:[1,0,1]
	v_dual_mov_b32 v30, v53 :: v_dual_mov_b32 v31, v52
	v_pk_fma_f32 v[18:19], v[48:49], v[2:3], v[18:19] op_sel_hi:[1,0,1]
	s_delay_alu instid0(VALU_DEP_3) | instskip(SKIP_2) | instid1(VALU_DEP_4)
	v_pk_fma_f32 v[14:15], v[48:49], v[28:29], v[14:15] op_sel_hi:[1,0,1]
	v_dual_mov_b32 v28, v55 :: v_dual_mov_b32 v29, v54
	v_mov_b32_e32 v2, v39
	v_pk_fma_f32 v[18:19], v[30:31], v[36:37], v[18:19] op_sel_hi:[1,0,1]
	s_delay_alu instid0(VALU_DEP_4) | instskip(SKIP_1) | instid1(VALU_DEP_3)
	v_pk_fma_f32 v[14:15], v[30:31], v[40:41], v[14:15] op_sel_hi:[1,0,1]
	v_dual_mov_b32 v30, v57 :: v_dual_mov_b32 v31, v56
	v_pk_fma_f32 v[18:19], v[28:29], v[36:37], v[18:19] op_sel:[0,1,0]
	s_delay_alu instid0(VALU_DEP_3) | instskip(SKIP_1) | instid1(VALU_DEP_3)
	v_pk_fma_f32 v[14:15], v[28:29], v[40:41], v[14:15] op_sel:[0,1,0]
	v_mov_b32_e32 v28, v43
	v_pk_fma_f32 v[18:19], v[30:31], v[38:39], v[18:19] op_sel_hi:[1,0,1]
	s_delay_alu instid0(VALU_DEP_3) | instskip(NEXT) | instid1(VALU_DEP_2)
	v_pk_fma_f32 v[14:15], v[30:31], v[42:43], v[14:15] op_sel_hi:[1,0,1]
	v_pk_fma_f32 v[18:19], v[32:33], v[2:3], v[18:19] op_sel_hi:[1,0,1]
	s_delay_alu instid0(VALU_DEP_2)
	v_pk_fma_f32 v[14:15], v[32:33], v[28:29], v[14:15] op_sel_hi:[1,0,1]
	s_cbranch_vccnz .LBB125_5
.LBB125_6:                              ;   in Loop: Header=BB125_3 Depth=1
	s_wait_loadcnt 0x0
	v_add_nc_u64_e32 v[16:17], s[20:21], v[16:17]
	s_and_not1_b32 vcc_lo, exec_lo, s1
	s_delay_alu instid0(VALU_DEP_1) | instskip(NEXT) | instid1(VALU_DEP_1)
	v_lshl_add_u64 v[16:17], v[0:1], 2, v[16:17]
	v_add_nc_u64_e32 v[20:21], v[16:17], v[8:9]
	v_lshl_add_u64 v[16:17], s[6:7], 2, v[16:17]
	s_cbranch_vccnz .LBB125_8
; %bb.7:                                ;   in Loop: Header=BB125_3 Depth=1
	s_delay_alu instid0(VALU_DEP_1)
	v_add_nc_u64_e32 v[22:23], v[16:17], v[8:9]
	s_wait_xcnt 0x0
	v_dual_mul_f32 v2, s30, v19 :: v_dual_mul_f32 v28, s30, v18
	v_dual_mul_f32 v29, s30, v15 :: v_dual_mul_f32 v30, s30, v14
	s_clause 0x3
	flat_store_b32 v[20:21], v2
	flat_store_b32 v[20:21], v28 offset:64
	flat_store_b32 v[22:23], v29
	flat_store_b32 v[22:23], v30 offset:64
	s_cbranch_execnz .LBB125_2
	s_branch .LBB125_9
.LBB125_8:                              ;   in Loop: Header=BB125_3 Depth=1
.LBB125_9:                              ;   in Loop: Header=BB125_3 Depth=1
	v_add_nc_u64_e32 v[12:13], s[16:17], v[12:13]
	s_delay_alu instid0(VALU_DEP_2) | instskip(NEXT) | instid1(VALU_DEP_2)
	v_add_nc_u64_e32 v[16:17], v[16:17], v[8:9]
	v_lshl_add_u64 v[12:13], v[4:5], 2, v[12:13]
	s_wait_xcnt 0x0
	s_delay_alu instid0(VALU_DEP_1) | instskip(SKIP_1) | instid1(VALU_DEP_1)
	v_add_nc_u64_e32 v[22:23], v[12:13], v[8:9]
	v_lshl_add_u64 v[12:13], s[8:9], 2, v[12:13]
	v_add_nc_u64_e32 v[12:13], v[12:13], v[8:9]
	flat_load_b32 v2, v[22:23]
	s_wait_loadcnt_dscnt 0x0
	v_mul_f32_e32 v2, s33, v2
	s_delay_alu instid0(VALU_DEP_1) | instskip(SKIP_4) | instid1(VALU_DEP_1)
	v_fmac_f32_e32 v2, s30, v19
	flat_store_b32 v[20:21], v2
	flat_load_b32 v2, v[22:23] offset:64
	s_wait_loadcnt_dscnt 0x0
	v_mul_f32_e32 v2, s33, v2
	v_fmac_f32_e32 v2, s30, v18
	flat_store_b32 v[20:21], v2 offset:64
	flat_load_b32 v2, v[12:13]
	s_wait_loadcnt_dscnt 0x0
	v_mul_f32_e32 v2, s33, v2
	s_delay_alu instid0(VALU_DEP_1) | instskip(SKIP_4) | instid1(VALU_DEP_1)
	v_fmac_f32_e32 v2, s30, v15
	flat_store_b32 v[16:17], v2
	flat_load_b32 v2, v[12:13] offset:64
	s_wait_loadcnt_dscnt 0x0
	v_mul_f32_e32 v2, s33, v2
	v_fmac_f32_e32 v2, s30, v14
	flat_store_b32 v[16:17], v2 offset:64
	s_branch .LBB125_2
.LBB125_10:
	s_endpgm
	.section	.rodata,"a",@progbits
	.p2align	6, 0x0
	.amdhsa_kernel _ZN12_GLOBAL__N_127rocblas_gemm_batched_kernelIfLi16ELi16ELi32ELi32ELi8ELi32ELi8ELi8ELi32ELc67ELc67EKPKDF16_KPKfKPfEEvlllT_PT11_llSB_llS9_PT12_llPT13_lli
		.amdhsa_group_segment_fixed_size 2048
		.amdhsa_private_segment_fixed_size 0
		.amdhsa_kernarg_size 140
		.amdhsa_user_sgpr_count 2
		.amdhsa_user_sgpr_dispatch_ptr 0
		.amdhsa_user_sgpr_queue_ptr 0
		.amdhsa_user_sgpr_kernarg_segment_ptr 1
		.amdhsa_user_sgpr_dispatch_id 0
		.amdhsa_user_sgpr_kernarg_preload_length 0
		.amdhsa_user_sgpr_kernarg_preload_offset 0
		.amdhsa_user_sgpr_private_segment_size 0
		.amdhsa_wavefront_size32 1
		.amdhsa_uses_dynamic_stack 0
		.amdhsa_enable_private_segment 0
		.amdhsa_system_sgpr_workgroup_id_x 1
		.amdhsa_system_sgpr_workgroup_id_y 1
		.amdhsa_system_sgpr_workgroup_id_z 1
		.amdhsa_system_sgpr_workgroup_info 0
		.amdhsa_system_vgpr_workitem_id 1
		.amdhsa_next_free_vgpr 62
		.amdhsa_next_free_sgpr 36
		.amdhsa_named_barrier_count 0
		.amdhsa_reserve_vcc 1
		.amdhsa_float_round_mode_32 0
		.amdhsa_float_round_mode_16_64 0
		.amdhsa_float_denorm_mode_32 3
		.amdhsa_float_denorm_mode_16_64 3
		.amdhsa_fp16_overflow 0
		.amdhsa_memory_ordered 1
		.amdhsa_forward_progress 1
		.amdhsa_inst_pref_size 12
		.amdhsa_round_robin_scheduling 0
		.amdhsa_exception_fp_ieee_invalid_op 0
		.amdhsa_exception_fp_denorm_src 0
		.amdhsa_exception_fp_ieee_div_zero 0
		.amdhsa_exception_fp_ieee_overflow 0
		.amdhsa_exception_fp_ieee_underflow 0
		.amdhsa_exception_fp_ieee_inexact 0
		.amdhsa_exception_int_div_zero 0
	.end_amdhsa_kernel
	.section	.text._ZN12_GLOBAL__N_127rocblas_gemm_batched_kernelIfLi16ELi16ELi32ELi32ELi8ELi32ELi8ELi8ELi32ELc67ELc67EKPKDF16_KPKfKPfEEvlllT_PT11_llSB_llS9_PT12_llPT13_lli,"axG",@progbits,_ZN12_GLOBAL__N_127rocblas_gemm_batched_kernelIfLi16ELi16ELi32ELi32ELi8ELi32ELi8ELi8ELi32ELc67ELc67EKPKDF16_KPKfKPfEEvlllT_PT11_llSB_llS9_PT12_llPT13_lli,comdat
.Lfunc_end125:
	.size	_ZN12_GLOBAL__N_127rocblas_gemm_batched_kernelIfLi16ELi16ELi32ELi32ELi8ELi32ELi8ELi8ELi32ELc67ELc67EKPKDF16_KPKfKPfEEvlllT_PT11_llSB_llS9_PT12_llPT13_lli, .Lfunc_end125-_ZN12_GLOBAL__N_127rocblas_gemm_batched_kernelIfLi16ELi16ELi32ELi32ELi8ELi32ELi8ELi8ELi32ELc67ELc67EKPKDF16_KPKfKPfEEvlllT_PT11_llSB_llS9_PT12_llPT13_lli
                                        ; -- End function
	.set _ZN12_GLOBAL__N_127rocblas_gemm_batched_kernelIfLi16ELi16ELi32ELi32ELi8ELi32ELi8ELi8ELi32ELc67ELc67EKPKDF16_KPKfKPfEEvlllT_PT11_llSB_llS9_PT12_llPT13_lli.num_vgpr, 62
	.set _ZN12_GLOBAL__N_127rocblas_gemm_batched_kernelIfLi16ELi16ELi32ELi32ELi8ELi32ELi8ELi8ELi32ELc67ELc67EKPKDF16_KPKfKPfEEvlllT_PT11_llSB_llS9_PT12_llPT13_lli.num_agpr, 0
	.set _ZN12_GLOBAL__N_127rocblas_gemm_batched_kernelIfLi16ELi16ELi32ELi32ELi8ELi32ELi8ELi8ELi32ELc67ELc67EKPKDF16_KPKfKPfEEvlllT_PT11_llSB_llS9_PT12_llPT13_lli.numbered_sgpr, 36
	.set _ZN12_GLOBAL__N_127rocblas_gemm_batched_kernelIfLi16ELi16ELi32ELi32ELi8ELi32ELi8ELi8ELi32ELc67ELc67EKPKDF16_KPKfKPfEEvlllT_PT11_llSB_llS9_PT12_llPT13_lli.num_named_barrier, 0
	.set _ZN12_GLOBAL__N_127rocblas_gemm_batched_kernelIfLi16ELi16ELi32ELi32ELi8ELi32ELi8ELi8ELi32ELc67ELc67EKPKDF16_KPKfKPfEEvlllT_PT11_llSB_llS9_PT12_llPT13_lli.private_seg_size, 0
	.set _ZN12_GLOBAL__N_127rocblas_gemm_batched_kernelIfLi16ELi16ELi32ELi32ELi8ELi32ELi8ELi8ELi32ELc67ELc67EKPKDF16_KPKfKPfEEvlllT_PT11_llSB_llS9_PT12_llPT13_lli.uses_vcc, 1
	.set _ZN12_GLOBAL__N_127rocblas_gemm_batched_kernelIfLi16ELi16ELi32ELi32ELi8ELi32ELi8ELi8ELi32ELc67ELc67EKPKDF16_KPKfKPfEEvlllT_PT11_llSB_llS9_PT12_llPT13_lli.uses_flat_scratch, 1
	.set _ZN12_GLOBAL__N_127rocblas_gemm_batched_kernelIfLi16ELi16ELi32ELi32ELi8ELi32ELi8ELi8ELi32ELc67ELc67EKPKDF16_KPKfKPfEEvlllT_PT11_llSB_llS9_PT12_llPT13_lli.has_dyn_sized_stack, 0
	.set _ZN12_GLOBAL__N_127rocblas_gemm_batched_kernelIfLi16ELi16ELi32ELi32ELi8ELi32ELi8ELi8ELi32ELc67ELc67EKPKDF16_KPKfKPfEEvlllT_PT11_llSB_llS9_PT12_llPT13_lli.has_recursion, 0
	.set _ZN12_GLOBAL__N_127rocblas_gemm_batched_kernelIfLi16ELi16ELi32ELi32ELi8ELi32ELi8ELi8ELi32ELc67ELc67EKPKDF16_KPKfKPfEEvlllT_PT11_llSB_llS9_PT12_llPT13_lli.has_indirect_call, 0
	.section	.AMDGPU.csdata,"",@progbits
; Kernel info:
; codeLenInByte = 1444
; TotalNumSgprs: 38
; NumVgprs: 62
; ScratchSize: 0
; MemoryBound: 0
; FloatMode: 240
; IeeeMode: 1
; LDSByteSize: 2048 bytes/workgroup (compile time only)
; SGPRBlocks: 0
; VGPRBlocks: 3
; NumSGPRsForWavesPerEU: 38
; NumVGPRsForWavesPerEU: 62
; NamedBarCnt: 0
; Occupancy: 16
; WaveLimiterHint : 1
; COMPUTE_PGM_RSRC2:SCRATCH_EN: 0
; COMPUTE_PGM_RSRC2:USER_SGPR: 2
; COMPUTE_PGM_RSRC2:TRAP_HANDLER: 0
; COMPUTE_PGM_RSRC2:TGID_X_EN: 1
; COMPUTE_PGM_RSRC2:TGID_Y_EN: 1
; COMPUTE_PGM_RSRC2:TGID_Z_EN: 1
; COMPUTE_PGM_RSRC2:TIDIG_COMP_CNT: 1
	.section	.text._ZN12_GLOBAL__N_127rocblas_gemm_batched_kernelIfLi16ELi16ELi32ELi32ELi8ELi32ELi8ELi8ELi32ELc67ELc78EKPKDF16_KPKfKPfEEvlllT_PT11_llSB_llS9_PT12_llPT13_lli,"axG",@progbits,_ZN12_GLOBAL__N_127rocblas_gemm_batched_kernelIfLi16ELi16ELi32ELi32ELi8ELi32ELi8ELi8ELi32ELc67ELc78EKPKDF16_KPKfKPfEEvlllT_PT11_llSB_llS9_PT12_llPT13_lli,comdat
	.globl	_ZN12_GLOBAL__N_127rocblas_gemm_batched_kernelIfLi16ELi16ELi32ELi32ELi8ELi32ELi8ELi8ELi32ELc67ELc78EKPKDF16_KPKfKPfEEvlllT_PT11_llSB_llS9_PT12_llPT13_lli ; -- Begin function _ZN12_GLOBAL__N_127rocblas_gemm_batched_kernelIfLi16ELi16ELi32ELi32ELi8ELi32ELi8ELi8ELi32ELc67ELc78EKPKDF16_KPKfKPfEEvlllT_PT11_llSB_llS9_PT12_llPT13_lli
	.p2align	8
	.type	_ZN12_GLOBAL__N_127rocblas_gemm_batched_kernelIfLi16ELi16ELi32ELi32ELi8ELi32ELi8ELi8ELi32ELc67ELc78EKPKDF16_KPKfKPfEEvlllT_PT11_llSB_llS9_PT12_llPT13_lli,@function
_ZN12_GLOBAL__N_127rocblas_gemm_batched_kernelIfLi16ELi16ELi32ELi32ELi8ELi32ELi8ELi8ELi32ELc67ELc78EKPKDF16_KPKfKPfEEvlllT_PT11_llSB_llS9_PT12_llPT13_lli: ; @_ZN12_GLOBAL__N_127rocblas_gemm_batched_kernelIfLi16ELi16ELi32ELi32ELi8ELi32ELi8ELi8ELi32ELc67ELc78EKPKDF16_KPKfKPfEEvlllT_PT11_llSB_llS9_PT12_llPT13_lli
; %bb.0:
	s_load_b32 s31, s[0:1], 0x88
	s_bfe_u32 s2, ttmp6, 0x40014
	s_lshr_b32 s3, ttmp7, 16
	s_add_co_i32 s2, s2, 1
	s_bfe_u32 s4, ttmp6, 0x40008
	s_mul_i32 s2, s3, s2
	s_getreg_b32 s12, hwreg(HW_REG_IB_STS2, 6, 4)
	s_add_co_i32 s4, s4, s2
	s_cmp_eq_u32 s12, 0
	s_cselect_b32 s2, s3, s4
	s_mov_b32 s3, 0
	s_wait_kmcnt 0x0
	s_cmp_ge_i32 s2, s31
	s_cbranch_scc1 .LBB126_10
; %bb.1:
	v_bfe_u32 v2, v0, 10, 10
	v_and_b32_e32 v6, 0x3ff, v0
	s_bfe_u32 s13, ttmp6, 0x4000c
	s_bfe_u32 s15, ttmp6, 0x40010
	s_clause 0x2
	s_load_b256 s[4:11], s[0:1], 0x20
	s_load_b128 s[20:23], s[0:1], 0x40
	s_load_b32 s33, s[0:1], 0x50
	s_add_co_i32 s13, s13, 1
	s_and_b32 s16, ttmp7, 0xffff
	s_add_co_i32 s15, s15, 1
	v_lshl_add_u32 v14, v2, 4, v6
	v_mov_b32_e32 v3, 0
	s_and_b32 s14, ttmp6, 15
	s_mul_i32 s13, ttmp9, s13
	s_mul_i32 s15, s16, s15
	s_bfe_u32 s17, ttmp6, 0x40004
	s_add_co_i32 s14, s14, s13
	s_add_co_i32 s17, s17, s15
	s_cmp_eq_u32 s12, 0
	v_dual_mov_b32 v9, v3 :: v_dual_lshrrev_b32 v8, 3, v14
	v_and_b32_e32 v15, 31, v14
	s_cselect_b32 s13, s16, s17
	s_cselect_b32 s12, ttmp9, s14
	s_lshl_b32 s28, s13, 5
	s_mov_b32 s29, s3
	s_ashr_i32 s13, s12, 31
	v_add_nc_u64_e32 v[4:5], s[28:29], v[8:9]
	s_load_b128 s[24:27], s[0:1], 0x78
	s_lshl_b64 s[34:35], s[12:13], 5
	s_load_b256 s[12:19], s[0:1], 0x58
	v_dual_mov_b32 v11, s35 :: v_dual_bitop2_b32 v10, s34, v15 bitop3:0x54
	v_dual_mov_b32 v7, v3 :: v_dual_bitop2_b32 v9, 7, v0 bitop3:0x40
	s_wait_kmcnt 0x0
	v_mul_u64_e32 v[12:13], s[20:21], v[4:5]
	v_add_nc_u64_e32 v[4:5], s[28:29], v[2:3]
	v_mul_u64_e32 v[10:11], s[6:7], v[10:11]
	s_load_b96 s[28:30], s[0:1], 0x10
	s_cmp_eq_f32 s33, 0
	v_dual_lshlrev_b32 v16, 2, v9 :: v_dual_lshlrev_b32 v24, 2, v6
	v_lshl_add_u32 v25, v2, 5, 0x400
	s_wait_xcnt 0x0
	s_cselect_b32 s1, -1, 0
	s_lshl_b64 s[6:7], s[22:23], 1
	v_dual_lshrrev_b32 v17, 5, v14 :: v_dual_lshlrev_b32 v2, 1, v9
	v_lshlrev_b32_e32 v18, 2, v15
	v_mul_u64_e32 v[0:1], s[24:25], v[4:5]
	v_add_nc_u64_e32 v[14:15], s[34:35], v[6:7]
	v_mul_u64_e32 v[4:5], s[14:15], v[4:5]
	v_lshl_or_b32 v16, v8, 5, v16
	s_lshl_b64 s[16:17], s[16:17], 2
	s_delay_alu instid0(VALU_DEP_1)
	v_add_nc_u32_e32 v27, 0x400, v16
	s_wait_kmcnt 0x0
	v_cmp_gt_i64_e64 s0, s[28:29], 0
	v_lshl_add_u64 v[12:13], v[12:13], 1, s[6:7]
	s_lshl_b64 s[6:7], s[8:9], 1
	s_lshl_b64 s[8:9], s[14:15], 4
	v_lshl_add_u64 v[8:9], v[10:11], 1, s[6:7]
	v_lshlrev_b64_e32 v[10:11], 2, v[14:15]
	v_add_nc_u64_e32 v[6:7], v[12:13], v[2:3]
	v_lshlrev_b32_e32 v2, 1, v17
	v_cndmask_b32_e64 v12, 0, 1, s0
	v_lshl_or_b32 v26, v17, 7, v18
	s_lshl_b64 s[6:7], s[24:25], 4
	s_lshl_b64 s[14:15], s[26:27], 2
	v_add_nc_u64_e32 v[8:9], v[8:9], v[2:3]
	v_cmp_ne_u32_e64 s0, 1, v12
	s_branch .LBB126_3
.LBB126_2:                              ;   in Loop: Header=BB126_3 Depth=1
	s_add_co_i32 s2, s2, 0x10000
	s_delay_alu instid0(SALU_CYCLE_1)
	s_cmp_lt_i32 s2, s31
	s_cbranch_scc0 .LBB126_10
.LBB126_3:                              ; =>This Loop Header: Depth=1
                                        ;     Child Loop BB126_5 Depth 2
	s_wait_xcnt 0x0
	v_dual_mov_b32 v2, s2 :: v_dual_mov_b32 v19, 0
	v_dual_mov_b32 v18, 0 :: v_dual_mov_b32 v15, 0
	v_mov_b32_e32 v14, 0
	s_clause 0x1
	global_load_b64 v[12:13], v2, s[12:13] scale_offset
	global_load_b64 v[16:17], v2, s[18:19] scale_offset
	s_and_b32 vcc_lo, exec_lo, s0
	s_cbranch_vccnz .LBB126_6
; %bb.4:                                ;   in Loop: Header=BB126_3 Depth=1
	s_lshl_b64 s[20:21], s[2:3], 3
	v_mov_b32_e32 v14, 0
	s_add_nc_u64 s[22:23], s[10:11], s[20:21]
	s_add_nc_u64 s[20:21], s[4:5], s[20:21]
	s_clause 0x1
	global_load_b64 v[18:19], v3, s[22:23]
	global_load_b64 v[22:23], v3, s[20:21]
	s_wait_xcnt 0x0
	s_mov_b64 s[20:21], 0
	v_mov_b32_e32 v15, v14
	s_wait_loadcnt 0x1
	v_add_nc_u64_e32 v[20:21], v[18:19], v[6:7]
	s_wait_loadcnt 0x0
	v_add_nc_u64_e32 v[22:23], v[22:23], v[8:9]
	v_dual_mov_b32 v18, v14 :: v_dual_mov_b32 v19, v14
.LBB126_5:                              ;   Parent Loop BB126_3 Depth=1
                                        ; =>  This Inner Loop Header: Depth=2
	flat_load_u16 v2, v[22:23]
	flat_load_u16 v28, v[20:21]
	s_add_nc_u64 s[20:21], s[20:21], 8
	s_wait_xcnt 0x0
	v_add_nc_u64_e32 v[20:21], 16, v[20:21]
	v_cmp_lt_i64_e64 s22, s[20:21], s[28:29]
	v_add_nc_u64_e32 v[22:23], 16, v[22:23]
	s_and_b32 vcc_lo, exec_lo, s22
	s_wait_loadcnt_dscnt 0x101
	v_cvt_f32_f16_e32 v2, v2
	s_wait_loadcnt_dscnt 0x0
	v_cvt_f32_f16_e32 v28, v28
	ds_store_b32 v26, v2
	ds_store_b32 v27, v28
	s_wait_dscnt 0x0
	s_barrier_signal -1
	s_barrier_wait -1
	ds_load_2addr_b32 v[44:45], v24 offset1:16
	ds_load_2addr_b32 v[46:47], v24 offset0:32 offset1:48
	ds_load_b128 v[28:31], v25
	ds_load_2addr_b32 v[48:49], v24 offset0:64 offset1:80
	ds_load_b128 v[32:35], v25 offset:512
	ds_load_2addr_b32 v[50:51], v24 offset0:96 offset1:112
	ds_load_b128 v[36:39], v25 offset:16
	;; [unrolled: 2-line block ×3, first 2 shown]
	ds_load_2addr_b32 v[54:55], v24 offset0:160 offset1:176
	ds_load_2addr_b32 v[56:57], v24 offset0:192 offset1:208
	;; [unrolled: 1-line block ×3, first 2 shown]
	s_wait_dscnt 0x0
	s_barrier_signal -1
	s_barrier_wait -1
	v_dual_mov_b32 v60, v45 :: v_dual_mov_b32 v61, v44
	v_dual_mov_b32 v44, v47 :: v_dual_mov_b32 v45, v46
	;; [unrolled: 1-line block ×3, first 2 shown]
	s_delay_alu instid0(VALU_DEP_3) | instskip(SKIP_3) | instid1(VALU_DEP_4)
	v_pk_fma_f32 v[18:19], v[60:61], v[28:29], v[18:19] op_sel_hi:[1,0,1]
	v_pk_fma_f32 v[14:15], v[60:61], v[32:33], v[14:15] op_sel_hi:[1,0,1]
	v_dual_mov_b32 v48, v51 :: v_dual_mov_b32 v49, v50
	v_mov_b32_e32 v2, v31
	v_pk_fma_f32 v[18:19], v[44:45], v[28:29], v[18:19] op_sel:[0,1,0]
	s_delay_alu instid0(VALU_DEP_4) | instskip(SKIP_2) | instid1(VALU_DEP_4)
	v_pk_fma_f32 v[14:15], v[44:45], v[32:33], v[14:15] op_sel:[0,1,0]
	v_dual_mov_b32 v28, v35 :: v_dual_mov_b32 v32, v59
	v_mov_b32_e32 v33, v58
	v_pk_fma_f32 v[18:19], v[46:47], v[30:31], v[18:19] op_sel_hi:[1,0,1]
	s_delay_alu instid0(VALU_DEP_4) | instskip(SKIP_1) | instid1(VALU_DEP_3)
	v_pk_fma_f32 v[14:15], v[46:47], v[34:35], v[14:15] op_sel_hi:[1,0,1]
	v_dual_mov_b32 v30, v53 :: v_dual_mov_b32 v31, v52
	v_pk_fma_f32 v[18:19], v[48:49], v[2:3], v[18:19] op_sel_hi:[1,0,1]
	s_delay_alu instid0(VALU_DEP_3) | instskip(SKIP_2) | instid1(VALU_DEP_4)
	v_pk_fma_f32 v[14:15], v[48:49], v[28:29], v[14:15] op_sel_hi:[1,0,1]
	v_dual_mov_b32 v28, v55 :: v_dual_mov_b32 v29, v54
	v_mov_b32_e32 v2, v39
	v_pk_fma_f32 v[18:19], v[30:31], v[36:37], v[18:19] op_sel_hi:[1,0,1]
	s_delay_alu instid0(VALU_DEP_4) | instskip(SKIP_1) | instid1(VALU_DEP_3)
	v_pk_fma_f32 v[14:15], v[30:31], v[40:41], v[14:15] op_sel_hi:[1,0,1]
	v_dual_mov_b32 v30, v57 :: v_dual_mov_b32 v31, v56
	v_pk_fma_f32 v[18:19], v[28:29], v[36:37], v[18:19] op_sel:[0,1,0]
	s_delay_alu instid0(VALU_DEP_3) | instskip(SKIP_1) | instid1(VALU_DEP_3)
	v_pk_fma_f32 v[14:15], v[28:29], v[40:41], v[14:15] op_sel:[0,1,0]
	v_mov_b32_e32 v28, v43
	v_pk_fma_f32 v[18:19], v[30:31], v[38:39], v[18:19] op_sel_hi:[1,0,1]
	s_delay_alu instid0(VALU_DEP_3) | instskip(NEXT) | instid1(VALU_DEP_2)
	v_pk_fma_f32 v[14:15], v[30:31], v[42:43], v[14:15] op_sel_hi:[1,0,1]
	v_pk_fma_f32 v[18:19], v[32:33], v[2:3], v[18:19] op_sel_hi:[1,0,1]
	s_delay_alu instid0(VALU_DEP_2)
	v_pk_fma_f32 v[14:15], v[32:33], v[28:29], v[14:15] op_sel_hi:[1,0,1]
	s_cbranch_vccnz .LBB126_5
.LBB126_6:                              ;   in Loop: Header=BB126_3 Depth=1
	s_wait_loadcnt 0x0
	v_add_nc_u64_e32 v[16:17], s[14:15], v[16:17]
	s_and_not1_b32 vcc_lo, exec_lo, s1
	s_delay_alu instid0(VALU_DEP_1) | instskip(NEXT) | instid1(VALU_DEP_1)
	v_lshl_add_u64 v[16:17], v[0:1], 2, v[16:17]
	v_add_nc_u64_e32 v[20:21], v[16:17], v[10:11]
	v_lshl_add_u64 v[16:17], s[6:7], 2, v[16:17]
	s_cbranch_vccnz .LBB126_8
; %bb.7:                                ;   in Loop: Header=BB126_3 Depth=1
	s_delay_alu instid0(VALU_DEP_1)
	v_add_nc_u64_e32 v[22:23], v[16:17], v[10:11]
	s_wait_xcnt 0x0
	v_dual_mul_f32 v2, s30, v19 :: v_dual_mul_f32 v28, s30, v18
	v_dual_mul_f32 v29, s30, v15 :: v_dual_mul_f32 v30, s30, v14
	s_clause 0x3
	flat_store_b32 v[20:21], v2
	flat_store_b32 v[20:21], v28 offset:64
	flat_store_b32 v[22:23], v29
	flat_store_b32 v[22:23], v30 offset:64
	s_cbranch_execnz .LBB126_2
	s_branch .LBB126_9
.LBB126_8:                              ;   in Loop: Header=BB126_3 Depth=1
.LBB126_9:                              ;   in Loop: Header=BB126_3 Depth=1
	v_add_nc_u64_e32 v[12:13], s[16:17], v[12:13]
	s_delay_alu instid0(VALU_DEP_2) | instskip(NEXT) | instid1(VALU_DEP_2)
	v_add_nc_u64_e32 v[16:17], v[16:17], v[10:11]
	v_lshl_add_u64 v[12:13], v[4:5], 2, v[12:13]
	s_wait_xcnt 0x0
	s_delay_alu instid0(VALU_DEP_1) | instskip(SKIP_1) | instid1(VALU_DEP_1)
	v_add_nc_u64_e32 v[22:23], v[12:13], v[10:11]
	v_lshl_add_u64 v[12:13], s[8:9], 2, v[12:13]
	v_add_nc_u64_e32 v[12:13], v[12:13], v[10:11]
	flat_load_b32 v2, v[22:23]
	s_wait_loadcnt_dscnt 0x0
	v_mul_f32_e32 v2, s33, v2
	s_delay_alu instid0(VALU_DEP_1) | instskip(SKIP_4) | instid1(VALU_DEP_1)
	v_fmac_f32_e32 v2, s30, v19
	flat_store_b32 v[20:21], v2
	flat_load_b32 v2, v[22:23] offset:64
	s_wait_loadcnt_dscnt 0x0
	v_mul_f32_e32 v2, s33, v2
	v_fmac_f32_e32 v2, s30, v18
	flat_store_b32 v[20:21], v2 offset:64
	flat_load_b32 v2, v[12:13]
	s_wait_loadcnt_dscnt 0x0
	v_mul_f32_e32 v2, s33, v2
	s_delay_alu instid0(VALU_DEP_1) | instskip(SKIP_4) | instid1(VALU_DEP_1)
	v_fmac_f32_e32 v2, s30, v15
	flat_store_b32 v[16:17], v2
	flat_load_b32 v2, v[12:13] offset:64
	s_wait_loadcnt_dscnt 0x0
	v_mul_f32_e32 v2, s33, v2
	v_fmac_f32_e32 v2, s30, v14
	flat_store_b32 v[16:17], v2 offset:64
	s_branch .LBB126_2
.LBB126_10:
	s_endpgm
	.section	.rodata,"a",@progbits
	.p2align	6, 0x0
	.amdhsa_kernel _ZN12_GLOBAL__N_127rocblas_gemm_batched_kernelIfLi16ELi16ELi32ELi32ELi8ELi32ELi8ELi8ELi32ELc67ELc78EKPKDF16_KPKfKPfEEvlllT_PT11_llSB_llS9_PT12_llPT13_lli
		.amdhsa_group_segment_fixed_size 2048
		.amdhsa_private_segment_fixed_size 0
		.amdhsa_kernarg_size 140
		.amdhsa_user_sgpr_count 2
		.amdhsa_user_sgpr_dispatch_ptr 0
		.amdhsa_user_sgpr_queue_ptr 0
		.amdhsa_user_sgpr_kernarg_segment_ptr 1
		.amdhsa_user_sgpr_dispatch_id 0
		.amdhsa_user_sgpr_kernarg_preload_length 0
		.amdhsa_user_sgpr_kernarg_preload_offset 0
		.amdhsa_user_sgpr_private_segment_size 0
		.amdhsa_wavefront_size32 1
		.amdhsa_uses_dynamic_stack 0
		.amdhsa_enable_private_segment 0
		.amdhsa_system_sgpr_workgroup_id_x 1
		.amdhsa_system_sgpr_workgroup_id_y 1
		.amdhsa_system_sgpr_workgroup_id_z 1
		.amdhsa_system_sgpr_workgroup_info 0
		.amdhsa_system_vgpr_workitem_id 1
		.amdhsa_next_free_vgpr 62
		.amdhsa_next_free_sgpr 36
		.amdhsa_named_barrier_count 0
		.amdhsa_reserve_vcc 1
		.amdhsa_float_round_mode_32 0
		.amdhsa_float_round_mode_16_64 0
		.amdhsa_float_denorm_mode_32 3
		.amdhsa_float_denorm_mode_16_64 3
		.amdhsa_fp16_overflow 0
		.amdhsa_memory_ordered 1
		.amdhsa_forward_progress 1
		.amdhsa_inst_pref_size 12
		.amdhsa_round_robin_scheduling 0
		.amdhsa_exception_fp_ieee_invalid_op 0
		.amdhsa_exception_fp_denorm_src 0
		.amdhsa_exception_fp_ieee_div_zero 0
		.amdhsa_exception_fp_ieee_overflow 0
		.amdhsa_exception_fp_ieee_underflow 0
		.amdhsa_exception_fp_ieee_inexact 0
		.amdhsa_exception_int_div_zero 0
	.end_amdhsa_kernel
	.section	.text._ZN12_GLOBAL__N_127rocblas_gemm_batched_kernelIfLi16ELi16ELi32ELi32ELi8ELi32ELi8ELi8ELi32ELc67ELc78EKPKDF16_KPKfKPfEEvlllT_PT11_llSB_llS9_PT12_llPT13_lli,"axG",@progbits,_ZN12_GLOBAL__N_127rocblas_gemm_batched_kernelIfLi16ELi16ELi32ELi32ELi8ELi32ELi8ELi8ELi32ELc67ELc78EKPKDF16_KPKfKPfEEvlllT_PT11_llSB_llS9_PT12_llPT13_lli,comdat
.Lfunc_end126:
	.size	_ZN12_GLOBAL__N_127rocblas_gemm_batched_kernelIfLi16ELi16ELi32ELi32ELi8ELi32ELi8ELi8ELi32ELc67ELc78EKPKDF16_KPKfKPfEEvlllT_PT11_llSB_llS9_PT12_llPT13_lli, .Lfunc_end126-_ZN12_GLOBAL__N_127rocblas_gemm_batched_kernelIfLi16ELi16ELi32ELi32ELi8ELi32ELi8ELi8ELi32ELc67ELc78EKPKDF16_KPKfKPfEEvlllT_PT11_llSB_llS9_PT12_llPT13_lli
                                        ; -- End function
	.set _ZN12_GLOBAL__N_127rocblas_gemm_batched_kernelIfLi16ELi16ELi32ELi32ELi8ELi32ELi8ELi8ELi32ELc67ELc78EKPKDF16_KPKfKPfEEvlllT_PT11_llSB_llS9_PT12_llPT13_lli.num_vgpr, 62
	.set _ZN12_GLOBAL__N_127rocblas_gemm_batched_kernelIfLi16ELi16ELi32ELi32ELi8ELi32ELi8ELi8ELi32ELc67ELc78EKPKDF16_KPKfKPfEEvlllT_PT11_llSB_llS9_PT12_llPT13_lli.num_agpr, 0
	.set _ZN12_GLOBAL__N_127rocblas_gemm_batched_kernelIfLi16ELi16ELi32ELi32ELi8ELi32ELi8ELi8ELi32ELc67ELc78EKPKDF16_KPKfKPfEEvlllT_PT11_llSB_llS9_PT12_llPT13_lli.numbered_sgpr, 36
	.set _ZN12_GLOBAL__N_127rocblas_gemm_batched_kernelIfLi16ELi16ELi32ELi32ELi8ELi32ELi8ELi8ELi32ELc67ELc78EKPKDF16_KPKfKPfEEvlllT_PT11_llSB_llS9_PT12_llPT13_lli.num_named_barrier, 0
	.set _ZN12_GLOBAL__N_127rocblas_gemm_batched_kernelIfLi16ELi16ELi32ELi32ELi8ELi32ELi8ELi8ELi32ELc67ELc78EKPKDF16_KPKfKPfEEvlllT_PT11_llSB_llS9_PT12_llPT13_lli.private_seg_size, 0
	.set _ZN12_GLOBAL__N_127rocblas_gemm_batched_kernelIfLi16ELi16ELi32ELi32ELi8ELi32ELi8ELi8ELi32ELc67ELc78EKPKDF16_KPKfKPfEEvlllT_PT11_llSB_llS9_PT12_llPT13_lli.uses_vcc, 1
	.set _ZN12_GLOBAL__N_127rocblas_gemm_batched_kernelIfLi16ELi16ELi32ELi32ELi8ELi32ELi8ELi8ELi32ELc67ELc78EKPKDF16_KPKfKPfEEvlllT_PT11_llSB_llS9_PT12_llPT13_lli.uses_flat_scratch, 1
	.set _ZN12_GLOBAL__N_127rocblas_gemm_batched_kernelIfLi16ELi16ELi32ELi32ELi8ELi32ELi8ELi8ELi32ELc67ELc78EKPKDF16_KPKfKPfEEvlllT_PT11_llSB_llS9_PT12_llPT13_lli.has_dyn_sized_stack, 0
	.set _ZN12_GLOBAL__N_127rocblas_gemm_batched_kernelIfLi16ELi16ELi32ELi32ELi8ELi32ELi8ELi8ELi32ELc67ELc78EKPKDF16_KPKfKPfEEvlllT_PT11_llSB_llS9_PT12_llPT13_lli.has_recursion, 0
	.set _ZN12_GLOBAL__N_127rocblas_gemm_batched_kernelIfLi16ELi16ELi32ELi32ELi8ELi32ELi8ELi8ELi32ELc67ELc78EKPKDF16_KPKfKPfEEvlllT_PT11_llSB_llS9_PT12_llPT13_lli.has_indirect_call, 0
	.section	.AMDGPU.csdata,"",@progbits
; Kernel info:
; codeLenInByte = 1420
; TotalNumSgprs: 38
; NumVgprs: 62
; ScratchSize: 0
; MemoryBound: 0
; FloatMode: 240
; IeeeMode: 1
; LDSByteSize: 2048 bytes/workgroup (compile time only)
; SGPRBlocks: 0
; VGPRBlocks: 3
; NumSGPRsForWavesPerEU: 38
; NumVGPRsForWavesPerEU: 62
; NamedBarCnt: 0
; Occupancy: 16
; WaveLimiterHint : 1
; COMPUTE_PGM_RSRC2:SCRATCH_EN: 0
; COMPUTE_PGM_RSRC2:USER_SGPR: 2
; COMPUTE_PGM_RSRC2:TRAP_HANDLER: 0
; COMPUTE_PGM_RSRC2:TGID_X_EN: 1
; COMPUTE_PGM_RSRC2:TGID_Y_EN: 1
; COMPUTE_PGM_RSRC2:TGID_Z_EN: 1
; COMPUTE_PGM_RSRC2:TIDIG_COMP_CNT: 1
	.section	.text._ZN12_GLOBAL__N_127rocblas_gemm_batched_kernelIfLi16ELi16ELi32ELi32ELi8ELi32ELi8ELi8ELi32ELc67ELc84EKPKDF16_KPKfKPfEEvlllT_PT11_llSB_llS9_PT12_llPT13_lli,"axG",@progbits,_ZN12_GLOBAL__N_127rocblas_gemm_batched_kernelIfLi16ELi16ELi32ELi32ELi8ELi32ELi8ELi8ELi32ELc67ELc84EKPKDF16_KPKfKPfEEvlllT_PT11_llSB_llS9_PT12_llPT13_lli,comdat
	.globl	_ZN12_GLOBAL__N_127rocblas_gemm_batched_kernelIfLi16ELi16ELi32ELi32ELi8ELi32ELi8ELi8ELi32ELc67ELc84EKPKDF16_KPKfKPfEEvlllT_PT11_llSB_llS9_PT12_llPT13_lli ; -- Begin function _ZN12_GLOBAL__N_127rocblas_gemm_batched_kernelIfLi16ELi16ELi32ELi32ELi8ELi32ELi8ELi8ELi32ELc67ELc84EKPKDF16_KPKfKPfEEvlllT_PT11_llSB_llS9_PT12_llPT13_lli
	.p2align	8
	.type	_ZN12_GLOBAL__N_127rocblas_gemm_batched_kernelIfLi16ELi16ELi32ELi32ELi8ELi32ELi8ELi8ELi32ELc67ELc84EKPKDF16_KPKfKPfEEvlllT_PT11_llSB_llS9_PT12_llPT13_lli,@function
_ZN12_GLOBAL__N_127rocblas_gemm_batched_kernelIfLi16ELi16ELi32ELi32ELi8ELi32ELi8ELi8ELi32ELc67ELc84EKPKDF16_KPKfKPfEEvlllT_PT11_llSB_llS9_PT12_llPT13_lli: ; @_ZN12_GLOBAL__N_127rocblas_gemm_batched_kernelIfLi16ELi16ELi32ELi32ELi8ELi32ELi8ELi8ELi32ELc67ELc84EKPKDF16_KPKfKPfEEvlllT_PT11_llSB_llS9_PT12_llPT13_lli
; %bb.0:
	s_load_b32 s31, s[0:1], 0x88
	s_bfe_u32 s2, ttmp6, 0x40014
	s_lshr_b32 s3, ttmp7, 16
	s_add_co_i32 s2, s2, 1
	s_bfe_u32 s4, ttmp6, 0x40008
	s_mul_i32 s2, s3, s2
	s_getreg_b32 s28, hwreg(HW_REG_IB_STS2, 6, 4)
	s_add_co_i32 s4, s4, s2
	s_cmp_eq_u32 s28, 0
	s_cselect_b32 s2, s3, s4
	s_mov_b32 s3, 0
	s_wait_kmcnt 0x0
	s_cmp_ge_i32 s2, s31
	s_cbranch_scc1 .LBB127_10
; %bb.1:
	v_bfe_u32 v2, v0, 10, 10
	v_and_b32_e32 v6, 0x3ff, v0
	s_bfe_u32 s29, ttmp6, 0x4000c
	s_bfe_u32 s33, ttmp6, 0x40010
	s_add_co_i32 s29, s29, 1
	s_and_b32 s34, ttmp7, 0xffff
	s_add_co_i32 s33, s33, 1
	s_clause 0x3
	s_load_b256 s[4:11], s[0:1], 0x20
	s_load_b128 s[24:27], s[0:1], 0x40
	s_load_b128 s[20:23], s[0:1], 0x78
	s_load_b256 s[12:19], s[0:1], 0x58
	s_and_b32 s30, ttmp6, 15
	s_mul_i32 s29, ttmp9, s29
	s_mul_i32 s33, s34, s33
	s_bfe_u32 s35, ttmp6, 0x40004
	v_lshl_add_u32 v7, v2, 4, v6
	s_add_co_i32 s30, s30, s29
	s_add_co_i32 s35, s35, s33
	s_cmp_eq_u32 s28, 0
	s_delay_alu instid0(VALU_DEP_1)
	v_dual_mov_b32 v3, 0 :: v_dual_bitop2_b32 v14, 31, v7 bitop3:0x40
	s_cselect_b32 s28, ttmp9, s30
	s_cselect_b32 s30, s34, s35
	s_ashr_i32 s29, s28, 31
	v_lshrrev_b32_e32 v8, 3, v7
	s_lshl_b64 s[34:35], s[28:29], 5
	s_delay_alu instid0(SALU_CYCLE_1)
	v_dual_mov_b32 v1, s35 :: v_dual_bitop2_b32 v15, 7, v0 bitop3:0x40
	v_dual_mov_b32 v9, v3 :: v_dual_bitop2_b32 v0, s34, v14 bitop3:0x54
	v_lshrrev_b32_e32 v16, 5, v7
	s_load_b32 s33, s[0:1], 0x50
	v_lshlrev_b32_e32 v14, 2, v14
	s_wait_kmcnt 0x0
	v_mul_u64_e32 v[10:11], s[6:7], v[0:1]
	s_lshl_b32 s6, s30, 5
	v_mad_nc_u64_u32 v[12:13], s24, v15, v[8:9]
	s_mov_b32 s7, s3
	s_load_b96 s[28:30], s[0:1], 0x10
	v_add_nc_u64_e32 v[4:5], s[6:7], v[2:3]
	v_dual_lshlrev_b32 v9, 2, v15 :: v_dual_mov_b32 v7, v3
	v_lshlrev_b32_e32 v26, 2, v6
	v_lshl_or_b32 v24, v16, 7, v14
	v_lshl_add_u32 v27, v2, 5, 0x400
	v_lshlrev_b32_e32 v2, 1, v16
	v_mul_u64_e32 v[0:1], s[20:21], v[4:5]
	v_mul_u64_e32 v[4:5], s[14:15], v[4:5]
	v_mad_u32 v13, s25, v15, v13
	v_lshl_or_b32 v15, v8, 5, v9
	s_cmp_eq_f32 s33, 0
	s_delay_alu instid0(VALU_DEP_1)
	v_add_nc_u32_e32 v25, 0x400, v15
	s_wait_xcnt 0x0
	s_cselect_b32 s1, -1, 0
	s_lshl_b64 s[16:17], s[16:17], 2
	s_wait_kmcnt 0x0
	v_cmp_gt_i64_e64 s0, s[28:29], 0
	s_delay_alu instid0(VALU_DEP_4)
	v_add_nc_u64_e32 v[8:9], s[6:7], v[12:13]
	v_add_nc_u64_e32 v[12:13], s[34:35], v[6:7]
	s_lshl_b64 s[6:7], s[8:9], 1
	s_lshl_b64 s[8:9], s[14:15], 4
	;; [unrolled: 1-line block ×3, first 2 shown]
	v_cndmask_b32_e64 v16, 0, 1, s0
	s_delay_alu instid0(VALU_DEP_3)
	v_lshlrev_b64_e32 v[14:15], 1, v[8:9]
	v_lshl_add_u64 v[6:7], v[10:11], 1, s[6:7]
	v_lshlrev_b64_e32 v[8:9], 2, v[12:13]
	s_lshl_b64 s[6:7], s[20:21], 4
	v_cmp_ne_u32_e64 s0, 1, v16
	s_lshl_b64 s[20:21], s[22:23], 2
	v_add_nc_u64_e32 v[6:7], v[6:7], v[2:3]
	v_lshl_add_u64 v[10:11], s[26:27], 1, v[14:15]
	s_branch .LBB127_3
.LBB127_2:                              ;   in Loop: Header=BB127_3 Depth=1
	s_add_co_i32 s2, s2, 0x10000
	s_delay_alu instid0(SALU_CYCLE_1)
	s_cmp_lt_i32 s2, s31
	s_cbranch_scc0 .LBB127_10
.LBB127_3:                              ; =>This Loop Header: Depth=1
                                        ;     Child Loop BB127_5 Depth 2
	s_wait_xcnt 0x0
	v_dual_mov_b32 v2, s2 :: v_dual_mov_b32 v19, 0
	v_dual_mov_b32 v18, 0 :: v_dual_mov_b32 v15, 0
	v_mov_b32_e32 v14, 0
	s_clause 0x1
	global_load_b64 v[12:13], v2, s[12:13] scale_offset
	global_load_b64 v[16:17], v2, s[18:19] scale_offset
	s_and_b32 vcc_lo, exec_lo, s0
	s_cbranch_vccnz .LBB127_6
; %bb.4:                                ;   in Loop: Header=BB127_3 Depth=1
	s_lshl_b64 s[22:23], s[2:3], 3
	v_mov_b32_e32 v14, 0
	s_add_nc_u64 s[24:25], s[10:11], s[22:23]
	s_add_nc_u64 s[22:23], s[4:5], s[22:23]
	s_clause 0x1
	global_load_b64 v[18:19], v3, s[24:25]
	global_load_b64 v[22:23], v3, s[22:23]
	s_wait_xcnt 0x0
	s_mov_b64 s[22:23], 0
	v_mov_b32_e32 v15, v14
	s_wait_loadcnt 0x1
	v_add_nc_u64_e32 v[20:21], v[18:19], v[10:11]
	s_wait_loadcnt 0x0
	v_add_nc_u64_e32 v[22:23], v[22:23], v[6:7]
	v_dual_mov_b32 v18, v14 :: v_dual_mov_b32 v19, v14
.LBB127_5:                              ;   Parent Loop BB127_3 Depth=1
                                        ; =>  This Inner Loop Header: Depth=2
	flat_load_u16 v2, v[22:23]
	flat_load_u16 v28, v[20:21]
	s_add_nc_u64 s[22:23], s[22:23], 8
	s_wait_xcnt 0x0
	v_add_nc_u64_e32 v[20:21], s[14:15], v[20:21]
	v_cmp_lt_i64_e64 s24, s[22:23], s[28:29]
	v_add_nc_u64_e32 v[22:23], 16, v[22:23]
	s_and_b32 vcc_lo, exec_lo, s24
	s_wait_loadcnt_dscnt 0x101
	v_cvt_f32_f16_e32 v2, v2
	s_wait_loadcnt_dscnt 0x0
	v_cvt_f32_f16_e32 v28, v28
	ds_store_b32 v24, v2
	ds_store_b32 v25, v28
	s_wait_dscnt 0x0
	s_barrier_signal -1
	s_barrier_wait -1
	ds_load_2addr_b32 v[44:45], v26 offset1:16
	ds_load_2addr_b32 v[46:47], v26 offset0:32 offset1:48
	ds_load_b128 v[28:31], v27
	ds_load_2addr_b32 v[48:49], v26 offset0:64 offset1:80
	ds_load_b128 v[32:35], v27 offset:512
	ds_load_2addr_b32 v[50:51], v26 offset0:96 offset1:112
	ds_load_b128 v[36:39], v27 offset:16
	;; [unrolled: 2-line block ×3, first 2 shown]
	ds_load_2addr_b32 v[54:55], v26 offset0:160 offset1:176
	ds_load_2addr_b32 v[56:57], v26 offset0:192 offset1:208
	;; [unrolled: 1-line block ×3, first 2 shown]
	s_wait_dscnt 0x0
	s_barrier_signal -1
	s_barrier_wait -1
	v_dual_mov_b32 v60, v45 :: v_dual_mov_b32 v61, v44
	v_dual_mov_b32 v44, v47 :: v_dual_mov_b32 v45, v46
	;; [unrolled: 1-line block ×3, first 2 shown]
	s_delay_alu instid0(VALU_DEP_3) | instskip(SKIP_3) | instid1(VALU_DEP_4)
	v_pk_fma_f32 v[18:19], v[60:61], v[28:29], v[18:19] op_sel_hi:[1,0,1]
	v_pk_fma_f32 v[14:15], v[60:61], v[32:33], v[14:15] op_sel_hi:[1,0,1]
	v_dual_mov_b32 v48, v51 :: v_dual_mov_b32 v49, v50
	v_mov_b32_e32 v2, v31
	v_pk_fma_f32 v[18:19], v[44:45], v[28:29], v[18:19] op_sel:[0,1,0]
	s_delay_alu instid0(VALU_DEP_4) | instskip(SKIP_2) | instid1(VALU_DEP_4)
	v_pk_fma_f32 v[14:15], v[44:45], v[32:33], v[14:15] op_sel:[0,1,0]
	v_dual_mov_b32 v28, v35 :: v_dual_mov_b32 v32, v59
	v_mov_b32_e32 v33, v58
	v_pk_fma_f32 v[18:19], v[46:47], v[30:31], v[18:19] op_sel_hi:[1,0,1]
	s_delay_alu instid0(VALU_DEP_4) | instskip(SKIP_1) | instid1(VALU_DEP_3)
	v_pk_fma_f32 v[14:15], v[46:47], v[34:35], v[14:15] op_sel_hi:[1,0,1]
	v_dual_mov_b32 v30, v53 :: v_dual_mov_b32 v31, v52
	v_pk_fma_f32 v[18:19], v[48:49], v[2:3], v[18:19] op_sel_hi:[1,0,1]
	s_delay_alu instid0(VALU_DEP_3) | instskip(SKIP_2) | instid1(VALU_DEP_4)
	v_pk_fma_f32 v[14:15], v[48:49], v[28:29], v[14:15] op_sel_hi:[1,0,1]
	v_dual_mov_b32 v28, v55 :: v_dual_mov_b32 v29, v54
	v_mov_b32_e32 v2, v39
	v_pk_fma_f32 v[18:19], v[30:31], v[36:37], v[18:19] op_sel_hi:[1,0,1]
	s_delay_alu instid0(VALU_DEP_4) | instskip(SKIP_1) | instid1(VALU_DEP_3)
	v_pk_fma_f32 v[14:15], v[30:31], v[40:41], v[14:15] op_sel_hi:[1,0,1]
	v_dual_mov_b32 v30, v57 :: v_dual_mov_b32 v31, v56
	v_pk_fma_f32 v[18:19], v[28:29], v[36:37], v[18:19] op_sel:[0,1,0]
	s_delay_alu instid0(VALU_DEP_3) | instskip(SKIP_1) | instid1(VALU_DEP_3)
	v_pk_fma_f32 v[14:15], v[28:29], v[40:41], v[14:15] op_sel:[0,1,0]
	v_mov_b32_e32 v28, v43
	v_pk_fma_f32 v[18:19], v[30:31], v[38:39], v[18:19] op_sel_hi:[1,0,1]
	s_delay_alu instid0(VALU_DEP_3) | instskip(NEXT) | instid1(VALU_DEP_2)
	v_pk_fma_f32 v[14:15], v[30:31], v[42:43], v[14:15] op_sel_hi:[1,0,1]
	v_pk_fma_f32 v[18:19], v[32:33], v[2:3], v[18:19] op_sel_hi:[1,0,1]
	s_delay_alu instid0(VALU_DEP_2)
	v_pk_fma_f32 v[14:15], v[32:33], v[28:29], v[14:15] op_sel_hi:[1,0,1]
	s_cbranch_vccnz .LBB127_5
.LBB127_6:                              ;   in Loop: Header=BB127_3 Depth=1
	s_wait_loadcnt 0x0
	v_add_nc_u64_e32 v[16:17], s[20:21], v[16:17]
	s_and_not1_b32 vcc_lo, exec_lo, s1
	s_delay_alu instid0(VALU_DEP_1) | instskip(NEXT) | instid1(VALU_DEP_1)
	v_lshl_add_u64 v[16:17], v[0:1], 2, v[16:17]
	v_add_nc_u64_e32 v[20:21], v[16:17], v[8:9]
	v_lshl_add_u64 v[16:17], s[6:7], 2, v[16:17]
	s_cbranch_vccnz .LBB127_8
; %bb.7:                                ;   in Loop: Header=BB127_3 Depth=1
	s_delay_alu instid0(VALU_DEP_1)
	v_add_nc_u64_e32 v[22:23], v[16:17], v[8:9]
	s_wait_xcnt 0x0
	v_dual_mul_f32 v2, s30, v19 :: v_dual_mul_f32 v28, s30, v18
	v_dual_mul_f32 v29, s30, v15 :: v_dual_mul_f32 v30, s30, v14
	s_clause 0x3
	flat_store_b32 v[20:21], v2
	flat_store_b32 v[20:21], v28 offset:64
	flat_store_b32 v[22:23], v29
	flat_store_b32 v[22:23], v30 offset:64
	s_cbranch_execnz .LBB127_2
	s_branch .LBB127_9
.LBB127_8:                              ;   in Loop: Header=BB127_3 Depth=1
.LBB127_9:                              ;   in Loop: Header=BB127_3 Depth=1
	v_add_nc_u64_e32 v[12:13], s[16:17], v[12:13]
	s_delay_alu instid0(VALU_DEP_2) | instskip(NEXT) | instid1(VALU_DEP_2)
	v_add_nc_u64_e32 v[16:17], v[16:17], v[8:9]
	v_lshl_add_u64 v[12:13], v[4:5], 2, v[12:13]
	s_wait_xcnt 0x0
	s_delay_alu instid0(VALU_DEP_1) | instskip(SKIP_1) | instid1(VALU_DEP_1)
	v_add_nc_u64_e32 v[22:23], v[12:13], v[8:9]
	v_lshl_add_u64 v[12:13], s[8:9], 2, v[12:13]
	v_add_nc_u64_e32 v[12:13], v[12:13], v[8:9]
	flat_load_b32 v2, v[22:23]
	s_wait_loadcnt_dscnt 0x0
	v_mul_f32_e32 v2, s33, v2
	s_delay_alu instid0(VALU_DEP_1) | instskip(SKIP_4) | instid1(VALU_DEP_1)
	v_fmac_f32_e32 v2, s30, v19
	flat_store_b32 v[20:21], v2
	flat_load_b32 v2, v[22:23] offset:64
	s_wait_loadcnt_dscnt 0x0
	v_mul_f32_e32 v2, s33, v2
	v_fmac_f32_e32 v2, s30, v18
	flat_store_b32 v[20:21], v2 offset:64
	flat_load_b32 v2, v[12:13]
	s_wait_loadcnt_dscnt 0x0
	v_mul_f32_e32 v2, s33, v2
	s_delay_alu instid0(VALU_DEP_1) | instskip(SKIP_4) | instid1(VALU_DEP_1)
	v_fmac_f32_e32 v2, s30, v15
	flat_store_b32 v[16:17], v2
	flat_load_b32 v2, v[12:13] offset:64
	s_wait_loadcnt_dscnt 0x0
	v_mul_f32_e32 v2, s33, v2
	v_fmac_f32_e32 v2, s30, v14
	flat_store_b32 v[16:17], v2 offset:64
	s_branch .LBB127_2
.LBB127_10:
	s_endpgm
	.section	.rodata,"a",@progbits
	.p2align	6, 0x0
	.amdhsa_kernel _ZN12_GLOBAL__N_127rocblas_gemm_batched_kernelIfLi16ELi16ELi32ELi32ELi8ELi32ELi8ELi8ELi32ELc67ELc84EKPKDF16_KPKfKPfEEvlllT_PT11_llSB_llS9_PT12_llPT13_lli
		.amdhsa_group_segment_fixed_size 2048
		.amdhsa_private_segment_fixed_size 0
		.amdhsa_kernarg_size 140
		.amdhsa_user_sgpr_count 2
		.amdhsa_user_sgpr_dispatch_ptr 0
		.amdhsa_user_sgpr_queue_ptr 0
		.amdhsa_user_sgpr_kernarg_segment_ptr 1
		.amdhsa_user_sgpr_dispatch_id 0
		.amdhsa_user_sgpr_kernarg_preload_length 0
		.amdhsa_user_sgpr_kernarg_preload_offset 0
		.amdhsa_user_sgpr_private_segment_size 0
		.amdhsa_wavefront_size32 1
		.amdhsa_uses_dynamic_stack 0
		.amdhsa_enable_private_segment 0
		.amdhsa_system_sgpr_workgroup_id_x 1
		.amdhsa_system_sgpr_workgroup_id_y 1
		.amdhsa_system_sgpr_workgroup_id_z 1
		.amdhsa_system_sgpr_workgroup_info 0
		.amdhsa_system_vgpr_workitem_id 1
		.amdhsa_next_free_vgpr 62
		.amdhsa_next_free_sgpr 36
		.amdhsa_named_barrier_count 0
		.amdhsa_reserve_vcc 1
		.amdhsa_float_round_mode_32 0
		.amdhsa_float_round_mode_16_64 0
		.amdhsa_float_denorm_mode_32 3
		.amdhsa_float_denorm_mode_16_64 3
		.amdhsa_fp16_overflow 0
		.amdhsa_memory_ordered 1
		.amdhsa_forward_progress 1
		.amdhsa_inst_pref_size 12
		.amdhsa_round_robin_scheduling 0
		.amdhsa_exception_fp_ieee_invalid_op 0
		.amdhsa_exception_fp_denorm_src 0
		.amdhsa_exception_fp_ieee_div_zero 0
		.amdhsa_exception_fp_ieee_overflow 0
		.amdhsa_exception_fp_ieee_underflow 0
		.amdhsa_exception_fp_ieee_inexact 0
		.amdhsa_exception_int_div_zero 0
	.end_amdhsa_kernel
	.section	.text._ZN12_GLOBAL__N_127rocblas_gemm_batched_kernelIfLi16ELi16ELi32ELi32ELi8ELi32ELi8ELi8ELi32ELc67ELc84EKPKDF16_KPKfKPfEEvlllT_PT11_llSB_llS9_PT12_llPT13_lli,"axG",@progbits,_ZN12_GLOBAL__N_127rocblas_gemm_batched_kernelIfLi16ELi16ELi32ELi32ELi8ELi32ELi8ELi8ELi32ELc67ELc84EKPKDF16_KPKfKPfEEvlllT_PT11_llSB_llS9_PT12_llPT13_lli,comdat
.Lfunc_end127:
	.size	_ZN12_GLOBAL__N_127rocblas_gemm_batched_kernelIfLi16ELi16ELi32ELi32ELi8ELi32ELi8ELi8ELi32ELc67ELc84EKPKDF16_KPKfKPfEEvlllT_PT11_llSB_llS9_PT12_llPT13_lli, .Lfunc_end127-_ZN12_GLOBAL__N_127rocblas_gemm_batched_kernelIfLi16ELi16ELi32ELi32ELi8ELi32ELi8ELi8ELi32ELc67ELc84EKPKDF16_KPKfKPfEEvlllT_PT11_llSB_llS9_PT12_llPT13_lli
                                        ; -- End function
	.set _ZN12_GLOBAL__N_127rocblas_gemm_batched_kernelIfLi16ELi16ELi32ELi32ELi8ELi32ELi8ELi8ELi32ELc67ELc84EKPKDF16_KPKfKPfEEvlllT_PT11_llSB_llS9_PT12_llPT13_lli.num_vgpr, 62
	.set _ZN12_GLOBAL__N_127rocblas_gemm_batched_kernelIfLi16ELi16ELi32ELi32ELi8ELi32ELi8ELi8ELi32ELc67ELc84EKPKDF16_KPKfKPfEEvlllT_PT11_llSB_llS9_PT12_llPT13_lli.num_agpr, 0
	.set _ZN12_GLOBAL__N_127rocblas_gemm_batched_kernelIfLi16ELi16ELi32ELi32ELi8ELi32ELi8ELi8ELi32ELc67ELc84EKPKDF16_KPKfKPfEEvlllT_PT11_llSB_llS9_PT12_llPT13_lli.numbered_sgpr, 36
	.set _ZN12_GLOBAL__N_127rocblas_gemm_batched_kernelIfLi16ELi16ELi32ELi32ELi8ELi32ELi8ELi8ELi32ELc67ELc84EKPKDF16_KPKfKPfEEvlllT_PT11_llSB_llS9_PT12_llPT13_lli.num_named_barrier, 0
	.set _ZN12_GLOBAL__N_127rocblas_gemm_batched_kernelIfLi16ELi16ELi32ELi32ELi8ELi32ELi8ELi8ELi32ELc67ELc84EKPKDF16_KPKfKPfEEvlllT_PT11_llSB_llS9_PT12_llPT13_lli.private_seg_size, 0
	.set _ZN12_GLOBAL__N_127rocblas_gemm_batched_kernelIfLi16ELi16ELi32ELi32ELi8ELi32ELi8ELi8ELi32ELc67ELc84EKPKDF16_KPKfKPfEEvlllT_PT11_llSB_llS9_PT12_llPT13_lli.uses_vcc, 1
	.set _ZN12_GLOBAL__N_127rocblas_gemm_batched_kernelIfLi16ELi16ELi32ELi32ELi8ELi32ELi8ELi8ELi32ELc67ELc84EKPKDF16_KPKfKPfEEvlllT_PT11_llSB_llS9_PT12_llPT13_lli.uses_flat_scratch, 1
	.set _ZN12_GLOBAL__N_127rocblas_gemm_batched_kernelIfLi16ELi16ELi32ELi32ELi8ELi32ELi8ELi8ELi32ELc67ELc84EKPKDF16_KPKfKPfEEvlllT_PT11_llSB_llS9_PT12_llPT13_lli.has_dyn_sized_stack, 0
	.set _ZN12_GLOBAL__N_127rocblas_gemm_batched_kernelIfLi16ELi16ELi32ELi32ELi8ELi32ELi8ELi8ELi32ELc67ELc84EKPKDF16_KPKfKPfEEvlllT_PT11_llSB_llS9_PT12_llPT13_lli.has_recursion, 0
	.set _ZN12_GLOBAL__N_127rocblas_gemm_batched_kernelIfLi16ELi16ELi32ELi32ELi8ELi32ELi8ELi8ELi32ELc67ELc84EKPKDF16_KPKfKPfEEvlllT_PT11_llSB_llS9_PT12_llPT13_lli.has_indirect_call, 0
	.section	.AMDGPU.csdata,"",@progbits
; Kernel info:
; codeLenInByte = 1444
; TotalNumSgprs: 38
; NumVgprs: 62
; ScratchSize: 0
; MemoryBound: 0
; FloatMode: 240
; IeeeMode: 1
; LDSByteSize: 2048 bytes/workgroup (compile time only)
; SGPRBlocks: 0
; VGPRBlocks: 3
; NumSGPRsForWavesPerEU: 38
; NumVGPRsForWavesPerEU: 62
; NamedBarCnt: 0
; Occupancy: 16
; WaveLimiterHint : 1
; COMPUTE_PGM_RSRC2:SCRATCH_EN: 0
; COMPUTE_PGM_RSRC2:USER_SGPR: 2
; COMPUTE_PGM_RSRC2:TRAP_HANDLER: 0
; COMPUTE_PGM_RSRC2:TGID_X_EN: 1
; COMPUTE_PGM_RSRC2:TGID_Y_EN: 1
; COMPUTE_PGM_RSRC2:TGID_Z_EN: 1
; COMPUTE_PGM_RSRC2:TIDIG_COMP_CNT: 1
	.section	.text._ZN12_GLOBAL__N_127rocblas_gemm_batched_kernelIfLi16ELi16ELi32ELi32ELi8ELi32ELi8ELi8ELi32ELc78ELc67EKPKDF16_KPKfKPfEEvlllT_PT11_llSB_llS9_PT12_llPT13_lli,"axG",@progbits,_ZN12_GLOBAL__N_127rocblas_gemm_batched_kernelIfLi16ELi16ELi32ELi32ELi8ELi32ELi8ELi8ELi32ELc78ELc67EKPKDF16_KPKfKPfEEvlllT_PT11_llSB_llS9_PT12_llPT13_lli,comdat
	.globl	_ZN12_GLOBAL__N_127rocblas_gemm_batched_kernelIfLi16ELi16ELi32ELi32ELi8ELi32ELi8ELi8ELi32ELc78ELc67EKPKDF16_KPKfKPfEEvlllT_PT11_llSB_llS9_PT12_llPT13_lli ; -- Begin function _ZN12_GLOBAL__N_127rocblas_gemm_batched_kernelIfLi16ELi16ELi32ELi32ELi8ELi32ELi8ELi8ELi32ELc78ELc67EKPKDF16_KPKfKPfEEvlllT_PT11_llSB_llS9_PT12_llPT13_lli
	.p2align	8
	.type	_ZN12_GLOBAL__N_127rocblas_gemm_batched_kernelIfLi16ELi16ELi32ELi32ELi8ELi32ELi8ELi8ELi32ELc78ELc67EKPKDF16_KPKfKPfEEvlllT_PT11_llSB_llS9_PT12_llPT13_lli,@function
_ZN12_GLOBAL__N_127rocblas_gemm_batched_kernelIfLi16ELi16ELi32ELi32ELi8ELi32ELi8ELi8ELi32ELc78ELc67EKPKDF16_KPKfKPfEEvlllT_PT11_llSB_llS9_PT12_llPT13_lli: ; @_ZN12_GLOBAL__N_127rocblas_gemm_batched_kernelIfLi16ELi16ELi32ELi32ELi8ELi32ELi8ELi8ELi32ELc78ELc67EKPKDF16_KPKfKPfEEvlllT_PT11_llSB_llS9_PT12_llPT13_lli
; %bb.0:
	s_load_b32 s31, s[0:1], 0x88
	s_bfe_u32 s2, ttmp6, 0x40014
	s_lshr_b32 s3, ttmp7, 16
	s_add_co_i32 s2, s2, 1
	s_bfe_u32 s4, ttmp6, 0x40008
	s_mul_i32 s2, s3, s2
	s_getreg_b32 s28, hwreg(HW_REG_IB_STS2, 6, 4)
	s_add_co_i32 s4, s4, s2
	s_cmp_eq_u32 s28, 0
	s_cselect_b32 s2, s3, s4
	s_mov_b32 s3, 0
	s_wait_kmcnt 0x0
	s_cmp_ge_i32 s2, s31
	s_cbranch_scc1 .LBB128_10
; %bb.1:
	s_clause 0x2
	s_load_b256 s[4:11], s[0:1], 0x20
	s_load_b128 s[24:27], s[0:1], 0x40
	s_load_b32 s33, s[0:1], 0x50
	v_bfe_u32 v2, v0, 10, 10
	v_and_b32_e32 v6, 0x3ff, v0
	s_bfe_u32 s29, ttmp6, 0x4000c
	s_bfe_u32 s34, ttmp6, 0x40010
	s_add_co_i32 s29, s29, 1
	s_and_b32 s35, ttmp7, 0xffff
	s_add_co_i32 s34, s34, 1
	v_lshl_add_u32 v1, v2, 4, v6
	v_dual_mov_b32 v3, 0 :: v_dual_bitop2_b32 v0, 7, v0 bitop3:0x40
	s_clause 0x1
	s_load_b128 s[20:23], s[0:1], 0x78
	s_load_b256 s[12:19], s[0:1], 0x58
	s_and_b32 s30, ttmp6, 15
	s_mul_i32 s29, ttmp9, s29
	s_mul_i32 s34, s35, s34
	s_bfe_u32 s36, ttmp6, 0x40004
	s_add_co_i32 s30, s30, s29
	s_add_co_i32 s36, s36, s34
	s_cmp_eq_u32 s28, 0
	v_dual_mov_b32 v9, v3 :: v_dual_lshrrev_b32 v8, 3, v1
	s_cselect_b32 s28, ttmp9, s30
	v_dual_lshrrev_b32 v16, 5, v1 :: v_dual_bitop2_b32 v14, 31, v1 bitop3:0x40
	s_cselect_b32 s30, s35, s36
	s_ashr_i32 s29, s28, 31
	s_wait_kmcnt 0x0
	v_mad_nc_u64_u32 v[10:11], s24, v0, v[8:9]
	s_lshl_b64 s[34:35], s[28:29], 5
	s_lshl_b32 s36, s30, 5
	s_mov_b32 s37, s3
	v_mad_nc_u64_u32 v[12:13], s6, v16, s[34:35]
	v_add_nc_u64_e32 v[4:5], s[36:37], v[2:3]
	s_load_b96 s[28:30], s[0:1], 0x10
	v_dual_lshlrev_b32 v7, 2, v0 :: v_dual_lshlrev_b32 v9, 2, v14
	v_dual_mov_b32 v15, v3 :: v_dual_lshlrev_b32 v26, 2, v6
	v_mad_u32 v11, s25, v0, v11
	s_delay_alu instid0(VALU_DEP_4)
	v_mul_u64_e32 v[0:1], s[20:21], v[4:5]
	v_mul_u64_e32 v[4:5], s[14:15], v[4:5]
	v_lshl_or_b32 v17, v8, 5, v7
	v_mad_u32 v13, s7, v16, v13
	v_mov_b32_e32 v7, v3
	v_lshl_or_b32 v24, v16, 7, v9
	s_cmp_eq_f32 s33, 0
	v_add_nc_u32_e32 v25, 0x400, v17
	v_lshl_add_u32 v2, v2, 5, 0x400
	v_add_nc_u64_e32 v[8:9], s[36:37], v[10:11]
	s_wait_xcnt 0x0
	s_cselect_b32 s1, -1, 0
	s_lshl_b64 s[20:21], s[20:21], 4
	s_lshl_b64 s[14:15], s[14:15], 4
	v_add_nc_u64_e32 v[10:11], v[12:13], v[14:15]
	s_wait_kmcnt 0x0
	v_cmp_gt_i64_e64 s0, s[28:29], 0
	v_add_nc_u64_e32 v[12:13], s[34:35], v[6:7]
	v_lshlrev_b64_e32 v[8:9], 1, v[8:9]
	s_lshl_b64 s[24:25], s[24:25], 4
	s_lshl_b64 s[6:7], s[6:7], 4
	;; [unrolled: 1-line block ×3, first 2 shown]
	v_lshlrev_b64_e32 v[10:11], 1, v[10:11]
	v_cndmask_b32_e64 v14, 0, 1, s0
	s_delay_alu instid0(VALU_DEP_3) | instskip(SKIP_1) | instid1(VALU_DEP_3)
	v_lshl_add_u64 v[6:7], s[26:27], 1, v[8:9]
	v_lshlrev_b64_e32 v[8:9], 2, v[12:13]
	v_cmp_ne_u32_e64 s0, 1, v14
	v_lshl_add_u64 v[10:11], s[8:9], 1, v[10:11]
	s_lshl_b64 s[8:9], s[22:23], 2
	s_branch .LBB128_3
.LBB128_2:                              ;   in Loop: Header=BB128_3 Depth=1
	s_add_co_i32 s2, s2, 0x10000
	s_delay_alu instid0(SALU_CYCLE_1)
	s_cmp_lt_i32 s2, s31
	s_cbranch_scc0 .LBB128_10
.LBB128_3:                              ; =>This Loop Header: Depth=1
                                        ;     Child Loop BB128_5 Depth 2
	v_dual_mov_b32 v14, s2 :: v_dual_mov_b32 v19, 0
	v_dual_mov_b32 v18, 0 :: v_dual_mov_b32 v15, 0
	s_and_b32 vcc_lo, exec_lo, s0
	s_clause 0x1
	global_load_b64 v[12:13], v14, s[12:13] scale_offset
	global_load_b64 v[16:17], v14, s[18:19] scale_offset
	s_wait_xcnt 0x0
	v_mov_b32_e32 v14, 0
	s_cbranch_vccnz .LBB128_6
; %bb.4:                                ;   in Loop: Header=BB128_3 Depth=1
	s_lshl_b64 s[22:23], s[2:3], 3
	v_mov_b32_e32 v14, 0
	s_add_nc_u64 s[26:27], s[10:11], s[22:23]
	s_add_nc_u64 s[22:23], s[4:5], s[22:23]
	s_clause 0x1
	global_load_b64 v[18:19], v3, s[26:27]
	global_load_b64 v[22:23], v3, s[22:23]
	s_wait_xcnt 0x0
	s_mov_b64 s[22:23], 0
	v_mov_b32_e32 v15, v14
	s_wait_loadcnt 0x1
	v_add_nc_u64_e32 v[20:21], v[18:19], v[6:7]
	s_wait_loadcnt 0x0
	v_add_nc_u64_e32 v[22:23], v[22:23], v[10:11]
	v_dual_mov_b32 v18, v14 :: v_dual_mov_b32 v19, v14
.LBB128_5:                              ;   Parent Loop BB128_3 Depth=1
                                        ; =>  This Inner Loop Header: Depth=2
	flat_load_u16 v27, v[22:23]
	flat_load_u16 v28, v[20:21]
	s_add_nc_u64 s[22:23], s[22:23], 8
	s_wait_xcnt 0x0
	v_add_nc_u64_e32 v[20:21], s[24:25], v[20:21]
	v_cmp_lt_i64_e64 s26, s[22:23], s[28:29]
	v_add_nc_u64_e32 v[22:23], s[6:7], v[22:23]
	s_and_b32 vcc_lo, exec_lo, s26
	s_wait_loadcnt_dscnt 0x101
	v_cvt_f32_f16_e32 v27, v27
	s_wait_loadcnt_dscnt 0x0
	v_cvt_f32_f16_e32 v28, v28
	ds_store_b32 v24, v27
	ds_store_b32 v25, v28
	s_wait_dscnt 0x0
	s_barrier_signal -1
	s_barrier_wait -1
	ds_load_2addr_b32 v[44:45], v26 offset1:16
	ds_load_2addr_b32 v[46:47], v26 offset0:32 offset1:48
	ds_load_b128 v[28:31], v2
	ds_load_2addr_b32 v[48:49], v26 offset0:64 offset1:80
	ds_load_b128 v[32:35], v2 offset:512
	ds_load_2addr_b32 v[50:51], v26 offset0:96 offset1:112
	ds_load_b128 v[36:39], v2 offset:16
	;; [unrolled: 2-line block ×3, first 2 shown]
	ds_load_2addr_b32 v[54:55], v26 offset0:160 offset1:176
	ds_load_2addr_b32 v[56:57], v26 offset0:192 offset1:208
	;; [unrolled: 1-line block ×3, first 2 shown]
	s_wait_dscnt 0x0
	s_barrier_signal -1
	s_barrier_wait -1
	v_dual_mov_b32 v60, v45 :: v_dual_mov_b32 v61, v44
	v_dual_mov_b32 v44, v47 :: v_dual_mov_b32 v45, v46
	;; [unrolled: 1-line block ×3, first 2 shown]
	s_delay_alu instid0(VALU_DEP_3) | instskip(SKIP_3) | instid1(VALU_DEP_4)
	v_pk_fma_f32 v[18:19], v[60:61], v[28:29], v[18:19] op_sel_hi:[1,0,1]
	v_pk_fma_f32 v[14:15], v[60:61], v[32:33], v[14:15] op_sel_hi:[1,0,1]
	v_dual_mov_b32 v48, v51 :: v_dual_mov_b32 v49, v50
	v_mov_b32_e32 v50, v31
	v_pk_fma_f32 v[18:19], v[44:45], v[28:29], v[18:19] op_sel:[0,1,0]
	s_delay_alu instid0(VALU_DEP_4) | instskip(SKIP_2) | instid1(VALU_DEP_4)
	v_pk_fma_f32 v[14:15], v[44:45], v[32:33], v[14:15] op_sel:[0,1,0]
	v_dual_mov_b32 v28, v35 :: v_dual_mov_b32 v32, v59
	v_mov_b32_e32 v33, v58
	v_pk_fma_f32 v[18:19], v[46:47], v[30:31], v[18:19] op_sel_hi:[1,0,1]
	s_delay_alu instid0(VALU_DEP_4) | instskip(SKIP_2) | instid1(VALU_DEP_4)
	v_pk_fma_f32 v[14:15], v[46:47], v[34:35], v[14:15] op_sel_hi:[1,0,1]
	v_dual_mov_b32 v30, v53 :: v_dual_mov_b32 v31, v52
	v_mov_b32_e32 v34, v43
	v_pk_fma_f32 v[18:19], v[48:49], v[50:51], v[18:19] op_sel_hi:[1,0,1]
	s_delay_alu instid0(VALU_DEP_4) | instskip(SKIP_1) | instid1(VALU_DEP_3)
	v_pk_fma_f32 v[14:15], v[48:49], v[28:29], v[14:15] op_sel_hi:[1,0,1]
	v_dual_mov_b32 v28, v55 :: v_dual_mov_b32 v29, v54
	v_pk_fma_f32 v[18:19], v[30:31], v[36:37], v[18:19] op_sel_hi:[1,0,1]
	s_delay_alu instid0(VALU_DEP_3) | instskip(SKIP_1) | instid1(VALU_DEP_3)
	v_pk_fma_f32 v[14:15], v[30:31], v[40:41], v[14:15] op_sel_hi:[1,0,1]
	v_dual_mov_b32 v30, v57 :: v_dual_mov_b32 v31, v56
	v_pk_fma_f32 v[18:19], v[28:29], v[36:37], v[18:19] op_sel:[0,1,0]
	s_delay_alu instid0(VALU_DEP_3) | instskip(SKIP_1) | instid1(VALU_DEP_3)
	v_pk_fma_f32 v[14:15], v[28:29], v[40:41], v[14:15] op_sel:[0,1,0]
	v_mov_b32_e32 v28, v39
	v_pk_fma_f32 v[18:19], v[30:31], v[38:39], v[18:19] op_sel_hi:[1,0,1]
	s_delay_alu instid0(VALU_DEP_3) | instskip(NEXT) | instid1(VALU_DEP_2)
	v_pk_fma_f32 v[14:15], v[30:31], v[42:43], v[14:15] op_sel_hi:[1,0,1]
	v_pk_fma_f32 v[18:19], v[32:33], v[28:29], v[18:19] op_sel_hi:[1,0,1]
	s_delay_alu instid0(VALU_DEP_2)
	v_pk_fma_f32 v[14:15], v[32:33], v[34:35], v[14:15] op_sel_hi:[1,0,1]
	s_cbranch_vccnz .LBB128_5
.LBB128_6:                              ;   in Loop: Header=BB128_3 Depth=1
	s_wait_loadcnt 0x0
	v_add_nc_u64_e32 v[16:17], s[8:9], v[16:17]
	s_and_not1_b32 vcc_lo, exec_lo, s1
	s_delay_alu instid0(VALU_DEP_1) | instskip(NEXT) | instid1(VALU_DEP_1)
	v_lshl_add_u64 v[16:17], v[0:1], 2, v[16:17]
	v_add_nc_u64_e32 v[20:21], v[16:17], v[8:9]
	v_lshl_add_u64 v[16:17], s[20:21], 2, v[16:17]
	s_cbranch_vccnz .LBB128_8
; %bb.7:                                ;   in Loop: Header=BB128_3 Depth=1
	s_delay_alu instid0(VALU_DEP_1)
	v_add_nc_u64_e32 v[22:23], v[16:17], v[8:9]
	v_dual_mul_f32 v27, s30, v19 :: v_dual_mul_f32 v28, s30, v18
	v_dual_mul_f32 v29, s30, v15 :: v_dual_mul_f32 v30, s30, v14
	s_clause 0x3
	flat_store_b32 v[20:21], v27
	flat_store_b32 v[20:21], v28 offset:64
	flat_store_b32 v[22:23], v29
	flat_store_b32 v[22:23], v30 offset:64
	s_cbranch_execnz .LBB128_2
	s_branch .LBB128_9
.LBB128_8:                              ;   in Loop: Header=BB128_3 Depth=1
.LBB128_9:                              ;   in Loop: Header=BB128_3 Depth=1
	v_add_nc_u64_e32 v[12:13], s[16:17], v[12:13]
	s_delay_alu instid0(VALU_DEP_2) | instskip(NEXT) | instid1(VALU_DEP_2)
	v_add_nc_u64_e32 v[16:17], v[16:17], v[8:9]
	v_lshl_add_u64 v[12:13], v[4:5], 2, v[12:13]
	s_wait_xcnt 0x0
	s_delay_alu instid0(VALU_DEP_1) | instskip(SKIP_1) | instid1(VALU_DEP_1)
	v_add_nc_u64_e32 v[22:23], v[12:13], v[8:9]
	v_lshl_add_u64 v[12:13], s[14:15], 2, v[12:13]
	v_add_nc_u64_e32 v[12:13], v[12:13], v[8:9]
	flat_load_b32 v27, v[22:23]
	s_wait_loadcnt_dscnt 0x0
	v_mul_f32_e32 v27, s33, v27
	s_delay_alu instid0(VALU_DEP_1) | instskip(SKIP_4) | instid1(VALU_DEP_1)
	v_fmac_f32_e32 v27, s30, v19
	flat_store_b32 v[20:21], v27
	flat_load_b32 v19, v[22:23] offset:64
	s_wait_loadcnt_dscnt 0x0
	v_mul_f32_e32 v19, s33, v19
	v_fmac_f32_e32 v19, s30, v18
	flat_store_b32 v[20:21], v19 offset:64
	flat_load_b32 v18, v[12:13]
	s_wait_loadcnt_dscnt 0x0
	v_mul_f32_e32 v18, s33, v18
	s_delay_alu instid0(VALU_DEP_1)
	v_fmac_f32_e32 v18, s30, v15
	flat_store_b32 v[16:17], v18
	flat_load_b32 v12, v[12:13] offset:64
	s_wait_loadcnt_dscnt 0x0
	s_wait_xcnt 0x0
	v_mul_f32_e32 v12, s33, v12
	s_delay_alu instid0(VALU_DEP_1)
	v_fmac_f32_e32 v12, s30, v14
	flat_store_b32 v[16:17], v12 offset:64
	s_branch .LBB128_2
.LBB128_10:
	s_endpgm
	.section	.rodata,"a",@progbits
	.p2align	6, 0x0
	.amdhsa_kernel _ZN12_GLOBAL__N_127rocblas_gemm_batched_kernelIfLi16ELi16ELi32ELi32ELi8ELi32ELi8ELi8ELi32ELc78ELc67EKPKDF16_KPKfKPfEEvlllT_PT11_llSB_llS9_PT12_llPT13_lli
		.amdhsa_group_segment_fixed_size 2048
		.amdhsa_private_segment_fixed_size 0
		.amdhsa_kernarg_size 140
		.amdhsa_user_sgpr_count 2
		.amdhsa_user_sgpr_dispatch_ptr 0
		.amdhsa_user_sgpr_queue_ptr 0
		.amdhsa_user_sgpr_kernarg_segment_ptr 1
		.amdhsa_user_sgpr_dispatch_id 0
		.amdhsa_user_sgpr_kernarg_preload_length 0
		.amdhsa_user_sgpr_kernarg_preload_offset 0
		.amdhsa_user_sgpr_private_segment_size 0
		.amdhsa_wavefront_size32 1
		.amdhsa_uses_dynamic_stack 0
		.amdhsa_enable_private_segment 0
		.amdhsa_system_sgpr_workgroup_id_x 1
		.amdhsa_system_sgpr_workgroup_id_y 1
		.amdhsa_system_sgpr_workgroup_id_z 1
		.amdhsa_system_sgpr_workgroup_info 0
		.amdhsa_system_vgpr_workitem_id 1
		.amdhsa_next_free_vgpr 62
		.amdhsa_next_free_sgpr 38
		.amdhsa_named_barrier_count 0
		.amdhsa_reserve_vcc 1
		.amdhsa_float_round_mode_32 0
		.amdhsa_float_round_mode_16_64 0
		.amdhsa_float_denorm_mode_32 3
		.amdhsa_float_denorm_mode_16_64 3
		.amdhsa_fp16_overflow 0
		.amdhsa_memory_ordered 1
		.amdhsa_forward_progress 1
		.amdhsa_inst_pref_size 12
		.amdhsa_round_robin_scheduling 0
		.amdhsa_exception_fp_ieee_invalid_op 0
		.amdhsa_exception_fp_denorm_src 0
		.amdhsa_exception_fp_ieee_div_zero 0
		.amdhsa_exception_fp_ieee_overflow 0
		.amdhsa_exception_fp_ieee_underflow 0
		.amdhsa_exception_fp_ieee_inexact 0
		.amdhsa_exception_int_div_zero 0
	.end_amdhsa_kernel
	.section	.text._ZN12_GLOBAL__N_127rocblas_gemm_batched_kernelIfLi16ELi16ELi32ELi32ELi8ELi32ELi8ELi8ELi32ELc78ELc67EKPKDF16_KPKfKPfEEvlllT_PT11_llSB_llS9_PT12_llPT13_lli,"axG",@progbits,_ZN12_GLOBAL__N_127rocblas_gemm_batched_kernelIfLi16ELi16ELi32ELi32ELi8ELi32ELi8ELi8ELi32ELc78ELc67EKPKDF16_KPKfKPfEEvlllT_PT11_llSB_llS9_PT12_llPT13_lli,comdat
.Lfunc_end128:
	.size	_ZN12_GLOBAL__N_127rocblas_gemm_batched_kernelIfLi16ELi16ELi32ELi32ELi8ELi32ELi8ELi8ELi32ELc78ELc67EKPKDF16_KPKfKPfEEvlllT_PT11_llSB_llS9_PT12_llPT13_lli, .Lfunc_end128-_ZN12_GLOBAL__N_127rocblas_gemm_batched_kernelIfLi16ELi16ELi32ELi32ELi8ELi32ELi8ELi8ELi32ELc78ELc67EKPKDF16_KPKfKPfEEvlllT_PT11_llSB_llS9_PT12_llPT13_lli
                                        ; -- End function
	.set _ZN12_GLOBAL__N_127rocblas_gemm_batched_kernelIfLi16ELi16ELi32ELi32ELi8ELi32ELi8ELi8ELi32ELc78ELc67EKPKDF16_KPKfKPfEEvlllT_PT11_llSB_llS9_PT12_llPT13_lli.num_vgpr, 62
	.set _ZN12_GLOBAL__N_127rocblas_gemm_batched_kernelIfLi16ELi16ELi32ELi32ELi8ELi32ELi8ELi8ELi32ELc78ELc67EKPKDF16_KPKfKPfEEvlllT_PT11_llSB_llS9_PT12_llPT13_lli.num_agpr, 0
	.set _ZN12_GLOBAL__N_127rocblas_gemm_batched_kernelIfLi16ELi16ELi32ELi32ELi8ELi32ELi8ELi8ELi32ELc78ELc67EKPKDF16_KPKfKPfEEvlllT_PT11_llSB_llS9_PT12_llPT13_lli.numbered_sgpr, 38
	.set _ZN12_GLOBAL__N_127rocblas_gemm_batched_kernelIfLi16ELi16ELi32ELi32ELi8ELi32ELi8ELi8ELi32ELc78ELc67EKPKDF16_KPKfKPfEEvlllT_PT11_llSB_llS9_PT12_llPT13_lli.num_named_barrier, 0
	.set _ZN12_GLOBAL__N_127rocblas_gemm_batched_kernelIfLi16ELi16ELi32ELi32ELi8ELi32ELi8ELi8ELi32ELc78ELc67EKPKDF16_KPKfKPfEEvlllT_PT11_llSB_llS9_PT12_llPT13_lli.private_seg_size, 0
	.set _ZN12_GLOBAL__N_127rocblas_gemm_batched_kernelIfLi16ELi16ELi32ELi32ELi8ELi32ELi8ELi8ELi32ELc78ELc67EKPKDF16_KPKfKPfEEvlllT_PT11_llSB_llS9_PT12_llPT13_lli.uses_vcc, 1
	.set _ZN12_GLOBAL__N_127rocblas_gemm_batched_kernelIfLi16ELi16ELi32ELi32ELi8ELi32ELi8ELi8ELi32ELc78ELc67EKPKDF16_KPKfKPfEEvlllT_PT11_llSB_llS9_PT12_llPT13_lli.uses_flat_scratch, 1
	.set _ZN12_GLOBAL__N_127rocblas_gemm_batched_kernelIfLi16ELi16ELi32ELi32ELi8ELi32ELi8ELi8ELi32ELc78ELc67EKPKDF16_KPKfKPfEEvlllT_PT11_llSB_llS9_PT12_llPT13_lli.has_dyn_sized_stack, 0
	.set _ZN12_GLOBAL__N_127rocblas_gemm_batched_kernelIfLi16ELi16ELi32ELi32ELi8ELi32ELi8ELi8ELi32ELc78ELc67EKPKDF16_KPKfKPfEEvlllT_PT11_llSB_llS9_PT12_llPT13_lli.has_recursion, 0
	.set _ZN12_GLOBAL__N_127rocblas_gemm_batched_kernelIfLi16ELi16ELi32ELi32ELi8ELi32ELi8ELi8ELi32ELc78ELc67EKPKDF16_KPKfKPfEEvlllT_PT11_llSB_llS9_PT12_llPT13_lli.has_indirect_call, 0
	.section	.AMDGPU.csdata,"",@progbits
; Kernel info:
; codeLenInByte = 1440
; TotalNumSgprs: 40
; NumVgprs: 62
; ScratchSize: 0
; MemoryBound: 0
; FloatMode: 240
; IeeeMode: 1
; LDSByteSize: 2048 bytes/workgroup (compile time only)
; SGPRBlocks: 0
; VGPRBlocks: 3
; NumSGPRsForWavesPerEU: 40
; NumVGPRsForWavesPerEU: 62
; NamedBarCnt: 0
; Occupancy: 16
; WaveLimiterHint : 1
; COMPUTE_PGM_RSRC2:SCRATCH_EN: 0
; COMPUTE_PGM_RSRC2:USER_SGPR: 2
; COMPUTE_PGM_RSRC2:TRAP_HANDLER: 0
; COMPUTE_PGM_RSRC2:TGID_X_EN: 1
; COMPUTE_PGM_RSRC2:TGID_Y_EN: 1
; COMPUTE_PGM_RSRC2:TGID_Z_EN: 1
; COMPUTE_PGM_RSRC2:TIDIG_COMP_CNT: 1
	.section	.text._ZN12_GLOBAL__N_127rocblas_gemm_batched_kernelIfLi16ELi16ELi32ELi32ELi8ELi32ELi8ELi8ELi32ELc84ELc67EKPKDF16_KPKfKPfEEvlllT_PT11_llSB_llS9_PT12_llPT13_lli,"axG",@progbits,_ZN12_GLOBAL__N_127rocblas_gemm_batched_kernelIfLi16ELi16ELi32ELi32ELi8ELi32ELi8ELi8ELi32ELc84ELc67EKPKDF16_KPKfKPfEEvlllT_PT11_llSB_llS9_PT12_llPT13_lli,comdat
	.globl	_ZN12_GLOBAL__N_127rocblas_gemm_batched_kernelIfLi16ELi16ELi32ELi32ELi8ELi32ELi8ELi8ELi32ELc84ELc67EKPKDF16_KPKfKPfEEvlllT_PT11_llSB_llS9_PT12_llPT13_lli ; -- Begin function _ZN12_GLOBAL__N_127rocblas_gemm_batched_kernelIfLi16ELi16ELi32ELi32ELi8ELi32ELi8ELi8ELi32ELc84ELc67EKPKDF16_KPKfKPfEEvlllT_PT11_llSB_llS9_PT12_llPT13_lli
	.p2align	8
	.type	_ZN12_GLOBAL__N_127rocblas_gemm_batched_kernelIfLi16ELi16ELi32ELi32ELi8ELi32ELi8ELi8ELi32ELc84ELc67EKPKDF16_KPKfKPfEEvlllT_PT11_llSB_llS9_PT12_llPT13_lli,@function
_ZN12_GLOBAL__N_127rocblas_gemm_batched_kernelIfLi16ELi16ELi32ELi32ELi8ELi32ELi8ELi8ELi32ELc84ELc67EKPKDF16_KPKfKPfEEvlllT_PT11_llSB_llS9_PT12_llPT13_lli: ; @_ZN12_GLOBAL__N_127rocblas_gemm_batched_kernelIfLi16ELi16ELi32ELi32ELi8ELi32ELi8ELi8ELi32ELc84ELc67EKPKDF16_KPKfKPfEEvlllT_PT11_llSB_llS9_PT12_llPT13_lli
; %bb.0:
	s_load_b32 s31, s[0:1], 0x88
	s_bfe_u32 s2, ttmp6, 0x40014
	s_lshr_b32 s3, ttmp7, 16
	s_add_co_i32 s2, s2, 1
	s_bfe_u32 s4, ttmp6, 0x40008
	s_mul_i32 s2, s3, s2
	s_getreg_b32 s28, hwreg(HW_REG_IB_STS2, 6, 4)
	s_add_co_i32 s4, s4, s2
	s_cmp_eq_u32 s28, 0
	s_cselect_b32 s2, s3, s4
	s_mov_b32 s3, 0
	s_wait_kmcnt 0x0
	s_cmp_ge_i32 s2, s31
	s_cbranch_scc1 .LBB129_10
; %bb.1:
	v_bfe_u32 v2, v0, 10, 10
	v_and_b32_e32 v6, 0x3ff, v0
	s_bfe_u32 s29, ttmp6, 0x4000c
	s_bfe_u32 s33, ttmp6, 0x40010
	s_add_co_i32 s29, s29, 1
	s_and_b32 s34, ttmp7, 0xffff
	s_add_co_i32 s33, s33, 1
	s_clause 0x3
	s_load_b256 s[4:11], s[0:1], 0x20
	s_load_b128 s[24:27], s[0:1], 0x40
	s_load_b128 s[20:23], s[0:1], 0x78
	s_load_b256 s[12:19], s[0:1], 0x58
	s_and_b32 s30, ttmp6, 15
	s_mul_i32 s29, ttmp9, s29
	s_mul_i32 s33, s34, s33
	s_bfe_u32 s35, ttmp6, 0x40004
	v_lshl_add_u32 v7, v2, 4, v6
	s_add_co_i32 s30, s30, s29
	s_add_co_i32 s35, s35, s33
	s_cmp_eq_u32 s28, 0
	s_delay_alu instid0(VALU_DEP_1)
	v_dual_mov_b32 v3, 0 :: v_dual_bitop2_b32 v14, 31, v7 bitop3:0x40
	s_cselect_b32 s28, ttmp9, s30
	s_cselect_b32 s30, s34, s35
	s_ashr_i32 s29, s28, 31
	v_lshrrev_b32_e32 v8, 3, v7
	s_lshl_b64 s[34:35], s[28:29], 5
	s_delay_alu instid0(SALU_CYCLE_1)
	v_dual_mov_b32 v1, s35 :: v_dual_bitop2_b32 v15, 7, v0 bitop3:0x40
	v_dual_mov_b32 v9, v3 :: v_dual_bitop2_b32 v0, s34, v14 bitop3:0x54
	v_lshrrev_b32_e32 v16, 5, v7
	s_load_b32 s33, s[0:1], 0x50
	v_lshlrev_b32_e32 v14, 2, v14
	s_wait_kmcnt 0x0
	v_mul_u64_e32 v[10:11], s[6:7], v[0:1]
	s_lshl_b32 s6, s30, 5
	v_mad_nc_u64_u32 v[12:13], s24, v15, v[8:9]
	s_mov_b32 s7, s3
	s_load_b96 s[28:30], s[0:1], 0x10
	v_add_nc_u64_e32 v[4:5], s[6:7], v[2:3]
	v_dual_lshlrev_b32 v9, 2, v15 :: v_dual_mov_b32 v7, v3
	v_lshlrev_b32_e32 v26, 2, v6
	v_lshl_or_b32 v24, v16, 7, v14
	v_lshl_add_u32 v27, v2, 5, 0x400
	v_lshlrev_b32_e32 v2, 1, v16
	v_mul_u64_e32 v[0:1], s[20:21], v[4:5]
	v_mul_u64_e32 v[4:5], s[14:15], v[4:5]
	v_mad_u32 v13, s25, v15, v13
	v_lshl_or_b32 v15, v8, 5, v9
	s_cmp_eq_f32 s33, 0
	s_delay_alu instid0(VALU_DEP_1)
	v_add_nc_u32_e32 v25, 0x400, v15
	s_wait_xcnt 0x0
	s_cselect_b32 s1, -1, 0
	s_lshl_b64 s[16:17], s[16:17], 2
	s_wait_kmcnt 0x0
	v_cmp_gt_i64_e64 s0, s[28:29], 0
	s_delay_alu instid0(VALU_DEP_4)
	v_add_nc_u64_e32 v[8:9], s[6:7], v[12:13]
	v_add_nc_u64_e32 v[12:13], s[34:35], v[6:7]
	s_lshl_b64 s[6:7], s[8:9], 1
	s_lshl_b64 s[8:9], s[14:15], 4
	;; [unrolled: 1-line block ×3, first 2 shown]
	v_cndmask_b32_e64 v16, 0, 1, s0
	s_delay_alu instid0(VALU_DEP_3)
	v_lshlrev_b64_e32 v[14:15], 1, v[8:9]
	v_lshl_add_u64 v[6:7], v[10:11], 1, s[6:7]
	v_lshlrev_b64_e32 v[8:9], 2, v[12:13]
	s_lshl_b64 s[6:7], s[20:21], 4
	v_cmp_ne_u32_e64 s0, 1, v16
	s_lshl_b64 s[20:21], s[22:23], 2
	v_add_nc_u64_e32 v[6:7], v[6:7], v[2:3]
	v_lshl_add_u64 v[10:11], s[26:27], 1, v[14:15]
	s_branch .LBB129_3
.LBB129_2:                              ;   in Loop: Header=BB129_3 Depth=1
	s_add_co_i32 s2, s2, 0x10000
	s_delay_alu instid0(SALU_CYCLE_1)
	s_cmp_lt_i32 s2, s31
	s_cbranch_scc0 .LBB129_10
.LBB129_3:                              ; =>This Loop Header: Depth=1
                                        ;     Child Loop BB129_5 Depth 2
	s_wait_xcnt 0x0
	v_dual_mov_b32 v2, s2 :: v_dual_mov_b32 v19, 0
	v_dual_mov_b32 v18, 0 :: v_dual_mov_b32 v15, 0
	v_mov_b32_e32 v14, 0
	s_clause 0x1
	global_load_b64 v[12:13], v2, s[12:13] scale_offset
	global_load_b64 v[16:17], v2, s[18:19] scale_offset
	s_and_b32 vcc_lo, exec_lo, s0
	s_cbranch_vccnz .LBB129_6
; %bb.4:                                ;   in Loop: Header=BB129_3 Depth=1
	s_lshl_b64 s[22:23], s[2:3], 3
	v_mov_b32_e32 v14, 0
	s_add_nc_u64 s[24:25], s[10:11], s[22:23]
	s_add_nc_u64 s[22:23], s[4:5], s[22:23]
	s_clause 0x1
	global_load_b64 v[18:19], v3, s[24:25]
	global_load_b64 v[22:23], v3, s[22:23]
	s_wait_xcnt 0x0
	s_mov_b64 s[22:23], 0
	v_mov_b32_e32 v15, v14
	s_wait_loadcnt 0x1
	v_add_nc_u64_e32 v[20:21], v[18:19], v[10:11]
	s_wait_loadcnt 0x0
	v_add_nc_u64_e32 v[22:23], v[22:23], v[6:7]
	v_dual_mov_b32 v18, v14 :: v_dual_mov_b32 v19, v14
.LBB129_5:                              ;   Parent Loop BB129_3 Depth=1
                                        ; =>  This Inner Loop Header: Depth=2
	flat_load_u16 v2, v[22:23]
	flat_load_u16 v28, v[20:21]
	s_add_nc_u64 s[22:23], s[22:23], 8
	s_wait_xcnt 0x0
	v_add_nc_u64_e32 v[20:21], s[14:15], v[20:21]
	v_cmp_lt_i64_e64 s24, s[22:23], s[28:29]
	v_add_nc_u64_e32 v[22:23], 16, v[22:23]
	s_and_b32 vcc_lo, exec_lo, s24
	s_wait_loadcnt_dscnt 0x101
	v_cvt_f32_f16_e32 v2, v2
	s_wait_loadcnt_dscnt 0x0
	v_cvt_f32_f16_e32 v28, v28
	ds_store_b32 v24, v2
	ds_store_b32 v25, v28
	s_wait_dscnt 0x0
	s_barrier_signal -1
	s_barrier_wait -1
	ds_load_2addr_b32 v[44:45], v26 offset1:16
	ds_load_2addr_b32 v[46:47], v26 offset0:32 offset1:48
	ds_load_b128 v[28:31], v27
	ds_load_2addr_b32 v[48:49], v26 offset0:64 offset1:80
	ds_load_b128 v[32:35], v27 offset:512
	ds_load_2addr_b32 v[50:51], v26 offset0:96 offset1:112
	ds_load_b128 v[36:39], v27 offset:16
	;; [unrolled: 2-line block ×3, first 2 shown]
	ds_load_2addr_b32 v[54:55], v26 offset0:160 offset1:176
	ds_load_2addr_b32 v[56:57], v26 offset0:192 offset1:208
	;; [unrolled: 1-line block ×3, first 2 shown]
	s_wait_dscnt 0x0
	s_barrier_signal -1
	s_barrier_wait -1
	v_dual_mov_b32 v60, v45 :: v_dual_mov_b32 v61, v44
	v_dual_mov_b32 v44, v47 :: v_dual_mov_b32 v45, v46
	;; [unrolled: 1-line block ×3, first 2 shown]
	s_delay_alu instid0(VALU_DEP_3) | instskip(SKIP_3) | instid1(VALU_DEP_4)
	v_pk_fma_f32 v[18:19], v[60:61], v[28:29], v[18:19] op_sel_hi:[1,0,1]
	v_pk_fma_f32 v[14:15], v[60:61], v[32:33], v[14:15] op_sel_hi:[1,0,1]
	v_dual_mov_b32 v48, v51 :: v_dual_mov_b32 v49, v50
	v_mov_b32_e32 v2, v31
	v_pk_fma_f32 v[18:19], v[44:45], v[28:29], v[18:19] op_sel:[0,1,0]
	s_delay_alu instid0(VALU_DEP_4) | instskip(SKIP_2) | instid1(VALU_DEP_4)
	v_pk_fma_f32 v[14:15], v[44:45], v[32:33], v[14:15] op_sel:[0,1,0]
	v_dual_mov_b32 v28, v35 :: v_dual_mov_b32 v32, v59
	v_mov_b32_e32 v33, v58
	v_pk_fma_f32 v[18:19], v[46:47], v[30:31], v[18:19] op_sel_hi:[1,0,1]
	s_delay_alu instid0(VALU_DEP_4) | instskip(SKIP_1) | instid1(VALU_DEP_3)
	v_pk_fma_f32 v[14:15], v[46:47], v[34:35], v[14:15] op_sel_hi:[1,0,1]
	v_dual_mov_b32 v30, v53 :: v_dual_mov_b32 v31, v52
	v_pk_fma_f32 v[18:19], v[48:49], v[2:3], v[18:19] op_sel_hi:[1,0,1]
	s_delay_alu instid0(VALU_DEP_3) | instskip(SKIP_2) | instid1(VALU_DEP_4)
	v_pk_fma_f32 v[14:15], v[48:49], v[28:29], v[14:15] op_sel_hi:[1,0,1]
	v_dual_mov_b32 v28, v55 :: v_dual_mov_b32 v29, v54
	v_mov_b32_e32 v2, v39
	v_pk_fma_f32 v[18:19], v[30:31], v[36:37], v[18:19] op_sel_hi:[1,0,1]
	s_delay_alu instid0(VALU_DEP_4) | instskip(SKIP_1) | instid1(VALU_DEP_3)
	v_pk_fma_f32 v[14:15], v[30:31], v[40:41], v[14:15] op_sel_hi:[1,0,1]
	v_dual_mov_b32 v30, v57 :: v_dual_mov_b32 v31, v56
	v_pk_fma_f32 v[18:19], v[28:29], v[36:37], v[18:19] op_sel:[0,1,0]
	s_delay_alu instid0(VALU_DEP_3) | instskip(SKIP_1) | instid1(VALU_DEP_3)
	v_pk_fma_f32 v[14:15], v[28:29], v[40:41], v[14:15] op_sel:[0,1,0]
	v_mov_b32_e32 v28, v43
	v_pk_fma_f32 v[18:19], v[30:31], v[38:39], v[18:19] op_sel_hi:[1,0,1]
	s_delay_alu instid0(VALU_DEP_3) | instskip(NEXT) | instid1(VALU_DEP_2)
	v_pk_fma_f32 v[14:15], v[30:31], v[42:43], v[14:15] op_sel_hi:[1,0,1]
	v_pk_fma_f32 v[18:19], v[32:33], v[2:3], v[18:19] op_sel_hi:[1,0,1]
	s_delay_alu instid0(VALU_DEP_2)
	v_pk_fma_f32 v[14:15], v[32:33], v[28:29], v[14:15] op_sel_hi:[1,0,1]
	s_cbranch_vccnz .LBB129_5
.LBB129_6:                              ;   in Loop: Header=BB129_3 Depth=1
	s_wait_loadcnt 0x0
	v_add_nc_u64_e32 v[16:17], s[20:21], v[16:17]
	s_and_not1_b32 vcc_lo, exec_lo, s1
	s_delay_alu instid0(VALU_DEP_1) | instskip(NEXT) | instid1(VALU_DEP_1)
	v_lshl_add_u64 v[16:17], v[0:1], 2, v[16:17]
	v_add_nc_u64_e32 v[20:21], v[16:17], v[8:9]
	v_lshl_add_u64 v[16:17], s[6:7], 2, v[16:17]
	s_cbranch_vccnz .LBB129_8
; %bb.7:                                ;   in Loop: Header=BB129_3 Depth=1
	s_delay_alu instid0(VALU_DEP_1)
	v_add_nc_u64_e32 v[22:23], v[16:17], v[8:9]
	s_wait_xcnt 0x0
	v_dual_mul_f32 v2, s30, v19 :: v_dual_mul_f32 v28, s30, v18
	v_dual_mul_f32 v29, s30, v15 :: v_dual_mul_f32 v30, s30, v14
	s_clause 0x3
	flat_store_b32 v[20:21], v2
	flat_store_b32 v[20:21], v28 offset:64
	flat_store_b32 v[22:23], v29
	flat_store_b32 v[22:23], v30 offset:64
	s_cbranch_execnz .LBB129_2
	s_branch .LBB129_9
.LBB129_8:                              ;   in Loop: Header=BB129_3 Depth=1
.LBB129_9:                              ;   in Loop: Header=BB129_3 Depth=1
	v_add_nc_u64_e32 v[12:13], s[16:17], v[12:13]
	s_delay_alu instid0(VALU_DEP_2) | instskip(NEXT) | instid1(VALU_DEP_2)
	v_add_nc_u64_e32 v[16:17], v[16:17], v[8:9]
	v_lshl_add_u64 v[12:13], v[4:5], 2, v[12:13]
	s_wait_xcnt 0x0
	s_delay_alu instid0(VALU_DEP_1) | instskip(SKIP_1) | instid1(VALU_DEP_1)
	v_add_nc_u64_e32 v[22:23], v[12:13], v[8:9]
	v_lshl_add_u64 v[12:13], s[8:9], 2, v[12:13]
	v_add_nc_u64_e32 v[12:13], v[12:13], v[8:9]
	flat_load_b32 v2, v[22:23]
	s_wait_loadcnt_dscnt 0x0
	v_mul_f32_e32 v2, s33, v2
	s_delay_alu instid0(VALU_DEP_1) | instskip(SKIP_4) | instid1(VALU_DEP_1)
	v_fmac_f32_e32 v2, s30, v19
	flat_store_b32 v[20:21], v2
	flat_load_b32 v2, v[22:23] offset:64
	s_wait_loadcnt_dscnt 0x0
	v_mul_f32_e32 v2, s33, v2
	v_fmac_f32_e32 v2, s30, v18
	flat_store_b32 v[20:21], v2 offset:64
	flat_load_b32 v2, v[12:13]
	s_wait_loadcnt_dscnt 0x0
	v_mul_f32_e32 v2, s33, v2
	s_delay_alu instid0(VALU_DEP_1) | instskip(SKIP_4) | instid1(VALU_DEP_1)
	v_fmac_f32_e32 v2, s30, v15
	flat_store_b32 v[16:17], v2
	flat_load_b32 v2, v[12:13] offset:64
	s_wait_loadcnt_dscnt 0x0
	v_mul_f32_e32 v2, s33, v2
	v_fmac_f32_e32 v2, s30, v14
	flat_store_b32 v[16:17], v2 offset:64
	s_branch .LBB129_2
.LBB129_10:
	s_endpgm
	.section	.rodata,"a",@progbits
	.p2align	6, 0x0
	.amdhsa_kernel _ZN12_GLOBAL__N_127rocblas_gemm_batched_kernelIfLi16ELi16ELi32ELi32ELi8ELi32ELi8ELi8ELi32ELc84ELc67EKPKDF16_KPKfKPfEEvlllT_PT11_llSB_llS9_PT12_llPT13_lli
		.amdhsa_group_segment_fixed_size 2048
		.amdhsa_private_segment_fixed_size 0
		.amdhsa_kernarg_size 140
		.amdhsa_user_sgpr_count 2
		.amdhsa_user_sgpr_dispatch_ptr 0
		.amdhsa_user_sgpr_queue_ptr 0
		.amdhsa_user_sgpr_kernarg_segment_ptr 1
		.amdhsa_user_sgpr_dispatch_id 0
		.amdhsa_user_sgpr_kernarg_preload_length 0
		.amdhsa_user_sgpr_kernarg_preload_offset 0
		.amdhsa_user_sgpr_private_segment_size 0
		.amdhsa_wavefront_size32 1
		.amdhsa_uses_dynamic_stack 0
		.amdhsa_enable_private_segment 0
		.amdhsa_system_sgpr_workgroup_id_x 1
		.amdhsa_system_sgpr_workgroup_id_y 1
		.amdhsa_system_sgpr_workgroup_id_z 1
		.amdhsa_system_sgpr_workgroup_info 0
		.amdhsa_system_vgpr_workitem_id 1
		.amdhsa_next_free_vgpr 62
		.amdhsa_next_free_sgpr 36
		.amdhsa_named_barrier_count 0
		.amdhsa_reserve_vcc 1
		.amdhsa_float_round_mode_32 0
		.amdhsa_float_round_mode_16_64 0
		.amdhsa_float_denorm_mode_32 3
		.amdhsa_float_denorm_mode_16_64 3
		.amdhsa_fp16_overflow 0
		.amdhsa_memory_ordered 1
		.amdhsa_forward_progress 1
		.amdhsa_inst_pref_size 12
		.amdhsa_round_robin_scheduling 0
		.amdhsa_exception_fp_ieee_invalid_op 0
		.amdhsa_exception_fp_denorm_src 0
		.amdhsa_exception_fp_ieee_div_zero 0
		.amdhsa_exception_fp_ieee_overflow 0
		.amdhsa_exception_fp_ieee_underflow 0
		.amdhsa_exception_fp_ieee_inexact 0
		.amdhsa_exception_int_div_zero 0
	.end_amdhsa_kernel
	.section	.text._ZN12_GLOBAL__N_127rocblas_gemm_batched_kernelIfLi16ELi16ELi32ELi32ELi8ELi32ELi8ELi8ELi32ELc84ELc67EKPKDF16_KPKfKPfEEvlllT_PT11_llSB_llS9_PT12_llPT13_lli,"axG",@progbits,_ZN12_GLOBAL__N_127rocblas_gemm_batched_kernelIfLi16ELi16ELi32ELi32ELi8ELi32ELi8ELi8ELi32ELc84ELc67EKPKDF16_KPKfKPfEEvlllT_PT11_llSB_llS9_PT12_llPT13_lli,comdat
.Lfunc_end129:
	.size	_ZN12_GLOBAL__N_127rocblas_gemm_batched_kernelIfLi16ELi16ELi32ELi32ELi8ELi32ELi8ELi8ELi32ELc84ELc67EKPKDF16_KPKfKPfEEvlllT_PT11_llSB_llS9_PT12_llPT13_lli, .Lfunc_end129-_ZN12_GLOBAL__N_127rocblas_gemm_batched_kernelIfLi16ELi16ELi32ELi32ELi8ELi32ELi8ELi8ELi32ELc84ELc67EKPKDF16_KPKfKPfEEvlllT_PT11_llSB_llS9_PT12_llPT13_lli
                                        ; -- End function
	.set _ZN12_GLOBAL__N_127rocblas_gemm_batched_kernelIfLi16ELi16ELi32ELi32ELi8ELi32ELi8ELi8ELi32ELc84ELc67EKPKDF16_KPKfKPfEEvlllT_PT11_llSB_llS9_PT12_llPT13_lli.num_vgpr, 62
	.set _ZN12_GLOBAL__N_127rocblas_gemm_batched_kernelIfLi16ELi16ELi32ELi32ELi8ELi32ELi8ELi8ELi32ELc84ELc67EKPKDF16_KPKfKPfEEvlllT_PT11_llSB_llS9_PT12_llPT13_lli.num_agpr, 0
	.set _ZN12_GLOBAL__N_127rocblas_gemm_batched_kernelIfLi16ELi16ELi32ELi32ELi8ELi32ELi8ELi8ELi32ELc84ELc67EKPKDF16_KPKfKPfEEvlllT_PT11_llSB_llS9_PT12_llPT13_lli.numbered_sgpr, 36
	.set _ZN12_GLOBAL__N_127rocblas_gemm_batched_kernelIfLi16ELi16ELi32ELi32ELi8ELi32ELi8ELi8ELi32ELc84ELc67EKPKDF16_KPKfKPfEEvlllT_PT11_llSB_llS9_PT12_llPT13_lli.num_named_barrier, 0
	.set _ZN12_GLOBAL__N_127rocblas_gemm_batched_kernelIfLi16ELi16ELi32ELi32ELi8ELi32ELi8ELi8ELi32ELc84ELc67EKPKDF16_KPKfKPfEEvlllT_PT11_llSB_llS9_PT12_llPT13_lli.private_seg_size, 0
	.set _ZN12_GLOBAL__N_127rocblas_gemm_batched_kernelIfLi16ELi16ELi32ELi32ELi8ELi32ELi8ELi8ELi32ELc84ELc67EKPKDF16_KPKfKPfEEvlllT_PT11_llSB_llS9_PT12_llPT13_lli.uses_vcc, 1
	.set _ZN12_GLOBAL__N_127rocblas_gemm_batched_kernelIfLi16ELi16ELi32ELi32ELi8ELi32ELi8ELi8ELi32ELc84ELc67EKPKDF16_KPKfKPfEEvlllT_PT11_llSB_llS9_PT12_llPT13_lli.uses_flat_scratch, 1
	.set _ZN12_GLOBAL__N_127rocblas_gemm_batched_kernelIfLi16ELi16ELi32ELi32ELi8ELi32ELi8ELi8ELi32ELc84ELc67EKPKDF16_KPKfKPfEEvlllT_PT11_llSB_llS9_PT12_llPT13_lli.has_dyn_sized_stack, 0
	.set _ZN12_GLOBAL__N_127rocblas_gemm_batched_kernelIfLi16ELi16ELi32ELi32ELi8ELi32ELi8ELi8ELi32ELc84ELc67EKPKDF16_KPKfKPfEEvlllT_PT11_llSB_llS9_PT12_llPT13_lli.has_recursion, 0
	.set _ZN12_GLOBAL__N_127rocblas_gemm_batched_kernelIfLi16ELi16ELi32ELi32ELi8ELi32ELi8ELi8ELi32ELc84ELc67EKPKDF16_KPKfKPfEEvlllT_PT11_llSB_llS9_PT12_llPT13_lli.has_indirect_call, 0
	.section	.AMDGPU.csdata,"",@progbits
; Kernel info:
; codeLenInByte = 1444
; TotalNumSgprs: 38
; NumVgprs: 62
; ScratchSize: 0
; MemoryBound: 0
; FloatMode: 240
; IeeeMode: 1
; LDSByteSize: 2048 bytes/workgroup (compile time only)
; SGPRBlocks: 0
; VGPRBlocks: 3
; NumSGPRsForWavesPerEU: 38
; NumVGPRsForWavesPerEU: 62
; NamedBarCnt: 0
; Occupancy: 16
; WaveLimiterHint : 1
; COMPUTE_PGM_RSRC2:SCRATCH_EN: 0
; COMPUTE_PGM_RSRC2:USER_SGPR: 2
; COMPUTE_PGM_RSRC2:TRAP_HANDLER: 0
; COMPUTE_PGM_RSRC2:TGID_X_EN: 1
; COMPUTE_PGM_RSRC2:TGID_Y_EN: 1
; COMPUTE_PGM_RSRC2:TGID_Z_EN: 1
; COMPUTE_PGM_RSRC2:TIDIG_COMP_CNT: 1
	.section	.text._ZN12_GLOBAL__N_135rocblas_gemm_batched_general_kernelIfLi16ELi16ELi32ELi32ELi8ELi32ELi8ELi8ELi32ELc78ELc78EKPKDF16_KPKfKPfEEvlllT_PT11_llSB_llS9_PT12_llPT13_lli,"axG",@progbits,_ZN12_GLOBAL__N_135rocblas_gemm_batched_general_kernelIfLi16ELi16ELi32ELi32ELi8ELi32ELi8ELi8ELi32ELc78ELc78EKPKDF16_KPKfKPfEEvlllT_PT11_llSB_llS9_PT12_llPT13_lli,comdat
	.globl	_ZN12_GLOBAL__N_135rocblas_gemm_batched_general_kernelIfLi16ELi16ELi32ELi32ELi8ELi32ELi8ELi8ELi32ELc78ELc78EKPKDF16_KPKfKPfEEvlllT_PT11_llSB_llS9_PT12_llPT13_lli ; -- Begin function _ZN12_GLOBAL__N_135rocblas_gemm_batched_general_kernelIfLi16ELi16ELi32ELi32ELi8ELi32ELi8ELi8ELi32ELc78ELc78EKPKDF16_KPKfKPfEEvlllT_PT11_llSB_llS9_PT12_llPT13_lli
	.p2align	8
	.type	_ZN12_GLOBAL__N_135rocblas_gemm_batched_general_kernelIfLi16ELi16ELi32ELi32ELi8ELi32ELi8ELi8ELi32ELc78ELc78EKPKDF16_KPKfKPfEEvlllT_PT11_llSB_llS9_PT12_llPT13_lli,@function
_ZN12_GLOBAL__N_135rocblas_gemm_batched_general_kernelIfLi16ELi16ELi32ELi32ELi8ELi32ELi8ELi8ELi32ELc78ELc78EKPKDF16_KPKfKPfEEvlllT_PT11_llSB_llS9_PT12_llPT13_lli: ; @_ZN12_GLOBAL__N_135rocblas_gemm_batched_general_kernelIfLi16ELi16ELi32ELi32ELi8ELi32ELi8ELi8ELi32ELc78ELc78EKPKDF16_KPKfKPfEEvlllT_PT11_llSB_llS9_PT12_llPT13_lli
; %bb.0:
	s_load_b32 s33, s[0:1], 0x88
	s_bfe_u32 s2, ttmp6, 0x40014
	s_lshr_b32 s3, ttmp7, 16
	s_add_co_i32 s2, s2, 1
	s_bfe_u32 s5, ttmp6, 0x40008
	s_mul_i32 s4, s3, s2
	s_getreg_b32 s2, hwreg(HW_REG_IB_STS2, 6, 4)
	s_add_co_i32 s5, s5, s4
	s_cmp_eq_u32 s2, 0
	s_mov_b32 s35, 0
	s_cselect_b32 s34, s3, s5
	s_wait_kmcnt 0x0
	s_cmp_ge_i32 s34, s33
	s_cbranch_scc1 .LBB130_34
; %bb.1:
	v_bfe_u32 v10, v0, 10, 10
	v_and_b32_e32 v12, 0x3ff, v0
	s_clause 0x1
	s_load_b256 s[8:15], s[0:1], 0x20
	s_load_b128 s[4:7], s[0:1], 0x40
	s_bfe_u32 s16, ttmp6, 0x4000c
	s_bfe_u32 s17, ttmp6, 0x40010
	s_add_co_i32 s16, s16, 1
	s_and_b32 s18, ttmp7, 0xffff
	s_add_co_i32 s17, s17, 1
	v_lshl_add_u32 v1, v10, 4, v12
	v_mov_b32_e32 v3, 0
	s_and_b32 s3, ttmp6, 15
	s_mul_i32 s16, ttmp9, s16
	s_mul_i32 s17, s18, s17
	s_bfe_u32 s19, ttmp6, 0x40004
	s_add_co_i32 s3, s3, s16
	s_add_co_i32 s19, s19, s17
	s_cmp_eq_u32 s2, 0
	v_dual_mov_b32 v5, v3 :: v_dual_lshrrev_b32 v4, 3, v1
	v_mov_b32_e32 v11, v3
	s_cselect_b32 s2, s18, s19
	s_cselect_b32 s42, ttmp9, s3
	s_lshl_b32 s2, s2, 5
	s_mov_b32 s3, s35
	s_clause 0x4
	s_load_b128 s[28:31], s[0:1], 0x0
	s_load_b96 s[36:38], s[0:1], 0x10
	s_load_b32 s41, s[0:1], 0x50
	s_load_b128 s[24:27], s[0:1], 0x78
	s_load_b256 s[16:23], s[0:1], 0x58
	v_add_nc_u64_e32 v[6:7], s[2:3], v[4:5]
	v_dual_lshrrev_b32 v2, 5, v1 :: v_dual_bitop2_b32 v22, 31, v1 bitop3:0x40
	s_ashr_i32 s43, s42, 31
	v_add_nc_u64_e32 v[18:19], s[2:3], v[10:11]
	v_dual_mov_b32 v13, v3 :: v_dual_bitop2_b32 v0, 7, v0 bitop3:0x40
	s_wait_kmcnt 0x0
	s_delay_alu instid0(VALU_DEP_4) | instskip(SKIP_2) | instid1(SALU_CYCLE_1)
	v_mul_u64_e32 v[14:15], s[4:5], v[6:7]
	v_mul_u64_e32 v[16:17], s[10:11], v[2:3]
	s_lshl_b64 s[4:5], s[42:43], 5
	v_dual_lshlrev_b32 v5, 2, v0 :: v_dual_bitop2_b32 v8, s4, v22 bitop3:0x54
	v_dual_mov_b32 v9, s5 :: v_dual_mov_b32 v1, v3
	v_dual_lshlrev_b32 v20, 2, v22 :: v_dual_lshlrev_b32 v30, 2, v12
	v_cmp_gt_i64_e64 s1, s[30:31], v[6:7]
	s_delay_alu instid0(VALU_DEP_3)
	v_cmp_gt_i64_e64 s0, s[28:29], v[8:9]
	v_mul_u64_e32 v[6:7], s[24:25], v[18:19]
	v_mul_u64_e32 v[8:9], s[18:19], v[18:19]
	s_cmp_eq_f32 s41, 0
	v_lshl_or_b32 v11, v4, 5, v5
	v_add_nc_u64_e32 v[4:5], s[4:5], v[12:13]
	v_add_nc_u64_e32 v[12:13], 16, v[18:19]
	s_cselect_b32 s39, -1, 0
	s_lshl_b64 s[6:7], s[6:7], 1
	v_add_nc_u32_e32 v29, 0x400, v11
	v_lshl_add_u32 v31, v10, 5, 0x400
	s_lshl_b64 s[12:13], s[12:13], 1
	v_lshl_or_b32 v28, v2, 7, v20
	v_add_nc_u64_e32 v[20:21], 16, v[4:5]
	v_cmp_gt_i64_e64 s5, s[30:31], v[12:13]
	v_dual_mov_b32 v13, v3 :: v_dual_lshlrev_b32 v12, 1, v0
	v_cmp_gt_i64_e64 s2, s[30:31], v[18:19]
	v_cmp_gt_i64_e64 s3, s[28:29], v[4:5]
	s_mov_b32 s40, s38
	v_cmp_gt_i64_e64 s4, s[28:29], v[20:21]
	v_cmp_gt_i64_e64 s28, s[36:37], 0
	v_lshl_add_u64 v[10:11], v[14:15], 1, s[6:7]
	s_lshl_b64 s[6:7], s[42:43], 6
	s_lshl_b64 s[10:11], s[10:11], 4
	s_add_nc_u64 s[6:7], s[12:13], s[6:7]
	s_lshl_b64 s[12:13], s[18:19], 4
	v_lshl_add_u64 v[14:15], v[16:17], 1, s[6:7]
	v_dual_mov_b32 v17, v3 :: v_dual_lshlrev_b32 v16, 1, v22
	v_add_nc_u64_e32 v[10:11], v[10:11], v[12:13]
	s_lshl_b64 s[6:7], s[24:25], 4
	s_lshl_b64 s[18:19], s[26:27], 2
	;; [unrolled: 1-line block ×3, first 2 shown]
	v_add_nc_u64_e32 v[12:13], v[14:15], v[16:17]
	s_branch .LBB130_4
.LBB130_2:                              ;   in Loop: Header=BB130_4 Depth=1
	s_wait_xcnt 0x0
	s_or_b32 exec_lo, exec_lo, s24
.LBB130_3:                              ;   in Loop: Header=BB130_4 Depth=1
	s_add_co_i32 s34, s34, 0x10000
	s_delay_alu instid0(SALU_CYCLE_1)
	s_cmp_lt_i32 s34, s33
	s_cbranch_scc0 .LBB130_34
.LBB130_4:                              ; =>This Loop Header: Depth=1
                                        ;     Child Loop BB130_7 Depth 2
	v_dual_mov_b32 v14, s34 :: v_dual_mov_b32 v19, 0
	v_dual_mov_b32 v18, 0 :: v_dual_mov_b32 v15, 0
	s_and_not1_b32 vcc_lo, exec_lo, s28
	s_clause 0x1
	global_load_b64 v[16:17], v14, s[16:17] scale_offset
	global_load_b64 v[20:21], v14, s[22:23] scale_offset
	s_wait_xcnt 0x0
	v_mov_b32_e32 v14, 0
	s_cbranch_vccnz .LBB130_11
; %bb.5:                                ;   in Loop: Header=BB130_4 Depth=1
	s_lshl_b64 s[24:25], s[34:35], 3
	v_mov_b32_e32 v18, 0
	s_add_nc_u64 s[26:27], s[14:15], s[24:25]
	s_add_nc_u64 s[24:25], s[8:9], s[24:25]
	s_clause 0x1
	global_load_b64 v[14:15], v3, s[26:27]
	global_load_b64 v[24:25], v3, s[24:25]
	s_wait_xcnt 0x0
	s_mov_b64 s[24:25], 0
	v_mov_b32_e32 v19, v18
	s_wait_loadcnt 0x1
	v_add_nc_u64_e32 v[22:23], v[14:15], v[10:11]
	s_wait_loadcnt 0x0
	v_add_nc_u64_e32 v[24:25], v[24:25], v[12:13]
	v_dual_mov_b32 v14, v18 :: v_dual_mov_b32 v15, v18
	s_branch .LBB130_7
.LBB130_6:                              ;   in Loop: Header=BB130_7 Depth=2
	s_wait_xcnt 0x0
	s_or_b32 exec_lo, exec_lo, s26
	ds_store_b32 v29, v27
	s_wait_dscnt 0x0
	s_barrier_signal -1
	s_barrier_wait -1
	ds_load_b128 v[32:35], v31
	ds_load_2addr_b32 v[26:27], v30 offset1:16
	ds_load_b128 v[36:39], v31 offset:512
	ds_load_2addr_b32 v[48:49], v30 offset0:32 offset1:48
	ds_load_2addr_b32 v[50:51], v30 offset0:64 offset1:80
	;; [unrolled: 1-line block ×3, first 2 shown]
	ds_load_b128 v[40:43], v31 offset:16
	ds_load_2addr_b32 v[54:55], v30 offset0:128 offset1:144
	ds_load_b128 v[44:47], v31 offset:528
	s_add_nc_u64 s[24:25], s[24:25], 8
	v_add_nc_u64_e32 v[22:23], 16, v[22:23]
	v_cmp_lt_i64_e64 s26, s[24:25], s[36:37]
	v_add_nc_u64_e32 v[24:25], s[10:11], v[24:25]
	s_and_b32 vcc_lo, exec_lo, s26
	s_wait_dscnt 0x7
	v_pk_fma_f32 v[18:19], v[26:27], v[32:33], v[18:19] op_sel_hi:[1,0,1]
	s_wait_dscnt 0x6
	v_pk_fma_f32 v[14:15], v[26:27], v[36:37], v[14:15] op_sel_hi:[1,0,1]
	ds_load_2addr_b32 v[26:27], v30 offset0:160 offset1:176
	s_wait_dscnt 0x6
	v_pk_fma_f32 v[18:19], v[48:49], v[32:33], v[18:19] op_sel:[0,1,0]
	v_pk_fma_f32 v[14:15], v[48:49], v[36:37], v[14:15] op_sel:[0,1,0]
	ds_load_2addr_b32 v[32:33], v30 offset0:192 offset1:208
	v_dual_mov_b32 v36, v35 :: v_dual_mov_b32 v48, v39
	s_wait_dscnt 0x6
	v_pk_fma_f32 v[18:19], v[50:51], v[34:35], v[18:19] op_sel_hi:[1,0,1]
	v_pk_fma_f32 v[14:15], v[50:51], v[38:39], v[14:15] op_sel_hi:[1,0,1]
	ds_load_2addr_b32 v[34:35], v30 offset0:224 offset1:240
	s_wait_dscnt 0x0
	s_barrier_signal -1
	v_pk_fma_f32 v[18:19], v[52:53], v[36:37], v[18:19] op_sel_hi:[1,0,1]
	v_pk_fma_f32 v[14:15], v[52:53], v[48:49], v[14:15] op_sel_hi:[1,0,1]
	s_barrier_wait -1
	v_mov_b32_e32 v36, v47
	s_delay_alu instid0(VALU_DEP_3) | instskip(NEXT) | instid1(VALU_DEP_3)
	v_pk_fma_f32 v[18:19], v[54:55], v[40:41], v[18:19] op_sel_hi:[1,0,1]
	v_pk_fma_f32 v[14:15], v[54:55], v[44:45], v[14:15] op_sel_hi:[1,0,1]
	s_delay_alu instid0(VALU_DEP_2) | instskip(NEXT) | instid1(VALU_DEP_2)
	v_pk_fma_f32 v[18:19], v[26:27], v[40:41], v[18:19] op_sel:[0,1,0]
	v_pk_fma_f32 v[14:15], v[26:27], v[44:45], v[14:15] op_sel:[0,1,0]
	v_mov_b32_e32 v26, v43
	s_delay_alu instid0(VALU_DEP_3) | instskip(NEXT) | instid1(VALU_DEP_3)
	v_pk_fma_f32 v[18:19], v[32:33], v[42:43], v[18:19] op_sel_hi:[1,0,1]
	v_pk_fma_f32 v[14:15], v[32:33], v[46:47], v[14:15] op_sel_hi:[1,0,1]
	s_delay_alu instid0(VALU_DEP_2) | instskip(NEXT) | instid1(VALU_DEP_2)
	v_pk_fma_f32 v[18:19], v[34:35], v[26:27], v[18:19] op_sel_hi:[1,0,1]
	v_pk_fma_f32 v[14:15], v[34:35], v[36:37], v[14:15] op_sel_hi:[1,0,1]
	s_cbranch_vccz .LBB130_11
.LBB130_7:                              ;   Parent Loop BB130_4 Depth=1
                                        ; =>  This Inner Loop Header: Depth=2
	v_add_nc_u64_e32 v[26:27], s[24:25], v[2:3]
	s_delay_alu instid0(VALU_DEP_1) | instskip(SKIP_2) | instid1(SALU_CYCLE_1)
	v_cmp_gt_i64_e32 vcc_lo, s[36:37], v[26:27]
	v_mov_b32_e32 v26, 0
	s_and_b32 s27, s0, vcc_lo
	s_and_saveexec_b32 s26, s27
	s_cbranch_execz .LBB130_9
; %bb.8:                                ;   in Loop: Header=BB130_7 Depth=2
	flat_load_u16 v26, v[24:25]
	s_wait_loadcnt_dscnt 0x0
	v_cvt_f32_f16_e32 v26, v26
.LBB130_9:                              ;   in Loop: Header=BB130_7 Depth=2
	s_wait_xcnt 0x0
	s_or_b32 exec_lo, exec_lo, s26
	v_add_nc_u64_e32 v[32:33], s[24:25], v[0:1]
	v_mov_b32_e32 v27, 0
	ds_store_b32 v28, v26
	v_cmp_gt_i64_e32 vcc_lo, s[36:37], v[32:33]
	s_and_b32 s27, vcc_lo, s1
	s_delay_alu instid0(SALU_CYCLE_1)
	s_and_saveexec_b32 s26, s27
	s_cbranch_execz .LBB130_6
; %bb.10:                               ;   in Loop: Header=BB130_7 Depth=2
	flat_load_u16 v26, v[22:23]
	s_wait_loadcnt_dscnt 0x0
	v_cvt_f32_f16_e32 v27, v26
	s_branch .LBB130_6
.LBB130_11:                             ;   in Loop: Header=BB130_4 Depth=1
	s_wait_loadcnt 0x0
	v_add_nc_u64_e32 v[20:21], s[18:19], v[20:21]
	s_and_not1_b32 vcc_lo, exec_lo, s39
	s_cbranch_vccnz .LBB130_16
; %bb.12:                               ;   in Loop: Header=BB130_4 Depth=1
	s_and_saveexec_b32 s24, s2
	s_cbranch_execz .LBB130_23
; %bb.13:                               ;   in Loop: Header=BB130_4 Depth=1
	s_delay_alu instid0(VALU_DEP_1) | instskip(NEXT) | instid1(VALU_DEP_1)
	v_lshl_add_u64 v[22:23], v[6:7], 2, v[20:21]
	v_lshl_add_u64 v[24:25], v[4:5], 2, v[22:23]
	s_and_saveexec_b32 s25, s3
	s_cbranch_execnz .LBB130_17
; %bb.14:                               ;   in Loop: Header=BB130_4 Depth=1
	s_or_b32 exec_lo, exec_lo, s25
	s_and_saveexec_b32 s25, s4
	s_cbranch_execnz .LBB130_18
.LBB130_15:                             ;   in Loop: Header=BB130_4 Depth=1
	s_or_b32 exec_lo, exec_lo, s25
	s_delay_alu instid0(SALU_CYCLE_1)
	s_and_b32 exec_lo, exec_lo, s5
	s_cbranch_execnz .LBB130_19
	s_branch .LBB130_23
.LBB130_16:                             ;   in Loop: Header=BB130_4 Depth=1
	s_branch .LBB130_24
.LBB130_17:                             ;   in Loop: Header=BB130_4 Depth=1
	v_mul_f32_e32 v26, s38, v18
	flat_store_b32 v[24:25], v26
	s_wait_xcnt 0x0
	s_or_b32 exec_lo, exec_lo, s25
	s_and_saveexec_b32 s25, s4
	s_cbranch_execz .LBB130_15
.LBB130_18:                             ;   in Loop: Header=BB130_4 Depth=1
	v_mul_f32_e32 v26, s38, v19
	flat_store_b32 v[24:25], v26 offset:64
	s_wait_xcnt 0x0
	s_or_b32 exec_lo, exec_lo, s25
	s_delay_alu instid0(SALU_CYCLE_1)
	s_and_b32 exec_lo, exec_lo, s5
	s_cbranch_execz .LBB130_23
.LBB130_19:                             ;   in Loop: Header=BB130_4 Depth=1
	v_lshl_add_u64 v[22:23], s[6:7], 2, v[22:23]
	s_delay_alu instid0(VALU_DEP_1)
	v_lshl_add_u64 v[22:23], v[4:5], 2, v[22:23]
	s_and_saveexec_b32 s25, s3
	s_cbranch_execz .LBB130_21
; %bb.20:                               ;   in Loop: Header=BB130_4 Depth=1
	v_mul_f32_e32 v24, s38, v14
	flat_store_b32 v[22:23], v24
.LBB130_21:                             ;   in Loop: Header=BB130_4 Depth=1
	s_wait_xcnt 0x0
	s_or_b32 exec_lo, exec_lo, s25
	s_delay_alu instid0(SALU_CYCLE_1)
	s_and_b32 exec_lo, exec_lo, s4
	s_cbranch_execz .LBB130_23
; %bb.22:                               ;   in Loop: Header=BB130_4 Depth=1
	v_mul_f32_e32 v24, s38, v15
	flat_store_b32 v[22:23], v24 offset:64
.LBB130_23:                             ;   in Loop: Header=BB130_4 Depth=1
	s_wait_xcnt 0x0
	s_or_b32 exec_lo, exec_lo, s24
	s_cbranch_execnz .LBB130_3
.LBB130_24:                             ;   in Loop: Header=BB130_4 Depth=1
	s_and_saveexec_b32 s24, s2
	s_cbranch_execz .LBB130_2
; %bb.25:                               ;   in Loop: Header=BB130_4 Depth=1
	v_add_nc_u64_e32 v[22:23], s[20:21], v[16:17]
	v_lshlrev_b64_e32 v[16:17], 2, v[4:5]
	v_lshl_add_u64 v[20:21], v[6:7], 2, v[20:21]
	s_delay_alu instid0(VALU_DEP_3) | instskip(NEXT) | instid1(VALU_DEP_2)
	v_lshl_add_u64 v[22:23], v[8:9], 2, v[22:23]
	v_add_nc_u64_e32 v[24:25], v[20:21], v[16:17]
	s_delay_alu instid0(VALU_DEP_2)
	v_add_nc_u64_e32 v[26:27], v[22:23], v[16:17]
	s_and_saveexec_b32 s25, s3
	s_cbranch_execnz .LBB130_28
; %bb.26:                               ;   in Loop: Header=BB130_4 Depth=1
	s_or_b32 exec_lo, exec_lo, s25
	s_and_saveexec_b32 s25, s4
	s_cbranch_execnz .LBB130_29
.LBB130_27:                             ;   in Loop: Header=BB130_4 Depth=1
	s_or_b32 exec_lo, exec_lo, s25
	s_delay_alu instid0(SALU_CYCLE_1)
	s_and_b32 exec_lo, exec_lo, s5
	s_cbranch_execz .LBB130_2
	s_branch .LBB130_30
.LBB130_28:                             ;   in Loop: Header=BB130_4 Depth=1
	flat_load_b32 v33, v[26:27]
	v_mov_b64_e32 v[34:35], s[40:41]
	v_mov_b32_e32 v32, v18
	s_wait_loadcnt_dscnt 0x0
	s_delay_alu instid0(VALU_DEP_1) | instskip(NEXT) | instid1(VALU_DEP_1)
	v_pk_mul_f32 v[32:33], v[34:35], v[32:33]
	v_add_f32_e32 v18, v32, v33
	flat_store_b32 v[24:25], v18
	s_wait_xcnt 0x0
	s_or_b32 exec_lo, exec_lo, s25
	s_and_saveexec_b32 s25, s4
	s_cbranch_execz .LBB130_27
.LBB130_29:                             ;   in Loop: Header=BB130_4 Depth=1
	flat_load_b32 v27, v[26:27] offset:64
	s_wait_xcnt 0x0
	v_mov_b32_e32 v26, v19
	v_mov_b64_e32 v[18:19], s[40:41]
	s_wait_loadcnt_dscnt 0x0
	s_delay_alu instid0(VALU_DEP_1) | instskip(NEXT) | instid1(VALU_DEP_1)
	v_pk_mul_f32 v[18:19], v[18:19], v[26:27]
	v_add_f32_e32 v18, v18, v19
	flat_store_b32 v[24:25], v18 offset:64
	s_wait_xcnt 0x0
	s_or_b32 exec_lo, exec_lo, s25
	s_delay_alu instid0(SALU_CYCLE_1)
	s_and_b32 exec_lo, exec_lo, s5
	s_cbranch_execz .LBB130_2
.LBB130_30:                             ;   in Loop: Header=BB130_4 Depth=1
	v_lshl_add_u64 v[18:19], s[12:13], 2, v[22:23]
	v_lshl_add_u64 v[20:21], s[6:7], 2, v[20:21]
	s_delay_alu instid0(VALU_DEP_2) | instskip(NEXT) | instid1(VALU_DEP_2)
	v_add_nc_u64_e32 v[18:19], v[18:19], v[16:17]
	v_add_nc_u64_e32 v[16:17], v[20:21], v[16:17]
	s_and_saveexec_b32 s25, s3
	s_cbranch_execz .LBB130_32
; %bb.31:                               ;   in Loop: Header=BB130_4 Depth=1
	flat_load_b32 v21, v[18:19]
	v_mov_b64_e32 v[22:23], s[40:41]
	v_mov_b32_e32 v20, v14
	s_wait_loadcnt_dscnt 0x0
	s_delay_alu instid0(VALU_DEP_1) | instskip(NEXT) | instid1(VALU_DEP_1)
	v_pk_mul_f32 v[20:21], v[22:23], v[20:21]
	v_add_f32_e32 v14, v20, v21
	flat_store_b32 v[16:17], v14
.LBB130_32:                             ;   in Loop: Header=BB130_4 Depth=1
	s_wait_xcnt 0x0
	s_or_b32 exec_lo, exec_lo, s25
	s_delay_alu instid0(SALU_CYCLE_1)
	s_and_b32 exec_lo, exec_lo, s4
	s_cbranch_execz .LBB130_2
; %bb.33:                               ;   in Loop: Header=BB130_4 Depth=1
	flat_load_b32 v19, v[18:19] offset:64
	s_wait_xcnt 0x0
	v_mov_b32_e32 v18, v15
	v_mov_b64_e32 v[14:15], s[40:41]
	s_wait_loadcnt_dscnt 0x0
	s_delay_alu instid0(VALU_DEP_1) | instskip(NEXT) | instid1(VALU_DEP_1)
	v_pk_mul_f32 v[14:15], v[14:15], v[18:19]
	v_add_f32_e32 v14, v14, v15
	flat_store_b32 v[16:17], v14 offset:64
	s_branch .LBB130_2
.LBB130_34:
	s_endpgm
	.section	.rodata,"a",@progbits
	.p2align	6, 0x0
	.amdhsa_kernel _ZN12_GLOBAL__N_135rocblas_gemm_batched_general_kernelIfLi16ELi16ELi32ELi32ELi8ELi32ELi8ELi8ELi32ELc78ELc78EKPKDF16_KPKfKPfEEvlllT_PT11_llSB_llS9_PT12_llPT13_lli
		.amdhsa_group_segment_fixed_size 2048
		.amdhsa_private_segment_fixed_size 0
		.amdhsa_kernarg_size 140
		.amdhsa_user_sgpr_count 2
		.amdhsa_user_sgpr_dispatch_ptr 0
		.amdhsa_user_sgpr_queue_ptr 0
		.amdhsa_user_sgpr_kernarg_segment_ptr 1
		.amdhsa_user_sgpr_dispatch_id 0
		.amdhsa_user_sgpr_kernarg_preload_length 0
		.amdhsa_user_sgpr_kernarg_preload_offset 0
		.amdhsa_user_sgpr_private_segment_size 0
		.amdhsa_wavefront_size32 1
		.amdhsa_uses_dynamic_stack 0
		.amdhsa_enable_private_segment 0
		.amdhsa_system_sgpr_workgroup_id_x 1
		.amdhsa_system_sgpr_workgroup_id_y 1
		.amdhsa_system_sgpr_workgroup_id_z 1
		.amdhsa_system_sgpr_workgroup_info 0
		.amdhsa_system_vgpr_workitem_id 1
		.amdhsa_next_free_vgpr 56
		.amdhsa_next_free_sgpr 44
		.amdhsa_named_barrier_count 0
		.amdhsa_reserve_vcc 1
		.amdhsa_float_round_mode_32 0
		.amdhsa_float_round_mode_16_64 0
		.amdhsa_float_denorm_mode_32 3
		.amdhsa_float_denorm_mode_16_64 3
		.amdhsa_fp16_overflow 0
		.amdhsa_memory_ordered 1
		.amdhsa_forward_progress 1
		.amdhsa_inst_pref_size 15
		.amdhsa_round_robin_scheduling 0
		.amdhsa_exception_fp_ieee_invalid_op 0
		.amdhsa_exception_fp_denorm_src 0
		.amdhsa_exception_fp_ieee_div_zero 0
		.amdhsa_exception_fp_ieee_overflow 0
		.amdhsa_exception_fp_ieee_underflow 0
		.amdhsa_exception_fp_ieee_inexact 0
		.amdhsa_exception_int_div_zero 0
	.end_amdhsa_kernel
	.section	.text._ZN12_GLOBAL__N_135rocblas_gemm_batched_general_kernelIfLi16ELi16ELi32ELi32ELi8ELi32ELi8ELi8ELi32ELc78ELc78EKPKDF16_KPKfKPfEEvlllT_PT11_llSB_llS9_PT12_llPT13_lli,"axG",@progbits,_ZN12_GLOBAL__N_135rocblas_gemm_batched_general_kernelIfLi16ELi16ELi32ELi32ELi8ELi32ELi8ELi8ELi32ELc78ELc78EKPKDF16_KPKfKPfEEvlllT_PT11_llSB_llS9_PT12_llPT13_lli,comdat
.Lfunc_end130:
	.size	_ZN12_GLOBAL__N_135rocblas_gemm_batched_general_kernelIfLi16ELi16ELi32ELi32ELi8ELi32ELi8ELi8ELi32ELc78ELc78EKPKDF16_KPKfKPfEEvlllT_PT11_llSB_llS9_PT12_llPT13_lli, .Lfunc_end130-_ZN12_GLOBAL__N_135rocblas_gemm_batched_general_kernelIfLi16ELi16ELi32ELi32ELi8ELi32ELi8ELi8ELi32ELc78ELc78EKPKDF16_KPKfKPfEEvlllT_PT11_llSB_llS9_PT12_llPT13_lli
                                        ; -- End function
	.set _ZN12_GLOBAL__N_135rocblas_gemm_batched_general_kernelIfLi16ELi16ELi32ELi32ELi8ELi32ELi8ELi8ELi32ELc78ELc78EKPKDF16_KPKfKPfEEvlllT_PT11_llSB_llS9_PT12_llPT13_lli.num_vgpr, 56
	.set _ZN12_GLOBAL__N_135rocblas_gemm_batched_general_kernelIfLi16ELi16ELi32ELi32ELi8ELi32ELi8ELi8ELi32ELc78ELc78EKPKDF16_KPKfKPfEEvlllT_PT11_llSB_llS9_PT12_llPT13_lli.num_agpr, 0
	.set _ZN12_GLOBAL__N_135rocblas_gemm_batched_general_kernelIfLi16ELi16ELi32ELi32ELi8ELi32ELi8ELi8ELi32ELc78ELc78EKPKDF16_KPKfKPfEEvlllT_PT11_llSB_llS9_PT12_llPT13_lli.numbered_sgpr, 44
	.set _ZN12_GLOBAL__N_135rocblas_gemm_batched_general_kernelIfLi16ELi16ELi32ELi32ELi8ELi32ELi8ELi8ELi32ELc78ELc78EKPKDF16_KPKfKPfEEvlllT_PT11_llSB_llS9_PT12_llPT13_lli.num_named_barrier, 0
	.set _ZN12_GLOBAL__N_135rocblas_gemm_batched_general_kernelIfLi16ELi16ELi32ELi32ELi8ELi32ELi8ELi8ELi32ELc78ELc78EKPKDF16_KPKfKPfEEvlllT_PT11_llSB_llS9_PT12_llPT13_lli.private_seg_size, 0
	.set _ZN12_GLOBAL__N_135rocblas_gemm_batched_general_kernelIfLi16ELi16ELi32ELi32ELi8ELi32ELi8ELi8ELi32ELc78ELc78EKPKDF16_KPKfKPfEEvlllT_PT11_llSB_llS9_PT12_llPT13_lli.uses_vcc, 1
	.set _ZN12_GLOBAL__N_135rocblas_gemm_batched_general_kernelIfLi16ELi16ELi32ELi32ELi8ELi32ELi8ELi8ELi32ELc78ELc78EKPKDF16_KPKfKPfEEvlllT_PT11_llSB_llS9_PT12_llPT13_lli.uses_flat_scratch, 0
	.set _ZN12_GLOBAL__N_135rocblas_gemm_batched_general_kernelIfLi16ELi16ELi32ELi32ELi8ELi32ELi8ELi8ELi32ELc78ELc78EKPKDF16_KPKfKPfEEvlllT_PT11_llSB_llS9_PT12_llPT13_lli.has_dyn_sized_stack, 0
	.set _ZN12_GLOBAL__N_135rocblas_gemm_batched_general_kernelIfLi16ELi16ELi32ELi32ELi8ELi32ELi8ELi8ELi32ELc78ELc78EKPKDF16_KPKfKPfEEvlllT_PT11_llSB_llS9_PT12_llPT13_lli.has_recursion, 0
	.set _ZN12_GLOBAL__N_135rocblas_gemm_batched_general_kernelIfLi16ELi16ELi32ELi32ELi8ELi32ELi8ELi8ELi32ELc78ELc78EKPKDF16_KPKfKPfEEvlllT_PT11_llSB_llS9_PT12_llPT13_lli.has_indirect_call, 0
	.section	.AMDGPU.csdata,"",@progbits
; Kernel info:
; codeLenInByte = 1836
; TotalNumSgprs: 46
; NumVgprs: 56
; ScratchSize: 0
; MemoryBound: 0
; FloatMode: 240
; IeeeMode: 1
; LDSByteSize: 2048 bytes/workgroup (compile time only)
; SGPRBlocks: 0
; VGPRBlocks: 3
; NumSGPRsForWavesPerEU: 46
; NumVGPRsForWavesPerEU: 56
; NamedBarCnt: 0
; Occupancy: 16
; WaveLimiterHint : 1
; COMPUTE_PGM_RSRC2:SCRATCH_EN: 0
; COMPUTE_PGM_RSRC2:USER_SGPR: 2
; COMPUTE_PGM_RSRC2:TRAP_HANDLER: 0
; COMPUTE_PGM_RSRC2:TGID_X_EN: 1
; COMPUTE_PGM_RSRC2:TGID_Y_EN: 1
; COMPUTE_PGM_RSRC2:TGID_Z_EN: 1
; COMPUTE_PGM_RSRC2:TIDIG_COMP_CNT: 1
	.section	.text._ZN12_GLOBAL__N_135rocblas_gemm_batched_general_kernelIfLi16ELi16ELi32ELi32ELi8ELi32ELi8ELi8ELi32ELc84ELc78EKPKDF16_KPKfKPfEEvlllT_PT11_llSB_llS9_PT12_llPT13_lli,"axG",@progbits,_ZN12_GLOBAL__N_135rocblas_gemm_batched_general_kernelIfLi16ELi16ELi32ELi32ELi8ELi32ELi8ELi8ELi32ELc84ELc78EKPKDF16_KPKfKPfEEvlllT_PT11_llSB_llS9_PT12_llPT13_lli,comdat
	.globl	_ZN12_GLOBAL__N_135rocblas_gemm_batched_general_kernelIfLi16ELi16ELi32ELi32ELi8ELi32ELi8ELi8ELi32ELc84ELc78EKPKDF16_KPKfKPfEEvlllT_PT11_llSB_llS9_PT12_llPT13_lli ; -- Begin function _ZN12_GLOBAL__N_135rocblas_gemm_batched_general_kernelIfLi16ELi16ELi32ELi32ELi8ELi32ELi8ELi8ELi32ELc84ELc78EKPKDF16_KPKfKPfEEvlllT_PT11_llSB_llS9_PT12_llPT13_lli
	.p2align	8
	.type	_ZN12_GLOBAL__N_135rocblas_gemm_batched_general_kernelIfLi16ELi16ELi32ELi32ELi8ELi32ELi8ELi8ELi32ELc84ELc78EKPKDF16_KPKfKPfEEvlllT_PT11_llSB_llS9_PT12_llPT13_lli,@function
_ZN12_GLOBAL__N_135rocblas_gemm_batched_general_kernelIfLi16ELi16ELi32ELi32ELi8ELi32ELi8ELi8ELi32ELc84ELc78EKPKDF16_KPKfKPfEEvlllT_PT11_llSB_llS9_PT12_llPT13_lli: ; @_ZN12_GLOBAL__N_135rocblas_gemm_batched_general_kernelIfLi16ELi16ELi32ELi32ELi8ELi32ELi8ELi8ELi32ELc84ELc78EKPKDF16_KPKfKPfEEvlllT_PT11_llSB_llS9_PT12_llPT13_lli
; %bb.0:
	s_load_b32 s33, s[0:1], 0x88
	s_bfe_u32 s2, ttmp6, 0x40014
	s_lshr_b32 s3, ttmp7, 16
	s_add_co_i32 s2, s2, 1
	s_bfe_u32 s5, ttmp6, 0x40008
	s_mul_i32 s4, s3, s2
	s_getreg_b32 s2, hwreg(HW_REG_IB_STS2, 6, 4)
	s_add_co_i32 s5, s5, s4
	s_cmp_eq_u32 s2, 0
	s_mov_b32 s35, 0
	s_cselect_b32 s34, s3, s5
	s_wait_kmcnt 0x0
	s_cmp_ge_i32 s34, s33
	s_cbranch_scc1 .LBB131_34
; %bb.1:
	v_bfe_u32 v10, v0, 10, 10
	v_and_b32_e32 v12, 0x3ff, v0
	s_bfe_u32 s16, ttmp6, 0x4000c
	s_bfe_u32 s17, ttmp6, 0x40010
	s_clause 0x3
	s_load_b128 s[4:7], s[0:1], 0x0
	s_load_b256 s[8:15], s[0:1], 0x20
	s_load_b128 s[24:27], s[0:1], 0x40
	s_load_b32 s41, s[0:1], 0x50
	s_add_co_i32 s16, s16, 1
	s_and_b32 s18, ttmp7, 0xffff
	s_add_co_i32 s17, s17, 1
	v_lshl_add_u32 v3, v10, 4, v12
	v_mov_b32_e32 v1, 0
	s_and_b32 s3, ttmp6, 15
	s_mul_i32 s16, ttmp9, s16
	s_mul_i32 s17, s18, s17
	s_bfe_u32 s19, ttmp6, 0x40004
	s_add_co_i32 s3, s3, s16
	s_add_co_i32 s19, s19, s17
	s_cmp_eq_u32 s2, 0
	v_dual_mov_b32 v7, v1 :: v_dual_lshrrev_b32 v6, 3, v3
	v_and_b32_e32 v8, 31, v3
	s_cselect_b32 s16, s18, s19
	s_cselect_b32 s2, ttmp9, s3
	s_lshl_b32 s42, s16, 5
	s_mov_b32 s43, s35
	s_ashr_i32 s3, s2, 31
	v_add_nc_u64_e32 v[14:15], s[42:43], v[6:7]
	s_clause 0x1
	s_load_b128 s[28:31], s[0:1], 0x78
	s_load_b256 s[16:23], s[0:1], 0x58
	s_lshl_b64 s[2:3], s[2:3], 5
	v_dual_mov_b32 v11, v1 :: v_dual_bitop2_b32 v2, 7, v0 bitop3:0x40
	v_dual_mov_b32 v5, s3 :: v_dual_bitop2_b32 v4, s2, v8 bitop3:0x54
	s_wait_kmcnt 0x0
	v_mul_u64_e32 v[16:17], s[24:25], v[14:15]
	s_delay_alu instid0(VALU_DEP_3)
	v_add_nc_u64_e32 v[20:21], s[42:43], v[10:11]
	v_dual_mov_b32 v13, v1 :: v_dual_lshrrev_b32 v0, 5, v3
	v_mul_u64_e32 v[18:19], s[10:11], v[4:5]
	v_dual_lshlrev_b32 v7, 2, v2 :: v_dual_mov_b32 v3, v1
	s_load_b96 s[36:38], s[0:1], 0x10
	s_wait_xcnt 0x0
	v_cmp_gt_i64_e64 s0, s[4:5], v[4:5]
	v_lshlrev_b32_e32 v11, 2, v8
	v_add_nc_u64_e32 v[4:5], s[2:3], v[12:13]
	v_lshl_or_b32 v13, v6, 5, v7
	v_cmp_gt_i64_e64 s1, s[6:7], v[14:15]
	v_mul_u64_e32 v[6:7], s[28:29], v[20:21]
	v_mul_u64_e32 v[8:9], s[18:19], v[20:21]
	s_cmp_eq_f32 s41, 0
	v_add_nc_u32_e32 v29, 0x400, v13
	v_add_nc_u64_e32 v[14:15], 16, v[4:5]
	v_lshlrev_b32_e32 v30, 2, v12
	s_cselect_b32 s24, -1, 0
	s_lshl_b64 s[10:11], s[26:27], 1
	v_lshl_add_u32 v31, v10, 5, 0x400
	v_cmp_gt_i64_e64 s3, s[4:5], v[4:5]
	v_cmp_gt_i64_e64 s2, s[6:7], v[20:21]
	;; [unrolled: 1-line block ×3, first 2 shown]
	v_lshlrev_b32_e32 v14, 1, v2
	v_lshl_or_b32 v28, v0, 7, v11
	v_add_nc_u64_e32 v[10:11], 16, v[20:21]
	v_mov_b32_e32 v15, v1
	s_wait_kmcnt 0x0
	v_cmp_gt_i64_e64 s25, s[36:37], 0
	s_mov_b32 s40, s38
	v_lshl_add_u64 v[12:13], v[16:17], 1, s[10:11]
	s_lshl_b64 s[10:11], s[12:13], 1
	v_cmp_gt_i64_e64 s5, s[6:7], v[10:11]
	s_lshl_b64 s[6:7], s[28:29], 4
	v_lshl_add_u64 v[16:17], v[18:19], 1, s[10:11]
	v_dual_mov_b32 v19, v1 :: v_dual_lshlrev_b32 v18, 1, v0
	v_add_nc_u64_e32 v[10:11], v[12:13], v[14:15]
	s_lshl_b64 s[10:11], s[18:19], 4
	s_lshl_b64 s[12:13], s[30:31], 2
	;; [unrolled: 1-line block ×3, first 2 shown]
	v_add_nc_u64_e32 v[12:13], v[16:17], v[18:19]
	s_branch .LBB131_4
.LBB131_2:                              ;   in Loop: Header=BB131_4 Depth=1
	s_wait_xcnt 0x0
	s_or_b32 exec_lo, exec_lo, s20
.LBB131_3:                              ;   in Loop: Header=BB131_4 Depth=1
	s_add_co_i32 s34, s34, 0x10000
	s_delay_alu instid0(SALU_CYCLE_1)
	s_cmp_lt_i32 s34, s33
	s_cbranch_scc0 .LBB131_34
.LBB131_4:                              ; =>This Loop Header: Depth=1
                                        ;     Child Loop BB131_7 Depth 2
	v_dual_mov_b32 v14, s34 :: v_dual_mov_b32 v19, 0
	v_dual_mov_b32 v18, 0 :: v_dual_mov_b32 v15, 0
	s_and_not1_b32 vcc_lo, exec_lo, s25
	s_clause 0x1
	global_load_b64 v[16:17], v14, s[16:17] scale_offset
	global_load_b64 v[20:21], v14, s[22:23] scale_offset
	s_wait_xcnt 0x0
	v_mov_b32_e32 v14, 0
	s_cbranch_vccnz .LBB131_11
; %bb.5:                                ;   in Loop: Header=BB131_4 Depth=1
	s_lshl_b64 s[20:21], s[34:35], 3
	v_mov_b32_e32 v18, 0
	s_add_nc_u64 s[26:27], s[14:15], s[20:21]
	s_add_nc_u64 s[20:21], s[8:9], s[20:21]
	s_clause 0x1
	global_load_b64 v[14:15], v1, s[26:27]
	global_load_b64 v[24:25], v1, s[20:21]
	s_wait_xcnt 0x0
	s_mov_b64 s[20:21], 0
	v_mov_b32_e32 v19, v18
	s_wait_loadcnt 0x1
	v_add_nc_u64_e32 v[22:23], v[14:15], v[10:11]
	s_wait_loadcnt 0x0
	v_add_nc_u64_e32 v[24:25], v[24:25], v[12:13]
	v_dual_mov_b32 v14, v18 :: v_dual_mov_b32 v15, v18
	s_branch .LBB131_7
.LBB131_6:                              ;   in Loop: Header=BB131_7 Depth=2
	s_wait_xcnt 0x0
	s_or_b32 exec_lo, exec_lo, s26
	ds_store_b32 v29, v27
	s_wait_dscnt 0x0
	s_barrier_signal -1
	s_barrier_wait -1
	ds_load_b128 v[32:35], v31
	ds_load_2addr_b32 v[26:27], v30 offset1:16
	ds_load_b128 v[36:39], v31 offset:512
	ds_load_2addr_b32 v[48:49], v30 offset0:32 offset1:48
	ds_load_2addr_b32 v[50:51], v30 offset0:64 offset1:80
	;; [unrolled: 1-line block ×3, first 2 shown]
	ds_load_b128 v[40:43], v31 offset:16
	ds_load_2addr_b32 v[54:55], v30 offset0:128 offset1:144
	ds_load_b128 v[44:47], v31 offset:528
	s_add_nc_u64 s[20:21], s[20:21], 8
	v_add_nc_u64_e32 v[22:23], 16, v[22:23]
	v_cmp_lt_i64_e64 s26, s[20:21], s[36:37]
	v_add_nc_u64_e32 v[24:25], 16, v[24:25]
	s_and_b32 vcc_lo, exec_lo, s26
	s_wait_dscnt 0x7
	v_pk_fma_f32 v[18:19], v[26:27], v[32:33], v[18:19] op_sel_hi:[1,0,1]
	s_wait_dscnt 0x6
	v_pk_fma_f32 v[14:15], v[26:27], v[36:37], v[14:15] op_sel_hi:[1,0,1]
	ds_load_2addr_b32 v[26:27], v30 offset0:160 offset1:176
	s_wait_dscnt 0x6
	v_pk_fma_f32 v[18:19], v[48:49], v[32:33], v[18:19] op_sel:[0,1,0]
	v_pk_fma_f32 v[14:15], v[48:49], v[36:37], v[14:15] op_sel:[0,1,0]
	ds_load_2addr_b32 v[32:33], v30 offset0:192 offset1:208
	v_dual_mov_b32 v36, v35 :: v_dual_mov_b32 v48, v39
	s_wait_dscnt 0x6
	v_pk_fma_f32 v[18:19], v[50:51], v[34:35], v[18:19] op_sel_hi:[1,0,1]
	v_pk_fma_f32 v[14:15], v[50:51], v[38:39], v[14:15] op_sel_hi:[1,0,1]
	ds_load_2addr_b32 v[34:35], v30 offset0:224 offset1:240
	s_wait_dscnt 0x0
	s_barrier_signal -1
	v_pk_fma_f32 v[18:19], v[52:53], v[36:37], v[18:19] op_sel_hi:[1,0,1]
	v_pk_fma_f32 v[14:15], v[52:53], v[48:49], v[14:15] op_sel_hi:[1,0,1]
	s_barrier_wait -1
	v_mov_b32_e32 v36, v47
	s_delay_alu instid0(VALU_DEP_3) | instskip(NEXT) | instid1(VALU_DEP_3)
	v_pk_fma_f32 v[18:19], v[54:55], v[40:41], v[18:19] op_sel_hi:[1,0,1]
	v_pk_fma_f32 v[14:15], v[54:55], v[44:45], v[14:15] op_sel_hi:[1,0,1]
	s_delay_alu instid0(VALU_DEP_2) | instskip(NEXT) | instid1(VALU_DEP_2)
	v_pk_fma_f32 v[18:19], v[26:27], v[40:41], v[18:19] op_sel:[0,1,0]
	v_pk_fma_f32 v[14:15], v[26:27], v[44:45], v[14:15] op_sel:[0,1,0]
	v_mov_b32_e32 v26, v43
	s_delay_alu instid0(VALU_DEP_3) | instskip(NEXT) | instid1(VALU_DEP_3)
	v_pk_fma_f32 v[18:19], v[32:33], v[42:43], v[18:19] op_sel_hi:[1,0,1]
	v_pk_fma_f32 v[14:15], v[32:33], v[46:47], v[14:15] op_sel_hi:[1,0,1]
	s_delay_alu instid0(VALU_DEP_2) | instskip(NEXT) | instid1(VALU_DEP_2)
	v_pk_fma_f32 v[18:19], v[34:35], v[26:27], v[18:19] op_sel_hi:[1,0,1]
	v_pk_fma_f32 v[14:15], v[34:35], v[36:37], v[14:15] op_sel_hi:[1,0,1]
	s_cbranch_vccz .LBB131_11
.LBB131_7:                              ;   Parent Loop BB131_4 Depth=1
                                        ; =>  This Inner Loop Header: Depth=2
	v_add_nc_u64_e32 v[26:27], s[20:21], v[0:1]
	s_delay_alu instid0(VALU_DEP_1) | instskip(SKIP_2) | instid1(SALU_CYCLE_1)
	v_cmp_gt_i64_e32 vcc_lo, s[36:37], v[26:27]
	v_mov_b32_e32 v26, 0
	s_and_b32 s27, s0, vcc_lo
	s_and_saveexec_b32 s26, s27
	s_cbranch_execz .LBB131_9
; %bb.8:                                ;   in Loop: Header=BB131_7 Depth=2
	flat_load_u16 v26, v[24:25]
	s_wait_loadcnt_dscnt 0x0
	v_cvt_f32_f16_e32 v26, v26
.LBB131_9:                              ;   in Loop: Header=BB131_7 Depth=2
	s_wait_xcnt 0x0
	s_or_b32 exec_lo, exec_lo, s26
	v_add_nc_u64_e32 v[32:33], s[20:21], v[2:3]
	v_mov_b32_e32 v27, 0
	ds_store_b32 v28, v26
	v_cmp_gt_i64_e32 vcc_lo, s[36:37], v[32:33]
	s_and_b32 s27, vcc_lo, s1
	s_delay_alu instid0(SALU_CYCLE_1)
	s_and_saveexec_b32 s26, s27
	s_cbranch_execz .LBB131_6
; %bb.10:                               ;   in Loop: Header=BB131_7 Depth=2
	flat_load_u16 v26, v[22:23]
	s_wait_loadcnt_dscnt 0x0
	v_cvt_f32_f16_e32 v27, v26
	s_branch .LBB131_6
.LBB131_11:                             ;   in Loop: Header=BB131_4 Depth=1
	s_wait_loadcnt 0x0
	v_add_nc_u64_e32 v[20:21], s[12:13], v[20:21]
	s_and_not1_b32 vcc_lo, exec_lo, s24
	s_cbranch_vccnz .LBB131_16
; %bb.12:                               ;   in Loop: Header=BB131_4 Depth=1
	s_and_saveexec_b32 s20, s2
	s_cbranch_execz .LBB131_23
; %bb.13:                               ;   in Loop: Header=BB131_4 Depth=1
	s_delay_alu instid0(VALU_DEP_1) | instskip(NEXT) | instid1(VALU_DEP_1)
	v_lshl_add_u64 v[22:23], v[6:7], 2, v[20:21]
	v_lshl_add_u64 v[24:25], v[4:5], 2, v[22:23]
	s_and_saveexec_b32 s21, s3
	s_cbranch_execnz .LBB131_17
; %bb.14:                               ;   in Loop: Header=BB131_4 Depth=1
	s_or_b32 exec_lo, exec_lo, s21
	s_and_saveexec_b32 s21, s4
	s_cbranch_execnz .LBB131_18
.LBB131_15:                             ;   in Loop: Header=BB131_4 Depth=1
	s_or_b32 exec_lo, exec_lo, s21
	s_delay_alu instid0(SALU_CYCLE_1)
	s_and_b32 exec_lo, exec_lo, s5
	s_cbranch_execnz .LBB131_19
	s_branch .LBB131_23
.LBB131_16:                             ;   in Loop: Header=BB131_4 Depth=1
	s_branch .LBB131_24
.LBB131_17:                             ;   in Loop: Header=BB131_4 Depth=1
	v_mul_f32_e32 v26, s38, v18
	flat_store_b32 v[24:25], v26
	s_wait_xcnt 0x0
	s_or_b32 exec_lo, exec_lo, s21
	s_and_saveexec_b32 s21, s4
	s_cbranch_execz .LBB131_15
.LBB131_18:                             ;   in Loop: Header=BB131_4 Depth=1
	v_mul_f32_e32 v26, s38, v19
	flat_store_b32 v[24:25], v26 offset:64
	s_wait_xcnt 0x0
	s_or_b32 exec_lo, exec_lo, s21
	s_delay_alu instid0(SALU_CYCLE_1)
	s_and_b32 exec_lo, exec_lo, s5
	s_cbranch_execz .LBB131_23
.LBB131_19:                             ;   in Loop: Header=BB131_4 Depth=1
	v_lshl_add_u64 v[22:23], s[6:7], 2, v[22:23]
	s_delay_alu instid0(VALU_DEP_1)
	v_lshl_add_u64 v[22:23], v[4:5], 2, v[22:23]
	s_and_saveexec_b32 s21, s3
	s_cbranch_execz .LBB131_21
; %bb.20:                               ;   in Loop: Header=BB131_4 Depth=1
	v_mul_f32_e32 v24, s38, v14
	flat_store_b32 v[22:23], v24
.LBB131_21:                             ;   in Loop: Header=BB131_4 Depth=1
	s_wait_xcnt 0x0
	s_or_b32 exec_lo, exec_lo, s21
	s_delay_alu instid0(SALU_CYCLE_1)
	s_and_b32 exec_lo, exec_lo, s4
	s_cbranch_execz .LBB131_23
; %bb.22:                               ;   in Loop: Header=BB131_4 Depth=1
	v_mul_f32_e32 v24, s38, v15
	flat_store_b32 v[22:23], v24 offset:64
.LBB131_23:                             ;   in Loop: Header=BB131_4 Depth=1
	s_wait_xcnt 0x0
	s_or_b32 exec_lo, exec_lo, s20
	s_cbranch_execnz .LBB131_3
.LBB131_24:                             ;   in Loop: Header=BB131_4 Depth=1
	s_and_saveexec_b32 s20, s2
	s_cbranch_execz .LBB131_2
; %bb.25:                               ;   in Loop: Header=BB131_4 Depth=1
	v_add_nc_u64_e32 v[22:23], s[18:19], v[16:17]
	v_lshlrev_b64_e32 v[16:17], 2, v[4:5]
	v_lshl_add_u64 v[20:21], v[6:7], 2, v[20:21]
	s_delay_alu instid0(VALU_DEP_3) | instskip(NEXT) | instid1(VALU_DEP_2)
	v_lshl_add_u64 v[22:23], v[8:9], 2, v[22:23]
	v_add_nc_u64_e32 v[24:25], v[20:21], v[16:17]
	s_delay_alu instid0(VALU_DEP_2)
	v_add_nc_u64_e32 v[26:27], v[22:23], v[16:17]
	s_and_saveexec_b32 s21, s3
	s_cbranch_execnz .LBB131_28
; %bb.26:                               ;   in Loop: Header=BB131_4 Depth=1
	s_or_b32 exec_lo, exec_lo, s21
	s_and_saveexec_b32 s21, s4
	s_cbranch_execnz .LBB131_29
.LBB131_27:                             ;   in Loop: Header=BB131_4 Depth=1
	s_or_b32 exec_lo, exec_lo, s21
	s_delay_alu instid0(SALU_CYCLE_1)
	s_and_b32 exec_lo, exec_lo, s5
	s_cbranch_execz .LBB131_2
	s_branch .LBB131_30
.LBB131_28:                             ;   in Loop: Header=BB131_4 Depth=1
	flat_load_b32 v33, v[26:27]
	v_mov_b64_e32 v[34:35], s[40:41]
	v_mov_b32_e32 v32, v18
	s_wait_loadcnt_dscnt 0x0
	s_delay_alu instid0(VALU_DEP_1) | instskip(NEXT) | instid1(VALU_DEP_1)
	v_pk_mul_f32 v[32:33], v[34:35], v[32:33]
	v_add_f32_e32 v18, v32, v33
	flat_store_b32 v[24:25], v18
	s_wait_xcnt 0x0
	s_or_b32 exec_lo, exec_lo, s21
	s_and_saveexec_b32 s21, s4
	s_cbranch_execz .LBB131_27
.LBB131_29:                             ;   in Loop: Header=BB131_4 Depth=1
	flat_load_b32 v27, v[26:27] offset:64
	s_wait_xcnt 0x0
	v_mov_b32_e32 v26, v19
	v_mov_b64_e32 v[18:19], s[40:41]
	s_wait_loadcnt_dscnt 0x0
	s_delay_alu instid0(VALU_DEP_1) | instskip(NEXT) | instid1(VALU_DEP_1)
	v_pk_mul_f32 v[18:19], v[18:19], v[26:27]
	v_add_f32_e32 v18, v18, v19
	flat_store_b32 v[24:25], v18 offset:64
	s_wait_xcnt 0x0
	s_or_b32 exec_lo, exec_lo, s21
	s_delay_alu instid0(SALU_CYCLE_1)
	s_and_b32 exec_lo, exec_lo, s5
	s_cbranch_execz .LBB131_2
.LBB131_30:                             ;   in Loop: Header=BB131_4 Depth=1
	v_lshl_add_u64 v[18:19], s[10:11], 2, v[22:23]
	v_lshl_add_u64 v[20:21], s[6:7], 2, v[20:21]
	s_delay_alu instid0(VALU_DEP_2) | instskip(NEXT) | instid1(VALU_DEP_2)
	v_add_nc_u64_e32 v[18:19], v[18:19], v[16:17]
	v_add_nc_u64_e32 v[16:17], v[20:21], v[16:17]
	s_and_saveexec_b32 s21, s3
	s_cbranch_execz .LBB131_32
; %bb.31:                               ;   in Loop: Header=BB131_4 Depth=1
	flat_load_b32 v21, v[18:19]
	v_mov_b64_e32 v[22:23], s[40:41]
	v_mov_b32_e32 v20, v14
	s_wait_loadcnt_dscnt 0x0
	s_delay_alu instid0(VALU_DEP_1) | instskip(NEXT) | instid1(VALU_DEP_1)
	v_pk_mul_f32 v[20:21], v[22:23], v[20:21]
	v_add_f32_e32 v14, v20, v21
	flat_store_b32 v[16:17], v14
.LBB131_32:                             ;   in Loop: Header=BB131_4 Depth=1
	s_wait_xcnt 0x0
	s_or_b32 exec_lo, exec_lo, s21
	s_delay_alu instid0(SALU_CYCLE_1)
	s_and_b32 exec_lo, exec_lo, s4
	s_cbranch_execz .LBB131_2
; %bb.33:                               ;   in Loop: Header=BB131_4 Depth=1
	flat_load_b32 v19, v[18:19] offset:64
	s_wait_xcnt 0x0
	v_mov_b32_e32 v18, v15
	v_mov_b64_e32 v[14:15], s[40:41]
	s_wait_loadcnt_dscnt 0x0
	s_delay_alu instid0(VALU_DEP_1) | instskip(NEXT) | instid1(VALU_DEP_1)
	v_pk_mul_f32 v[14:15], v[14:15], v[18:19]
	v_add_f32_e32 v14, v14, v15
	flat_store_b32 v[16:17], v14 offset:64
	s_branch .LBB131_2
.LBB131_34:
	s_endpgm
	.section	.rodata,"a",@progbits
	.p2align	6, 0x0
	.amdhsa_kernel _ZN12_GLOBAL__N_135rocblas_gemm_batched_general_kernelIfLi16ELi16ELi32ELi32ELi8ELi32ELi8ELi8ELi32ELc84ELc78EKPKDF16_KPKfKPfEEvlllT_PT11_llSB_llS9_PT12_llPT13_lli
		.amdhsa_group_segment_fixed_size 2048
		.amdhsa_private_segment_fixed_size 0
		.amdhsa_kernarg_size 140
		.amdhsa_user_sgpr_count 2
		.amdhsa_user_sgpr_dispatch_ptr 0
		.amdhsa_user_sgpr_queue_ptr 0
		.amdhsa_user_sgpr_kernarg_segment_ptr 1
		.amdhsa_user_sgpr_dispatch_id 0
		.amdhsa_user_sgpr_kernarg_preload_length 0
		.amdhsa_user_sgpr_kernarg_preload_offset 0
		.amdhsa_user_sgpr_private_segment_size 0
		.amdhsa_wavefront_size32 1
		.amdhsa_uses_dynamic_stack 0
		.amdhsa_enable_private_segment 0
		.amdhsa_system_sgpr_workgroup_id_x 1
		.amdhsa_system_sgpr_workgroup_id_y 1
		.amdhsa_system_sgpr_workgroup_id_z 1
		.amdhsa_system_sgpr_workgroup_info 0
		.amdhsa_system_vgpr_workitem_id 1
		.amdhsa_next_free_vgpr 56
		.amdhsa_next_free_sgpr 44
		.amdhsa_named_barrier_count 0
		.amdhsa_reserve_vcc 1
		.amdhsa_float_round_mode_32 0
		.amdhsa_float_round_mode_16_64 0
		.amdhsa_float_denorm_mode_32 3
		.amdhsa_float_denorm_mode_16_64 3
		.amdhsa_fp16_overflow 0
		.amdhsa_memory_ordered 1
		.amdhsa_forward_progress 1
		.amdhsa_inst_pref_size 15
		.amdhsa_round_robin_scheduling 0
		.amdhsa_exception_fp_ieee_invalid_op 0
		.amdhsa_exception_fp_denorm_src 0
		.amdhsa_exception_fp_ieee_div_zero 0
		.amdhsa_exception_fp_ieee_overflow 0
		.amdhsa_exception_fp_ieee_underflow 0
		.amdhsa_exception_fp_ieee_inexact 0
		.amdhsa_exception_int_div_zero 0
	.end_amdhsa_kernel
	.section	.text._ZN12_GLOBAL__N_135rocblas_gemm_batched_general_kernelIfLi16ELi16ELi32ELi32ELi8ELi32ELi8ELi8ELi32ELc84ELc78EKPKDF16_KPKfKPfEEvlllT_PT11_llSB_llS9_PT12_llPT13_lli,"axG",@progbits,_ZN12_GLOBAL__N_135rocblas_gemm_batched_general_kernelIfLi16ELi16ELi32ELi32ELi8ELi32ELi8ELi8ELi32ELc84ELc78EKPKDF16_KPKfKPfEEvlllT_PT11_llSB_llS9_PT12_llPT13_lli,comdat
.Lfunc_end131:
	.size	_ZN12_GLOBAL__N_135rocblas_gemm_batched_general_kernelIfLi16ELi16ELi32ELi32ELi8ELi32ELi8ELi8ELi32ELc84ELc78EKPKDF16_KPKfKPfEEvlllT_PT11_llSB_llS9_PT12_llPT13_lli, .Lfunc_end131-_ZN12_GLOBAL__N_135rocblas_gemm_batched_general_kernelIfLi16ELi16ELi32ELi32ELi8ELi32ELi8ELi8ELi32ELc84ELc78EKPKDF16_KPKfKPfEEvlllT_PT11_llSB_llS9_PT12_llPT13_lli
                                        ; -- End function
	.set _ZN12_GLOBAL__N_135rocblas_gemm_batched_general_kernelIfLi16ELi16ELi32ELi32ELi8ELi32ELi8ELi8ELi32ELc84ELc78EKPKDF16_KPKfKPfEEvlllT_PT11_llSB_llS9_PT12_llPT13_lli.num_vgpr, 56
	.set _ZN12_GLOBAL__N_135rocblas_gemm_batched_general_kernelIfLi16ELi16ELi32ELi32ELi8ELi32ELi8ELi8ELi32ELc84ELc78EKPKDF16_KPKfKPfEEvlllT_PT11_llSB_llS9_PT12_llPT13_lli.num_agpr, 0
	.set _ZN12_GLOBAL__N_135rocblas_gemm_batched_general_kernelIfLi16ELi16ELi32ELi32ELi8ELi32ELi8ELi8ELi32ELc84ELc78EKPKDF16_KPKfKPfEEvlllT_PT11_llSB_llS9_PT12_llPT13_lli.numbered_sgpr, 44
	.set _ZN12_GLOBAL__N_135rocblas_gemm_batched_general_kernelIfLi16ELi16ELi32ELi32ELi8ELi32ELi8ELi8ELi32ELc84ELc78EKPKDF16_KPKfKPfEEvlllT_PT11_llSB_llS9_PT12_llPT13_lli.num_named_barrier, 0
	.set _ZN12_GLOBAL__N_135rocblas_gemm_batched_general_kernelIfLi16ELi16ELi32ELi32ELi8ELi32ELi8ELi8ELi32ELc84ELc78EKPKDF16_KPKfKPfEEvlllT_PT11_llSB_llS9_PT12_llPT13_lli.private_seg_size, 0
	.set _ZN12_GLOBAL__N_135rocblas_gemm_batched_general_kernelIfLi16ELi16ELi32ELi32ELi8ELi32ELi8ELi8ELi32ELc84ELc78EKPKDF16_KPKfKPfEEvlllT_PT11_llSB_llS9_PT12_llPT13_lli.uses_vcc, 1
	.set _ZN12_GLOBAL__N_135rocblas_gemm_batched_general_kernelIfLi16ELi16ELi32ELi32ELi8ELi32ELi8ELi8ELi32ELc84ELc78EKPKDF16_KPKfKPfEEvlllT_PT11_llSB_llS9_PT12_llPT13_lli.uses_flat_scratch, 0
	.set _ZN12_GLOBAL__N_135rocblas_gemm_batched_general_kernelIfLi16ELi16ELi32ELi32ELi8ELi32ELi8ELi8ELi32ELc84ELc78EKPKDF16_KPKfKPfEEvlllT_PT11_llSB_llS9_PT12_llPT13_lli.has_dyn_sized_stack, 0
	.set _ZN12_GLOBAL__N_135rocblas_gemm_batched_general_kernelIfLi16ELi16ELi32ELi32ELi8ELi32ELi8ELi8ELi32ELc84ELc78EKPKDF16_KPKfKPfEEvlllT_PT11_llSB_llS9_PT12_llPT13_lli.has_recursion, 0
	.set _ZN12_GLOBAL__N_135rocblas_gemm_batched_general_kernelIfLi16ELi16ELi32ELi32ELi8ELi32ELi8ELi8ELi32ELc84ELc78EKPKDF16_KPKfKPfEEvlllT_PT11_llSB_llS9_PT12_llPT13_lli.has_indirect_call, 0
	.section	.AMDGPU.csdata,"",@progbits
; Kernel info:
; codeLenInByte = 1820
; TotalNumSgprs: 46
; NumVgprs: 56
; ScratchSize: 0
; MemoryBound: 0
; FloatMode: 240
; IeeeMode: 1
; LDSByteSize: 2048 bytes/workgroup (compile time only)
; SGPRBlocks: 0
; VGPRBlocks: 3
; NumSGPRsForWavesPerEU: 46
; NumVGPRsForWavesPerEU: 56
; NamedBarCnt: 0
; Occupancy: 16
; WaveLimiterHint : 1
; COMPUTE_PGM_RSRC2:SCRATCH_EN: 0
; COMPUTE_PGM_RSRC2:USER_SGPR: 2
; COMPUTE_PGM_RSRC2:TRAP_HANDLER: 0
; COMPUTE_PGM_RSRC2:TGID_X_EN: 1
; COMPUTE_PGM_RSRC2:TGID_Y_EN: 1
; COMPUTE_PGM_RSRC2:TGID_Z_EN: 1
; COMPUTE_PGM_RSRC2:TIDIG_COMP_CNT: 1
	.section	.text._ZN12_GLOBAL__N_135rocblas_gemm_batched_general_kernelIfLi16ELi16ELi32ELi32ELi8ELi32ELi8ELi8ELi32ELc78ELc84EKPKDF16_KPKfKPfEEvlllT_PT11_llSB_llS9_PT12_llPT13_lli,"axG",@progbits,_ZN12_GLOBAL__N_135rocblas_gemm_batched_general_kernelIfLi16ELi16ELi32ELi32ELi8ELi32ELi8ELi8ELi32ELc78ELc84EKPKDF16_KPKfKPfEEvlllT_PT11_llSB_llS9_PT12_llPT13_lli,comdat
	.globl	_ZN12_GLOBAL__N_135rocblas_gemm_batched_general_kernelIfLi16ELi16ELi32ELi32ELi8ELi32ELi8ELi8ELi32ELc78ELc84EKPKDF16_KPKfKPfEEvlllT_PT11_llSB_llS9_PT12_llPT13_lli ; -- Begin function _ZN12_GLOBAL__N_135rocblas_gemm_batched_general_kernelIfLi16ELi16ELi32ELi32ELi8ELi32ELi8ELi8ELi32ELc78ELc84EKPKDF16_KPKfKPfEEvlllT_PT11_llSB_llS9_PT12_llPT13_lli
	.p2align	8
	.type	_ZN12_GLOBAL__N_135rocblas_gemm_batched_general_kernelIfLi16ELi16ELi32ELi32ELi8ELi32ELi8ELi8ELi32ELc78ELc84EKPKDF16_KPKfKPfEEvlllT_PT11_llSB_llS9_PT12_llPT13_lli,@function
_ZN12_GLOBAL__N_135rocblas_gemm_batched_general_kernelIfLi16ELi16ELi32ELi32ELi8ELi32ELi8ELi8ELi32ELc78ELc84EKPKDF16_KPKfKPfEEvlllT_PT11_llSB_llS9_PT12_llPT13_lli: ; @_ZN12_GLOBAL__N_135rocblas_gemm_batched_general_kernelIfLi16ELi16ELi32ELi32ELi8ELi32ELi8ELi8ELi32ELc78ELc84EKPKDF16_KPKfKPfEEvlllT_PT11_llSB_llS9_PT12_llPT13_lli
; %bb.0:
	s_load_b32 s33, s[0:1], 0x88
	s_bfe_u32 s2, ttmp6, 0x40014
	s_lshr_b32 s3, ttmp7, 16
	s_add_co_i32 s2, s2, 1
	s_bfe_u32 s5, ttmp6, 0x40008
	s_mul_i32 s4, s3, s2
	s_getreg_b32 s2, hwreg(HW_REG_IB_STS2, 6, 4)
	s_add_co_i32 s5, s5, s4
	s_cmp_eq_u32 s2, 0
	s_mov_b32 s35, 0
	s_cselect_b32 s34, s3, s5
	s_wait_kmcnt 0x0
	s_cmp_ge_i32 s34, s33
	s_cbranch_scc1 .LBB132_34
; %bb.1:
	s_clause 0x6
	s_load_b128 s[4:7], s[0:1], 0x0
	s_load_b96 s[36:38], s[0:1], 0x10
	s_load_b256 s[8:15], s[0:1], 0x20
	s_load_b128 s[28:31], s[0:1], 0x40
	s_load_b32 s41, s[0:1], 0x50
	s_load_b128 s[24:27], s[0:1], 0x78
	s_load_b256 s[16:23], s[0:1], 0x58
	v_bfe_u32 v6, v0, 10, 10
	v_and_b32_e32 v8, 0x3ff, v0
	s_wait_xcnt 0x0
	s_bfe_u32 s0, ttmp6, 0x4000c
	s_bfe_u32 s3, ttmp6, 0x40010
	s_add_co_i32 s0, s0, 1
	s_and_b32 s39, ttmp7, 0xffff
	s_add_co_i32 s3, s3, 1
	v_lshl_add_u32 v1, v6, 4, v8
	v_mov_b32_e32 v3, 0
	s_and_b32 s1, ttmp6, 15
	s_mul_i32 s0, ttmp9, s0
	s_mul_i32 s3, s39, s3
	s_bfe_u32 s40, ttmp6, 0x40004
	s_add_co_i32 s1, s1, s0
	s_add_co_i32 s40, s40, s3
	s_cmp_eq_u32 s2, 0
	v_dual_mov_b32 v9, v3 :: v_dual_bitop2_b32 v22, 31, v1 bitop3:0x40
	v_dual_lshrrev_b32 v2, 5, v1 :: v_dual_bitop2_b32 v0, 7, v0 bitop3:0x40
	v_dual_mov_b32 v1, v3 :: v_dual_lshrrev_b32 v10, 3, v1
	v_mov_b32_e32 v11, v3
	s_cselect_b32 s40, s39, s40
	s_cselect_b32 s42, ttmp9, s1
	s_lshl_b32 s44, s40, 5
	s_mov_b32 s45, s35
	s_wait_kmcnt 0x0
	v_mul_u64_e32 v[12:13], s[28:29], v[0:1]
	v_add_nc_u64_e32 v[14:15], s[44:45], v[10:11]
	v_dual_lshlrev_b32 v11, 2, v0 :: v_dual_lshlrev_b32 v18, 2, v22
	v_mul_u64_e32 v[16:17], s[10:11], v[2:3]
	v_dual_mov_b32 v7, v3 :: v_dual_lshlrev_b32 v30, 2, v8
	s_ashr_i32 s43, s42, 31
	s_delay_alu instid0(VALU_DEP_3) | instskip(SKIP_1) | instid1(VALU_DEP_2)
	v_lshl_or_b32 v28, v2, 7, v18
	s_lshl_b64 s[2:3], s[42:43], 5
	v_add_nc_u64_e32 v[18:19], s[44:45], v[6:7]
	v_dual_mov_b32 v5, s3 :: v_dual_bitop2_b32 v4, s2, v22 bitop3:0x54
	v_lshl_add_u32 v31, v6, 5, 0x400
	v_cmp_gt_i64_e64 s1, s[6:7], v[14:15]
	s_cmp_eq_f32 s41, 0
	v_lshl_or_b32 v11, v10, 5, v11
	v_cmp_gt_i64_e64 s0, s[4:5], v[4:5]
	v_add_nc_u64_e32 v[4:5], s[2:3], v[8:9]
	v_mul_u64_e32 v[6:7], s[24:25], v[18:19]
	v_mul_u64_e32 v[8:9], s[18:19], v[18:19]
	v_add_nc_u64_e32 v[20:21], 16, v[18:19]
	s_cselect_b32 s39, -1, 0
	v_cmp_gt_i64_e64 s2, s[6:7], v[18:19]
	s_lshl_b32 s44, s40, 6
	v_add_nc_u64_e32 v[14:15], 16, v[4:5]
	v_cmp_gt_i64_e64 s3, s[4:5], v[4:5]
	s_lshl_b64 s[30:31], s[30:31], 1
	s_lshl_b64 s[12:13], s[12:13], 1
	s_add_nc_u64 s[30:31], s[30:31], s[44:45]
	v_add_nc_u32_e32 v29, 0x400, v11
	v_dual_mov_b32 v11, v3 :: v_dual_lshlrev_b32 v10, 1, v10
	v_cmp_gt_i64_e64 s4, s[4:5], v[14:15]
	v_cmp_gt_i64_e64 s5, s[6:7], v[20:21]
	s_lshl_b64 s[6:7], s[24:25], 4
	s_lshl_b64 s[24:25], s[42:43], 6
	v_lshl_add_u64 v[12:13], v[12:13], 1, s[30:31]
	s_add_nc_u64 s[12:13], s[12:13], s[24:25]
	s_mov_b32 s40, s38
	v_lshl_add_u64 v[14:15], v[16:17], 1, s[12:13]
	v_dual_mov_b32 v17, v3 :: v_dual_lshlrev_b32 v16, 1, v22
	s_lshl_b64 s[12:13], s[18:19], 4
	v_add_nc_u64_e32 v[10:11], v[12:13], v[10:11]
	s_lshl_b64 s[18:19], s[28:29], 4
	v_cmp_gt_i64_e64 s28, s[36:37], 0
	v_add_nc_u64_e32 v[12:13], v[14:15], v[16:17]
	s_lshl_b64 s[10:11], s[10:11], 4
	s_lshl_b64 s[24:25], s[26:27], 2
	;; [unrolled: 1-line block ×3, first 2 shown]
	s_branch .LBB132_4
.LBB132_2:                              ;   in Loop: Header=BB132_4 Depth=1
	s_wait_xcnt 0x0
	s_or_b32 exec_lo, exec_lo, s26
.LBB132_3:                              ;   in Loop: Header=BB132_4 Depth=1
	s_add_co_i32 s34, s34, 0x10000
	s_delay_alu instid0(SALU_CYCLE_1)
	s_cmp_lt_i32 s34, s33
	s_cbranch_scc0 .LBB132_34
.LBB132_4:                              ; =>This Loop Header: Depth=1
                                        ;     Child Loop BB132_7 Depth 2
	v_dual_mov_b32 v14, s34 :: v_dual_mov_b32 v19, 0
	v_dual_mov_b32 v18, 0 :: v_dual_mov_b32 v15, 0
	s_and_not1_b32 vcc_lo, exec_lo, s28
	s_clause 0x1
	global_load_b64 v[16:17], v14, s[16:17] scale_offset
	global_load_b64 v[20:21], v14, s[22:23] scale_offset
	s_wait_xcnt 0x0
	v_mov_b32_e32 v14, 0
	s_cbranch_vccnz .LBB132_11
; %bb.5:                                ;   in Loop: Header=BB132_4 Depth=1
	s_lshl_b64 s[26:27], s[34:35], 3
	v_mov_b32_e32 v18, 0
	s_add_nc_u64 s[30:31], s[14:15], s[26:27]
	s_add_nc_u64 s[26:27], s[8:9], s[26:27]
	s_clause 0x1
	global_load_b64 v[14:15], v3, s[30:31]
	global_load_b64 v[24:25], v3, s[26:27]
	s_wait_xcnt 0x0
	s_mov_b64 s[26:27], 0
	v_mov_b32_e32 v19, v18
	s_wait_loadcnt 0x1
	v_add_nc_u64_e32 v[22:23], v[14:15], v[10:11]
	s_wait_loadcnt 0x0
	v_add_nc_u64_e32 v[24:25], v[24:25], v[12:13]
	v_dual_mov_b32 v14, v18 :: v_dual_mov_b32 v15, v18
	s_branch .LBB132_7
.LBB132_6:                              ;   in Loop: Header=BB132_7 Depth=2
	s_wait_xcnt 0x0
	s_or_b32 exec_lo, exec_lo, s29
	ds_store_b32 v29, v27
	s_wait_dscnt 0x0
	s_barrier_signal -1
	s_barrier_wait -1
	ds_load_b128 v[32:35], v31
	ds_load_2addr_b32 v[26:27], v30 offset1:16
	ds_load_b128 v[36:39], v31 offset:512
	ds_load_2addr_b32 v[48:49], v30 offset0:32 offset1:48
	ds_load_2addr_b32 v[50:51], v30 offset0:64 offset1:80
	;; [unrolled: 1-line block ×3, first 2 shown]
	ds_load_b128 v[40:43], v31 offset:16
	ds_load_2addr_b32 v[54:55], v30 offset0:128 offset1:144
	ds_load_b128 v[44:47], v31 offset:528
	s_add_nc_u64 s[26:27], s[26:27], 8
	v_add_nc_u64_e32 v[22:23], s[18:19], v[22:23]
	v_cmp_lt_i64_e64 s29, s[26:27], s[36:37]
	v_add_nc_u64_e32 v[24:25], s[10:11], v[24:25]
	s_and_b32 vcc_lo, exec_lo, s29
	s_wait_dscnt 0x7
	v_pk_fma_f32 v[18:19], v[26:27], v[32:33], v[18:19] op_sel_hi:[1,0,1]
	s_wait_dscnt 0x6
	v_pk_fma_f32 v[14:15], v[26:27], v[36:37], v[14:15] op_sel_hi:[1,0,1]
	ds_load_2addr_b32 v[26:27], v30 offset0:160 offset1:176
	s_wait_dscnt 0x6
	v_pk_fma_f32 v[18:19], v[48:49], v[32:33], v[18:19] op_sel:[0,1,0]
	v_pk_fma_f32 v[14:15], v[48:49], v[36:37], v[14:15] op_sel:[0,1,0]
	ds_load_2addr_b32 v[32:33], v30 offset0:192 offset1:208
	v_dual_mov_b32 v36, v35 :: v_dual_mov_b32 v48, v39
	s_wait_dscnt 0x6
	v_pk_fma_f32 v[18:19], v[50:51], v[34:35], v[18:19] op_sel_hi:[1,0,1]
	v_pk_fma_f32 v[14:15], v[50:51], v[38:39], v[14:15] op_sel_hi:[1,0,1]
	ds_load_2addr_b32 v[34:35], v30 offset0:224 offset1:240
	s_wait_dscnt 0x0
	s_barrier_signal -1
	v_pk_fma_f32 v[18:19], v[52:53], v[36:37], v[18:19] op_sel_hi:[1,0,1]
	v_pk_fma_f32 v[14:15], v[52:53], v[48:49], v[14:15] op_sel_hi:[1,0,1]
	s_barrier_wait -1
	v_mov_b32_e32 v36, v47
	s_delay_alu instid0(VALU_DEP_3) | instskip(NEXT) | instid1(VALU_DEP_3)
	v_pk_fma_f32 v[18:19], v[54:55], v[40:41], v[18:19] op_sel_hi:[1,0,1]
	v_pk_fma_f32 v[14:15], v[54:55], v[44:45], v[14:15] op_sel_hi:[1,0,1]
	s_delay_alu instid0(VALU_DEP_2) | instskip(NEXT) | instid1(VALU_DEP_2)
	v_pk_fma_f32 v[18:19], v[26:27], v[40:41], v[18:19] op_sel:[0,1,0]
	v_pk_fma_f32 v[14:15], v[26:27], v[44:45], v[14:15] op_sel:[0,1,0]
	v_mov_b32_e32 v26, v43
	s_delay_alu instid0(VALU_DEP_3) | instskip(NEXT) | instid1(VALU_DEP_3)
	v_pk_fma_f32 v[18:19], v[32:33], v[42:43], v[18:19] op_sel_hi:[1,0,1]
	v_pk_fma_f32 v[14:15], v[32:33], v[46:47], v[14:15] op_sel_hi:[1,0,1]
	s_delay_alu instid0(VALU_DEP_2) | instskip(NEXT) | instid1(VALU_DEP_2)
	v_pk_fma_f32 v[18:19], v[34:35], v[26:27], v[18:19] op_sel_hi:[1,0,1]
	v_pk_fma_f32 v[14:15], v[34:35], v[36:37], v[14:15] op_sel_hi:[1,0,1]
	s_cbranch_vccz .LBB132_11
.LBB132_7:                              ;   Parent Loop BB132_4 Depth=1
                                        ; =>  This Inner Loop Header: Depth=2
	v_add_nc_u64_e32 v[26:27], s[26:27], v[2:3]
	s_delay_alu instid0(VALU_DEP_1) | instskip(SKIP_2) | instid1(SALU_CYCLE_1)
	v_cmp_gt_i64_e32 vcc_lo, s[36:37], v[26:27]
	v_mov_b32_e32 v26, 0
	s_and_b32 s30, s0, vcc_lo
	s_and_saveexec_b32 s29, s30
	s_cbranch_execz .LBB132_9
; %bb.8:                                ;   in Loop: Header=BB132_7 Depth=2
	flat_load_u16 v26, v[24:25]
	s_wait_loadcnt_dscnt 0x0
	v_cvt_f32_f16_e32 v26, v26
.LBB132_9:                              ;   in Loop: Header=BB132_7 Depth=2
	s_wait_xcnt 0x0
	s_or_b32 exec_lo, exec_lo, s29
	v_add_nc_u64_e32 v[32:33], s[26:27], v[0:1]
	v_mov_b32_e32 v27, 0
	ds_store_b32 v28, v26
	v_cmp_gt_i64_e32 vcc_lo, s[36:37], v[32:33]
	s_and_b32 s30, vcc_lo, s1
	s_delay_alu instid0(SALU_CYCLE_1)
	s_and_saveexec_b32 s29, s30
	s_cbranch_execz .LBB132_6
; %bb.10:                               ;   in Loop: Header=BB132_7 Depth=2
	flat_load_u16 v26, v[22:23]
	s_wait_loadcnt_dscnt 0x0
	v_cvt_f32_f16_e32 v27, v26
	s_branch .LBB132_6
.LBB132_11:                             ;   in Loop: Header=BB132_4 Depth=1
	s_wait_loadcnt 0x0
	v_add_nc_u64_e32 v[20:21], s[24:25], v[20:21]
	s_and_not1_b32 vcc_lo, exec_lo, s39
	s_cbranch_vccnz .LBB132_16
; %bb.12:                               ;   in Loop: Header=BB132_4 Depth=1
	s_and_saveexec_b32 s26, s2
	s_cbranch_execz .LBB132_23
; %bb.13:                               ;   in Loop: Header=BB132_4 Depth=1
	s_delay_alu instid0(VALU_DEP_1) | instskip(NEXT) | instid1(VALU_DEP_1)
	v_lshl_add_u64 v[22:23], v[6:7], 2, v[20:21]
	v_lshl_add_u64 v[24:25], v[4:5], 2, v[22:23]
	s_and_saveexec_b32 s27, s3
	s_cbranch_execnz .LBB132_17
; %bb.14:                               ;   in Loop: Header=BB132_4 Depth=1
	s_or_b32 exec_lo, exec_lo, s27
	s_and_saveexec_b32 s27, s4
	s_cbranch_execnz .LBB132_18
.LBB132_15:                             ;   in Loop: Header=BB132_4 Depth=1
	s_or_b32 exec_lo, exec_lo, s27
	s_delay_alu instid0(SALU_CYCLE_1)
	s_and_b32 exec_lo, exec_lo, s5
	s_cbranch_execnz .LBB132_19
	s_branch .LBB132_23
.LBB132_16:                             ;   in Loop: Header=BB132_4 Depth=1
	s_branch .LBB132_24
.LBB132_17:                             ;   in Loop: Header=BB132_4 Depth=1
	v_mul_f32_e32 v26, s38, v18
	flat_store_b32 v[24:25], v26
	s_wait_xcnt 0x0
	s_or_b32 exec_lo, exec_lo, s27
	s_and_saveexec_b32 s27, s4
	s_cbranch_execz .LBB132_15
.LBB132_18:                             ;   in Loop: Header=BB132_4 Depth=1
	v_mul_f32_e32 v26, s38, v19
	flat_store_b32 v[24:25], v26 offset:64
	s_wait_xcnt 0x0
	s_or_b32 exec_lo, exec_lo, s27
	s_delay_alu instid0(SALU_CYCLE_1)
	s_and_b32 exec_lo, exec_lo, s5
	s_cbranch_execz .LBB132_23
.LBB132_19:                             ;   in Loop: Header=BB132_4 Depth=1
	v_lshl_add_u64 v[22:23], s[6:7], 2, v[22:23]
	s_delay_alu instid0(VALU_DEP_1)
	v_lshl_add_u64 v[22:23], v[4:5], 2, v[22:23]
	s_and_saveexec_b32 s27, s3
	s_cbranch_execz .LBB132_21
; %bb.20:                               ;   in Loop: Header=BB132_4 Depth=1
	v_mul_f32_e32 v24, s38, v14
	flat_store_b32 v[22:23], v24
.LBB132_21:                             ;   in Loop: Header=BB132_4 Depth=1
	s_wait_xcnt 0x0
	s_or_b32 exec_lo, exec_lo, s27
	s_delay_alu instid0(SALU_CYCLE_1)
	s_and_b32 exec_lo, exec_lo, s4
	s_cbranch_execz .LBB132_23
; %bb.22:                               ;   in Loop: Header=BB132_4 Depth=1
	v_mul_f32_e32 v24, s38, v15
	flat_store_b32 v[22:23], v24 offset:64
.LBB132_23:                             ;   in Loop: Header=BB132_4 Depth=1
	s_wait_xcnt 0x0
	s_or_b32 exec_lo, exec_lo, s26
	s_cbranch_execnz .LBB132_3
.LBB132_24:                             ;   in Loop: Header=BB132_4 Depth=1
	s_and_saveexec_b32 s26, s2
	s_cbranch_execz .LBB132_2
; %bb.25:                               ;   in Loop: Header=BB132_4 Depth=1
	v_add_nc_u64_e32 v[22:23], s[20:21], v[16:17]
	v_lshlrev_b64_e32 v[16:17], 2, v[4:5]
	v_lshl_add_u64 v[20:21], v[6:7], 2, v[20:21]
	s_delay_alu instid0(VALU_DEP_3) | instskip(NEXT) | instid1(VALU_DEP_2)
	v_lshl_add_u64 v[22:23], v[8:9], 2, v[22:23]
	v_add_nc_u64_e32 v[24:25], v[20:21], v[16:17]
	s_delay_alu instid0(VALU_DEP_2)
	v_add_nc_u64_e32 v[26:27], v[22:23], v[16:17]
	s_and_saveexec_b32 s27, s3
	s_cbranch_execnz .LBB132_28
; %bb.26:                               ;   in Loop: Header=BB132_4 Depth=1
	s_or_b32 exec_lo, exec_lo, s27
	s_and_saveexec_b32 s27, s4
	s_cbranch_execnz .LBB132_29
.LBB132_27:                             ;   in Loop: Header=BB132_4 Depth=1
	s_or_b32 exec_lo, exec_lo, s27
	s_delay_alu instid0(SALU_CYCLE_1)
	s_and_b32 exec_lo, exec_lo, s5
	s_cbranch_execz .LBB132_2
	s_branch .LBB132_30
.LBB132_28:                             ;   in Loop: Header=BB132_4 Depth=1
	flat_load_b32 v33, v[26:27]
	v_mov_b64_e32 v[34:35], s[40:41]
	v_mov_b32_e32 v32, v18
	s_wait_loadcnt_dscnt 0x0
	s_delay_alu instid0(VALU_DEP_1) | instskip(NEXT) | instid1(VALU_DEP_1)
	v_pk_mul_f32 v[32:33], v[34:35], v[32:33]
	v_add_f32_e32 v18, v32, v33
	flat_store_b32 v[24:25], v18
	s_wait_xcnt 0x0
	s_or_b32 exec_lo, exec_lo, s27
	s_and_saveexec_b32 s27, s4
	s_cbranch_execz .LBB132_27
.LBB132_29:                             ;   in Loop: Header=BB132_4 Depth=1
	flat_load_b32 v27, v[26:27] offset:64
	s_wait_xcnt 0x0
	v_mov_b32_e32 v26, v19
	v_mov_b64_e32 v[18:19], s[40:41]
	s_wait_loadcnt_dscnt 0x0
	s_delay_alu instid0(VALU_DEP_1) | instskip(NEXT) | instid1(VALU_DEP_1)
	v_pk_mul_f32 v[18:19], v[18:19], v[26:27]
	v_add_f32_e32 v18, v18, v19
	flat_store_b32 v[24:25], v18 offset:64
	s_wait_xcnt 0x0
	s_or_b32 exec_lo, exec_lo, s27
	s_delay_alu instid0(SALU_CYCLE_1)
	s_and_b32 exec_lo, exec_lo, s5
	s_cbranch_execz .LBB132_2
.LBB132_30:                             ;   in Loop: Header=BB132_4 Depth=1
	v_lshl_add_u64 v[18:19], s[12:13], 2, v[22:23]
	v_lshl_add_u64 v[20:21], s[6:7], 2, v[20:21]
	s_delay_alu instid0(VALU_DEP_2) | instskip(NEXT) | instid1(VALU_DEP_2)
	v_add_nc_u64_e32 v[18:19], v[18:19], v[16:17]
	v_add_nc_u64_e32 v[16:17], v[20:21], v[16:17]
	s_and_saveexec_b32 s27, s3
	s_cbranch_execz .LBB132_32
; %bb.31:                               ;   in Loop: Header=BB132_4 Depth=1
	flat_load_b32 v21, v[18:19]
	v_mov_b64_e32 v[22:23], s[40:41]
	v_mov_b32_e32 v20, v14
	s_wait_loadcnt_dscnt 0x0
	s_delay_alu instid0(VALU_DEP_1) | instskip(NEXT) | instid1(VALU_DEP_1)
	v_pk_mul_f32 v[20:21], v[22:23], v[20:21]
	v_add_f32_e32 v14, v20, v21
	flat_store_b32 v[16:17], v14
.LBB132_32:                             ;   in Loop: Header=BB132_4 Depth=1
	s_wait_xcnt 0x0
	s_or_b32 exec_lo, exec_lo, s27
	s_delay_alu instid0(SALU_CYCLE_1)
	s_and_b32 exec_lo, exec_lo, s4
	s_cbranch_execz .LBB132_2
; %bb.33:                               ;   in Loop: Header=BB132_4 Depth=1
	flat_load_b32 v19, v[18:19] offset:64
	s_wait_xcnt 0x0
	v_mov_b32_e32 v18, v15
	v_mov_b64_e32 v[14:15], s[40:41]
	s_wait_loadcnt_dscnt 0x0
	s_delay_alu instid0(VALU_DEP_1) | instskip(NEXT) | instid1(VALU_DEP_1)
	v_pk_mul_f32 v[14:15], v[14:15], v[18:19]
	v_add_f32_e32 v14, v14, v15
	flat_store_b32 v[16:17], v14 offset:64
	s_branch .LBB132_2
.LBB132_34:
	s_endpgm
	.section	.rodata,"a",@progbits
	.p2align	6, 0x0
	.amdhsa_kernel _ZN12_GLOBAL__N_135rocblas_gemm_batched_general_kernelIfLi16ELi16ELi32ELi32ELi8ELi32ELi8ELi8ELi32ELc78ELc84EKPKDF16_KPKfKPfEEvlllT_PT11_llSB_llS9_PT12_llPT13_lli
		.amdhsa_group_segment_fixed_size 2048
		.amdhsa_private_segment_fixed_size 0
		.amdhsa_kernarg_size 140
		.amdhsa_user_sgpr_count 2
		.amdhsa_user_sgpr_dispatch_ptr 0
		.amdhsa_user_sgpr_queue_ptr 0
		.amdhsa_user_sgpr_kernarg_segment_ptr 1
		.amdhsa_user_sgpr_dispatch_id 0
		.amdhsa_user_sgpr_kernarg_preload_length 0
		.amdhsa_user_sgpr_kernarg_preload_offset 0
		.amdhsa_user_sgpr_private_segment_size 0
		.amdhsa_wavefront_size32 1
		.amdhsa_uses_dynamic_stack 0
		.amdhsa_enable_private_segment 0
		.amdhsa_system_sgpr_workgroup_id_x 1
		.amdhsa_system_sgpr_workgroup_id_y 1
		.amdhsa_system_sgpr_workgroup_id_z 1
		.amdhsa_system_sgpr_workgroup_info 0
		.amdhsa_system_vgpr_workitem_id 1
		.amdhsa_next_free_vgpr 56
		.amdhsa_next_free_sgpr 46
		.amdhsa_named_barrier_count 0
		.amdhsa_reserve_vcc 1
		.amdhsa_float_round_mode_32 0
		.amdhsa_float_round_mode_16_64 0
		.amdhsa_float_denorm_mode_32 3
		.amdhsa_float_denorm_mode_16_64 3
		.amdhsa_fp16_overflow 0
		.amdhsa_memory_ordered 1
		.amdhsa_forward_progress 1
		.amdhsa_inst_pref_size 15
		.amdhsa_round_robin_scheduling 0
		.amdhsa_exception_fp_ieee_invalid_op 0
		.amdhsa_exception_fp_denorm_src 0
		.amdhsa_exception_fp_ieee_div_zero 0
		.amdhsa_exception_fp_ieee_overflow 0
		.amdhsa_exception_fp_ieee_underflow 0
		.amdhsa_exception_fp_ieee_inexact 0
		.amdhsa_exception_int_div_zero 0
	.end_amdhsa_kernel
	.section	.text._ZN12_GLOBAL__N_135rocblas_gemm_batched_general_kernelIfLi16ELi16ELi32ELi32ELi8ELi32ELi8ELi8ELi32ELc78ELc84EKPKDF16_KPKfKPfEEvlllT_PT11_llSB_llS9_PT12_llPT13_lli,"axG",@progbits,_ZN12_GLOBAL__N_135rocblas_gemm_batched_general_kernelIfLi16ELi16ELi32ELi32ELi8ELi32ELi8ELi8ELi32ELc78ELc84EKPKDF16_KPKfKPfEEvlllT_PT11_llSB_llS9_PT12_llPT13_lli,comdat
.Lfunc_end132:
	.size	_ZN12_GLOBAL__N_135rocblas_gemm_batched_general_kernelIfLi16ELi16ELi32ELi32ELi8ELi32ELi8ELi8ELi32ELc78ELc84EKPKDF16_KPKfKPfEEvlllT_PT11_llSB_llS9_PT12_llPT13_lli, .Lfunc_end132-_ZN12_GLOBAL__N_135rocblas_gemm_batched_general_kernelIfLi16ELi16ELi32ELi32ELi8ELi32ELi8ELi8ELi32ELc78ELc84EKPKDF16_KPKfKPfEEvlllT_PT11_llSB_llS9_PT12_llPT13_lli
                                        ; -- End function
	.set _ZN12_GLOBAL__N_135rocblas_gemm_batched_general_kernelIfLi16ELi16ELi32ELi32ELi8ELi32ELi8ELi8ELi32ELc78ELc84EKPKDF16_KPKfKPfEEvlllT_PT11_llSB_llS9_PT12_llPT13_lli.num_vgpr, 56
	.set _ZN12_GLOBAL__N_135rocblas_gemm_batched_general_kernelIfLi16ELi16ELi32ELi32ELi8ELi32ELi8ELi8ELi32ELc78ELc84EKPKDF16_KPKfKPfEEvlllT_PT11_llSB_llS9_PT12_llPT13_lli.num_agpr, 0
	.set _ZN12_GLOBAL__N_135rocblas_gemm_batched_general_kernelIfLi16ELi16ELi32ELi32ELi8ELi32ELi8ELi8ELi32ELc78ELc84EKPKDF16_KPKfKPfEEvlllT_PT11_llSB_llS9_PT12_llPT13_lli.numbered_sgpr, 46
	.set _ZN12_GLOBAL__N_135rocblas_gemm_batched_general_kernelIfLi16ELi16ELi32ELi32ELi8ELi32ELi8ELi8ELi32ELc78ELc84EKPKDF16_KPKfKPfEEvlllT_PT11_llSB_llS9_PT12_llPT13_lli.num_named_barrier, 0
	.set _ZN12_GLOBAL__N_135rocblas_gemm_batched_general_kernelIfLi16ELi16ELi32ELi32ELi8ELi32ELi8ELi8ELi32ELc78ELc84EKPKDF16_KPKfKPfEEvlllT_PT11_llSB_llS9_PT12_llPT13_lli.private_seg_size, 0
	.set _ZN12_GLOBAL__N_135rocblas_gemm_batched_general_kernelIfLi16ELi16ELi32ELi32ELi8ELi32ELi8ELi8ELi32ELc78ELc84EKPKDF16_KPKfKPfEEvlllT_PT11_llSB_llS9_PT12_llPT13_lli.uses_vcc, 1
	.set _ZN12_GLOBAL__N_135rocblas_gemm_batched_general_kernelIfLi16ELi16ELi32ELi32ELi8ELi32ELi8ELi8ELi32ELc78ELc84EKPKDF16_KPKfKPfEEvlllT_PT11_llSB_llS9_PT12_llPT13_lli.uses_flat_scratch, 0
	.set _ZN12_GLOBAL__N_135rocblas_gemm_batched_general_kernelIfLi16ELi16ELi32ELi32ELi8ELi32ELi8ELi8ELi32ELc78ELc84EKPKDF16_KPKfKPfEEvlllT_PT11_llSB_llS9_PT12_llPT13_lli.has_dyn_sized_stack, 0
	.set _ZN12_GLOBAL__N_135rocblas_gemm_batched_general_kernelIfLi16ELi16ELi32ELi32ELi8ELi32ELi8ELi8ELi32ELc78ELc84EKPKDF16_KPKfKPfEEvlllT_PT11_llSB_llS9_PT12_llPT13_lli.has_recursion, 0
	.set _ZN12_GLOBAL__N_135rocblas_gemm_batched_general_kernelIfLi16ELi16ELi32ELi32ELi8ELi32ELi8ELi8ELi32ELc78ELc84EKPKDF16_KPKfKPfEEvlllT_PT11_llSB_llS9_PT12_llPT13_lli.has_indirect_call, 0
	.section	.AMDGPU.csdata,"",@progbits
; Kernel info:
; codeLenInByte = 1840
; TotalNumSgprs: 48
; NumVgprs: 56
; ScratchSize: 0
; MemoryBound: 0
; FloatMode: 240
; IeeeMode: 1
; LDSByteSize: 2048 bytes/workgroup (compile time only)
; SGPRBlocks: 0
; VGPRBlocks: 3
; NumSGPRsForWavesPerEU: 48
; NumVGPRsForWavesPerEU: 56
; NamedBarCnt: 0
; Occupancy: 16
; WaveLimiterHint : 1
; COMPUTE_PGM_RSRC2:SCRATCH_EN: 0
; COMPUTE_PGM_RSRC2:USER_SGPR: 2
; COMPUTE_PGM_RSRC2:TRAP_HANDLER: 0
; COMPUTE_PGM_RSRC2:TGID_X_EN: 1
; COMPUTE_PGM_RSRC2:TGID_Y_EN: 1
; COMPUTE_PGM_RSRC2:TGID_Z_EN: 1
; COMPUTE_PGM_RSRC2:TIDIG_COMP_CNT: 1
	.section	.text._ZN12_GLOBAL__N_135rocblas_gemm_batched_general_kernelIfLi16ELi16ELi32ELi32ELi8ELi32ELi8ELi8ELi32ELc84ELc84EKPKDF16_KPKfKPfEEvlllT_PT11_llSB_llS9_PT12_llPT13_lli,"axG",@progbits,_ZN12_GLOBAL__N_135rocblas_gemm_batched_general_kernelIfLi16ELi16ELi32ELi32ELi8ELi32ELi8ELi8ELi32ELc84ELc84EKPKDF16_KPKfKPfEEvlllT_PT11_llSB_llS9_PT12_llPT13_lli,comdat
	.globl	_ZN12_GLOBAL__N_135rocblas_gemm_batched_general_kernelIfLi16ELi16ELi32ELi32ELi8ELi32ELi8ELi8ELi32ELc84ELc84EKPKDF16_KPKfKPfEEvlllT_PT11_llSB_llS9_PT12_llPT13_lli ; -- Begin function _ZN12_GLOBAL__N_135rocblas_gemm_batched_general_kernelIfLi16ELi16ELi32ELi32ELi8ELi32ELi8ELi8ELi32ELc84ELc84EKPKDF16_KPKfKPfEEvlllT_PT11_llSB_llS9_PT12_llPT13_lli
	.p2align	8
	.type	_ZN12_GLOBAL__N_135rocblas_gemm_batched_general_kernelIfLi16ELi16ELi32ELi32ELi8ELi32ELi8ELi8ELi32ELc84ELc84EKPKDF16_KPKfKPfEEvlllT_PT11_llSB_llS9_PT12_llPT13_lli,@function
_ZN12_GLOBAL__N_135rocblas_gemm_batched_general_kernelIfLi16ELi16ELi32ELi32ELi8ELi32ELi8ELi8ELi32ELc84ELc84EKPKDF16_KPKfKPfEEvlllT_PT11_llSB_llS9_PT12_llPT13_lli: ; @_ZN12_GLOBAL__N_135rocblas_gemm_batched_general_kernelIfLi16ELi16ELi32ELi32ELi8ELi32ELi8ELi8ELi32ELc84ELc84EKPKDF16_KPKfKPfEEvlllT_PT11_llSB_llS9_PT12_llPT13_lli
; %bb.0:
	s_load_b32 s33, s[0:1], 0x88
	s_bfe_u32 s2, ttmp6, 0x40014
	s_lshr_b32 s3, ttmp7, 16
	s_add_co_i32 s2, s2, 1
	s_bfe_u32 s5, ttmp6, 0x40008
	s_mul_i32 s4, s3, s2
	s_getreg_b32 s2, hwreg(HW_REG_IB_STS2, 6, 4)
	s_add_co_i32 s5, s5, s4
	s_cmp_eq_u32 s2, 0
	s_mov_b32 s35, 0
	s_cselect_b32 s34, s3, s5
	s_wait_kmcnt 0x0
	s_cmp_ge_i32 s34, s33
	s_cbranch_scc1 .LBB133_34
; %bb.1:
	v_bfe_u32 v10, v0, 10, 10
	v_and_b32_e32 v12, 0x3ff, v0
	s_clause 0x6
	s_load_b128 s[4:7], s[0:1], 0x0
	s_load_b96 s[36:38], s[0:1], 0x10
	s_load_b256 s[8:15], s[0:1], 0x20
	s_load_b128 s[24:27], s[0:1], 0x40
	s_load_b32 s41, s[0:1], 0x50
	s_load_b128 s[28:31], s[0:1], 0x78
	s_load_b256 s[16:23], s[0:1], 0x58
	s_wait_xcnt 0x0
	s_bfe_u32 s0, ttmp6, 0x4000c
	s_bfe_u32 s3, ttmp6, 0x40010
	s_add_co_i32 s0, s0, 1
	s_and_b32 s39, ttmp7, 0xffff
	s_add_co_i32 s3, s3, 1
	s_and_b32 s1, ttmp6, 15
	s_mul_i32 s0, ttmp9, s0
	s_mul_i32 s3, s39, s3
	s_bfe_u32 s40, ttmp6, 0x40004
	v_lshl_add_u32 v6, v10, 4, v12
	s_add_co_i32 s1, s1, s0
	s_add_co_i32 s40, s40, s3
	s_cmp_eq_u32 s2, 0
	s_delay_alu instid0(VALU_DEP_1) | instskip(SKIP_3) | instid1(VALU_DEP_1)
	v_dual_mov_b32 v1, 0 :: v_dual_bitop2_b32 v8, 31, v6 bitop3:0x40
	s_cselect_b32 s0, ttmp9, s1
	s_cselect_b32 s40, s39, s40
	s_ashr_i32 s1, s0, 31
	v_dual_mov_b32 v11, v1 :: v_dual_bitop2_b32 v2, 7, v0 bitop3:0x40
	s_lshl_b64 s[2:3], s[0:1], 5
	v_dual_mov_b32 v3, v1 :: v_dual_lshrrev_b32 v14, 3, v6
	v_dual_mov_b32 v15, v1 :: v_dual_bitop2_b32 v4, s2, v8 bitop3:0x54
	s_delay_alu instid0(VALU_DEP_3) | instskip(SKIP_1) | instid1(VALU_DEP_3)
	v_dual_mov_b32 v5, s3 :: v_dual_lshlrev_b32 v9, 2, v2
	s_wait_kmcnt 0x0
	v_mul_u64_e32 v[16:17], s[24:25], v[2:3]
	s_lshl_b32 s0, s40, 5
	s_mov_b32 s1, s35
	v_mul_u64_e32 v[18:19], s[10:11], v[4:5]
	v_dual_lshrrev_b32 v0, 5, v6 :: v_dual_lshlrev_b32 v8, 2, v8
	v_add_nc_u64_e32 v[6:7], s[0:1], v[14:15]
	v_add_nc_u64_e32 v[20:21], s[0:1], v[10:11]
	v_lshl_or_b32 v9, v14, 5, v9
	v_dual_mov_b32 v13, v1 :: v_dual_lshlrev_b32 v30, 2, v12
	v_lshl_or_b32 v28, v0, 7, v8
	v_cmp_gt_i64_e64 s0, s[4:5], v[4:5]
	v_cmp_gt_i64_e64 s1, s[6:7], v[6:7]
	v_add_nc_u32_e32 v29, 0x400, v9
	v_mul_u64_e32 v[6:7], s[28:29], v[20:21]
	v_mul_u64_e32 v[8:9], s[18:19], v[20:21]
	v_add_nc_u64_e32 v[4:5], s[2:3], v[12:13]
	v_lshl_add_u32 v31, v10, 5, 0x400
	v_add_nc_u64_e32 v[12:13], 16, v[20:21]
	s_cmp_eq_f32 s41, 0
	s_mov_b32 s11, s35
	v_cmp_gt_i64_e64 s2, s[6:7], v[20:21]
	s_delay_alu instid0(VALU_DEP_4)
	v_add_nc_u64_e32 v[10:11], 16, v[4:5]
	s_cselect_b32 s39, -1, 0
	s_lshl_b32 s10, s40, 6
	s_lshl_b64 s[26:27], s[26:27], 1
	v_cmp_gt_i64_e64 s3, s[4:5], v[4:5]
	s_add_nc_u64 s[10:11], s[26:27], s[10:11]
	v_cmp_gt_i64_e64 s26, s[36:37], 0
	v_cmp_gt_i64_e64 s4, s[4:5], v[10:11]
	;; [unrolled: 1-line block ×3, first 2 shown]
	s_lshl_b64 s[6:7], s[12:13], 1
	v_lshl_add_u64 v[10:11], v[16:17], 1, s[10:11]
	v_dual_mov_b32 v13, v1 :: v_dual_lshlrev_b32 v12, 1, v14
	v_lshl_add_u64 v[14:15], v[18:19], 1, s[6:7]
	v_dual_mov_b32 v17, v1 :: v_dual_lshlrev_b32 v16, 1, v0
	s_lshl_b64 s[6:7], s[28:29], 4
	s_delay_alu instid0(VALU_DEP_3)
	v_add_nc_u64_e32 v[10:11], v[10:11], v[12:13]
	s_mov_b32 s40, s38
	s_lshl_b64 s[10:11], s[18:19], 4
	v_add_nc_u64_e32 v[12:13], v[14:15], v[16:17]
	s_lshl_b64 s[12:13], s[24:25], 4
	s_lshl_b64 s[18:19], s[30:31], 2
	s_lshl_b64 s[20:21], s[20:21], 2
	s_branch .LBB133_4
.LBB133_2:                              ;   in Loop: Header=BB133_4 Depth=1
	s_wait_xcnt 0x0
	s_or_b32 exec_lo, exec_lo, s24
.LBB133_3:                              ;   in Loop: Header=BB133_4 Depth=1
	s_add_co_i32 s34, s34, 0x10000
	s_delay_alu instid0(SALU_CYCLE_1)
	s_cmp_lt_i32 s34, s33
	s_cbranch_scc0 .LBB133_34
.LBB133_4:                              ; =>This Loop Header: Depth=1
                                        ;     Child Loop BB133_7 Depth 2
	v_dual_mov_b32 v14, s34 :: v_dual_mov_b32 v19, 0
	v_dual_mov_b32 v18, 0 :: v_dual_mov_b32 v15, 0
	s_and_not1_b32 vcc_lo, exec_lo, s26
	s_clause 0x1
	global_load_b64 v[16:17], v14, s[16:17] scale_offset
	global_load_b64 v[20:21], v14, s[22:23] scale_offset
	s_wait_xcnt 0x0
	v_mov_b32_e32 v14, 0
	s_cbranch_vccnz .LBB133_11
; %bb.5:                                ;   in Loop: Header=BB133_4 Depth=1
	s_lshl_b64 s[24:25], s[34:35], 3
	v_mov_b32_e32 v18, 0
	s_add_nc_u64 s[28:29], s[14:15], s[24:25]
	s_add_nc_u64 s[24:25], s[8:9], s[24:25]
	s_clause 0x1
	global_load_b64 v[14:15], v1, s[28:29]
	global_load_b64 v[24:25], v1, s[24:25]
	s_wait_xcnt 0x0
	s_mov_b64 s[24:25], 0
	v_mov_b32_e32 v19, v18
	s_wait_loadcnt 0x1
	v_add_nc_u64_e32 v[22:23], v[14:15], v[10:11]
	s_wait_loadcnt 0x0
	v_add_nc_u64_e32 v[24:25], v[24:25], v[12:13]
	v_dual_mov_b32 v14, v18 :: v_dual_mov_b32 v15, v18
	s_branch .LBB133_7
.LBB133_6:                              ;   in Loop: Header=BB133_7 Depth=2
	s_wait_xcnt 0x0
	s_or_b32 exec_lo, exec_lo, s27
	ds_store_b32 v29, v27
	s_wait_dscnt 0x0
	s_barrier_signal -1
	s_barrier_wait -1
	ds_load_b128 v[32:35], v31
	ds_load_2addr_b32 v[26:27], v30 offset1:16
	ds_load_b128 v[36:39], v31 offset:512
	ds_load_2addr_b32 v[48:49], v30 offset0:32 offset1:48
	ds_load_2addr_b32 v[50:51], v30 offset0:64 offset1:80
	;; [unrolled: 1-line block ×3, first 2 shown]
	ds_load_b128 v[40:43], v31 offset:16
	ds_load_2addr_b32 v[54:55], v30 offset0:128 offset1:144
	ds_load_b128 v[44:47], v31 offset:528
	s_add_nc_u64 s[24:25], s[24:25], 8
	v_add_nc_u64_e32 v[22:23], s[12:13], v[22:23]
	v_cmp_lt_i64_e64 s27, s[24:25], s[36:37]
	v_add_nc_u64_e32 v[24:25], 16, v[24:25]
	s_and_b32 vcc_lo, exec_lo, s27
	s_wait_dscnt 0x7
	v_pk_fma_f32 v[18:19], v[26:27], v[32:33], v[18:19] op_sel_hi:[1,0,1]
	s_wait_dscnt 0x6
	v_pk_fma_f32 v[14:15], v[26:27], v[36:37], v[14:15] op_sel_hi:[1,0,1]
	ds_load_2addr_b32 v[26:27], v30 offset0:160 offset1:176
	s_wait_dscnt 0x6
	v_pk_fma_f32 v[18:19], v[48:49], v[32:33], v[18:19] op_sel:[0,1,0]
	v_pk_fma_f32 v[14:15], v[48:49], v[36:37], v[14:15] op_sel:[0,1,0]
	ds_load_2addr_b32 v[32:33], v30 offset0:192 offset1:208
	v_dual_mov_b32 v36, v35 :: v_dual_mov_b32 v48, v39
	s_wait_dscnt 0x6
	v_pk_fma_f32 v[18:19], v[50:51], v[34:35], v[18:19] op_sel_hi:[1,0,1]
	v_pk_fma_f32 v[14:15], v[50:51], v[38:39], v[14:15] op_sel_hi:[1,0,1]
	ds_load_2addr_b32 v[34:35], v30 offset0:224 offset1:240
	s_wait_dscnt 0x0
	s_barrier_signal -1
	v_pk_fma_f32 v[18:19], v[52:53], v[36:37], v[18:19] op_sel_hi:[1,0,1]
	v_pk_fma_f32 v[14:15], v[52:53], v[48:49], v[14:15] op_sel_hi:[1,0,1]
	s_barrier_wait -1
	v_mov_b32_e32 v36, v47
	s_delay_alu instid0(VALU_DEP_3) | instskip(NEXT) | instid1(VALU_DEP_3)
	v_pk_fma_f32 v[18:19], v[54:55], v[40:41], v[18:19] op_sel_hi:[1,0,1]
	v_pk_fma_f32 v[14:15], v[54:55], v[44:45], v[14:15] op_sel_hi:[1,0,1]
	s_delay_alu instid0(VALU_DEP_2) | instskip(NEXT) | instid1(VALU_DEP_2)
	v_pk_fma_f32 v[18:19], v[26:27], v[40:41], v[18:19] op_sel:[0,1,0]
	v_pk_fma_f32 v[14:15], v[26:27], v[44:45], v[14:15] op_sel:[0,1,0]
	v_mov_b32_e32 v26, v43
	s_delay_alu instid0(VALU_DEP_3) | instskip(NEXT) | instid1(VALU_DEP_3)
	v_pk_fma_f32 v[18:19], v[32:33], v[42:43], v[18:19] op_sel_hi:[1,0,1]
	v_pk_fma_f32 v[14:15], v[32:33], v[46:47], v[14:15] op_sel_hi:[1,0,1]
	s_delay_alu instid0(VALU_DEP_2) | instskip(NEXT) | instid1(VALU_DEP_2)
	v_pk_fma_f32 v[18:19], v[34:35], v[26:27], v[18:19] op_sel_hi:[1,0,1]
	v_pk_fma_f32 v[14:15], v[34:35], v[36:37], v[14:15] op_sel_hi:[1,0,1]
	s_cbranch_vccz .LBB133_11
.LBB133_7:                              ;   Parent Loop BB133_4 Depth=1
                                        ; =>  This Inner Loop Header: Depth=2
	v_add_nc_u64_e32 v[26:27], s[24:25], v[0:1]
	s_delay_alu instid0(VALU_DEP_1) | instskip(SKIP_2) | instid1(SALU_CYCLE_1)
	v_cmp_gt_i64_e32 vcc_lo, s[36:37], v[26:27]
	v_mov_b32_e32 v26, 0
	s_and_b32 s28, s0, vcc_lo
	s_and_saveexec_b32 s27, s28
	s_cbranch_execz .LBB133_9
; %bb.8:                                ;   in Loop: Header=BB133_7 Depth=2
	flat_load_u16 v26, v[24:25]
	s_wait_loadcnt_dscnt 0x0
	v_cvt_f32_f16_e32 v26, v26
.LBB133_9:                              ;   in Loop: Header=BB133_7 Depth=2
	s_wait_xcnt 0x0
	s_or_b32 exec_lo, exec_lo, s27
	v_add_nc_u64_e32 v[32:33], s[24:25], v[2:3]
	v_mov_b32_e32 v27, 0
	ds_store_b32 v28, v26
	v_cmp_gt_i64_e32 vcc_lo, s[36:37], v[32:33]
	s_and_b32 s28, vcc_lo, s1
	s_delay_alu instid0(SALU_CYCLE_1)
	s_and_saveexec_b32 s27, s28
	s_cbranch_execz .LBB133_6
; %bb.10:                               ;   in Loop: Header=BB133_7 Depth=2
	flat_load_u16 v26, v[22:23]
	s_wait_loadcnt_dscnt 0x0
	v_cvt_f32_f16_e32 v27, v26
	s_branch .LBB133_6
.LBB133_11:                             ;   in Loop: Header=BB133_4 Depth=1
	s_wait_loadcnt 0x0
	v_add_nc_u64_e32 v[20:21], s[18:19], v[20:21]
	s_and_not1_b32 vcc_lo, exec_lo, s39
	s_cbranch_vccnz .LBB133_16
; %bb.12:                               ;   in Loop: Header=BB133_4 Depth=1
	s_and_saveexec_b32 s24, s2
	s_cbranch_execz .LBB133_23
; %bb.13:                               ;   in Loop: Header=BB133_4 Depth=1
	s_delay_alu instid0(VALU_DEP_1) | instskip(NEXT) | instid1(VALU_DEP_1)
	v_lshl_add_u64 v[22:23], v[6:7], 2, v[20:21]
	v_lshl_add_u64 v[24:25], v[4:5], 2, v[22:23]
	s_and_saveexec_b32 s25, s3
	s_cbranch_execnz .LBB133_17
; %bb.14:                               ;   in Loop: Header=BB133_4 Depth=1
	s_or_b32 exec_lo, exec_lo, s25
	s_and_saveexec_b32 s25, s4
	s_cbranch_execnz .LBB133_18
.LBB133_15:                             ;   in Loop: Header=BB133_4 Depth=1
	s_or_b32 exec_lo, exec_lo, s25
	s_delay_alu instid0(SALU_CYCLE_1)
	s_and_b32 exec_lo, exec_lo, s5
	s_cbranch_execnz .LBB133_19
	s_branch .LBB133_23
.LBB133_16:                             ;   in Loop: Header=BB133_4 Depth=1
	s_branch .LBB133_24
.LBB133_17:                             ;   in Loop: Header=BB133_4 Depth=1
	v_mul_f32_e32 v26, s38, v18
	flat_store_b32 v[24:25], v26
	s_wait_xcnt 0x0
	s_or_b32 exec_lo, exec_lo, s25
	s_and_saveexec_b32 s25, s4
	s_cbranch_execz .LBB133_15
.LBB133_18:                             ;   in Loop: Header=BB133_4 Depth=1
	v_mul_f32_e32 v26, s38, v19
	flat_store_b32 v[24:25], v26 offset:64
	s_wait_xcnt 0x0
	s_or_b32 exec_lo, exec_lo, s25
	s_delay_alu instid0(SALU_CYCLE_1)
	s_and_b32 exec_lo, exec_lo, s5
	s_cbranch_execz .LBB133_23
.LBB133_19:                             ;   in Loop: Header=BB133_4 Depth=1
	v_lshl_add_u64 v[22:23], s[6:7], 2, v[22:23]
	s_delay_alu instid0(VALU_DEP_1)
	v_lshl_add_u64 v[22:23], v[4:5], 2, v[22:23]
	s_and_saveexec_b32 s25, s3
	s_cbranch_execz .LBB133_21
; %bb.20:                               ;   in Loop: Header=BB133_4 Depth=1
	v_mul_f32_e32 v24, s38, v14
	flat_store_b32 v[22:23], v24
.LBB133_21:                             ;   in Loop: Header=BB133_4 Depth=1
	s_wait_xcnt 0x0
	s_or_b32 exec_lo, exec_lo, s25
	s_delay_alu instid0(SALU_CYCLE_1)
	s_and_b32 exec_lo, exec_lo, s4
	s_cbranch_execz .LBB133_23
; %bb.22:                               ;   in Loop: Header=BB133_4 Depth=1
	v_mul_f32_e32 v24, s38, v15
	flat_store_b32 v[22:23], v24 offset:64
.LBB133_23:                             ;   in Loop: Header=BB133_4 Depth=1
	s_wait_xcnt 0x0
	s_or_b32 exec_lo, exec_lo, s24
	s_cbranch_execnz .LBB133_3
.LBB133_24:                             ;   in Loop: Header=BB133_4 Depth=1
	s_and_saveexec_b32 s24, s2
	s_cbranch_execz .LBB133_2
; %bb.25:                               ;   in Loop: Header=BB133_4 Depth=1
	v_add_nc_u64_e32 v[22:23], s[20:21], v[16:17]
	v_lshlrev_b64_e32 v[16:17], 2, v[4:5]
	v_lshl_add_u64 v[20:21], v[6:7], 2, v[20:21]
	s_delay_alu instid0(VALU_DEP_3) | instskip(NEXT) | instid1(VALU_DEP_2)
	v_lshl_add_u64 v[22:23], v[8:9], 2, v[22:23]
	v_add_nc_u64_e32 v[24:25], v[20:21], v[16:17]
	s_delay_alu instid0(VALU_DEP_2)
	v_add_nc_u64_e32 v[26:27], v[22:23], v[16:17]
	s_and_saveexec_b32 s25, s3
	s_cbranch_execnz .LBB133_28
; %bb.26:                               ;   in Loop: Header=BB133_4 Depth=1
	s_or_b32 exec_lo, exec_lo, s25
	s_and_saveexec_b32 s25, s4
	s_cbranch_execnz .LBB133_29
.LBB133_27:                             ;   in Loop: Header=BB133_4 Depth=1
	s_or_b32 exec_lo, exec_lo, s25
	s_delay_alu instid0(SALU_CYCLE_1)
	s_and_b32 exec_lo, exec_lo, s5
	s_cbranch_execz .LBB133_2
	s_branch .LBB133_30
.LBB133_28:                             ;   in Loop: Header=BB133_4 Depth=1
	flat_load_b32 v33, v[26:27]
	v_mov_b64_e32 v[34:35], s[40:41]
	v_mov_b32_e32 v32, v18
	s_wait_loadcnt_dscnt 0x0
	s_delay_alu instid0(VALU_DEP_1) | instskip(NEXT) | instid1(VALU_DEP_1)
	v_pk_mul_f32 v[32:33], v[34:35], v[32:33]
	v_add_f32_e32 v18, v32, v33
	flat_store_b32 v[24:25], v18
	s_wait_xcnt 0x0
	s_or_b32 exec_lo, exec_lo, s25
	s_and_saveexec_b32 s25, s4
	s_cbranch_execz .LBB133_27
.LBB133_29:                             ;   in Loop: Header=BB133_4 Depth=1
	flat_load_b32 v27, v[26:27] offset:64
	s_wait_xcnt 0x0
	v_mov_b32_e32 v26, v19
	v_mov_b64_e32 v[18:19], s[40:41]
	s_wait_loadcnt_dscnt 0x0
	s_delay_alu instid0(VALU_DEP_1) | instskip(NEXT) | instid1(VALU_DEP_1)
	v_pk_mul_f32 v[18:19], v[18:19], v[26:27]
	v_add_f32_e32 v18, v18, v19
	flat_store_b32 v[24:25], v18 offset:64
	s_wait_xcnt 0x0
	s_or_b32 exec_lo, exec_lo, s25
	s_delay_alu instid0(SALU_CYCLE_1)
	s_and_b32 exec_lo, exec_lo, s5
	s_cbranch_execz .LBB133_2
.LBB133_30:                             ;   in Loop: Header=BB133_4 Depth=1
	v_lshl_add_u64 v[18:19], s[10:11], 2, v[22:23]
	v_lshl_add_u64 v[20:21], s[6:7], 2, v[20:21]
	s_delay_alu instid0(VALU_DEP_2) | instskip(NEXT) | instid1(VALU_DEP_2)
	v_add_nc_u64_e32 v[18:19], v[18:19], v[16:17]
	v_add_nc_u64_e32 v[16:17], v[20:21], v[16:17]
	s_and_saveexec_b32 s25, s3
	s_cbranch_execz .LBB133_32
; %bb.31:                               ;   in Loop: Header=BB133_4 Depth=1
	flat_load_b32 v21, v[18:19]
	v_mov_b64_e32 v[22:23], s[40:41]
	v_mov_b32_e32 v20, v14
	s_wait_loadcnt_dscnt 0x0
	s_delay_alu instid0(VALU_DEP_1) | instskip(NEXT) | instid1(VALU_DEP_1)
	v_pk_mul_f32 v[20:21], v[22:23], v[20:21]
	v_add_f32_e32 v14, v20, v21
	flat_store_b32 v[16:17], v14
.LBB133_32:                             ;   in Loop: Header=BB133_4 Depth=1
	s_wait_xcnt 0x0
	s_or_b32 exec_lo, exec_lo, s25
	s_delay_alu instid0(SALU_CYCLE_1)
	s_and_b32 exec_lo, exec_lo, s4
	s_cbranch_execz .LBB133_2
; %bb.33:                               ;   in Loop: Header=BB133_4 Depth=1
	flat_load_b32 v19, v[18:19] offset:64
	s_wait_xcnt 0x0
	v_mov_b32_e32 v18, v15
	v_mov_b64_e32 v[14:15], s[40:41]
	s_wait_loadcnt_dscnt 0x0
	s_delay_alu instid0(VALU_DEP_1) | instskip(NEXT) | instid1(VALU_DEP_1)
	v_pk_mul_f32 v[14:15], v[14:15], v[18:19]
	v_add_f32_e32 v14, v14, v15
	flat_store_b32 v[16:17], v14 offset:64
	s_branch .LBB133_2
.LBB133_34:
	s_endpgm
	.section	.rodata,"a",@progbits
	.p2align	6, 0x0
	.amdhsa_kernel _ZN12_GLOBAL__N_135rocblas_gemm_batched_general_kernelIfLi16ELi16ELi32ELi32ELi8ELi32ELi8ELi8ELi32ELc84ELc84EKPKDF16_KPKfKPfEEvlllT_PT11_llSB_llS9_PT12_llPT13_lli
		.amdhsa_group_segment_fixed_size 2048
		.amdhsa_private_segment_fixed_size 0
		.amdhsa_kernarg_size 140
		.amdhsa_user_sgpr_count 2
		.amdhsa_user_sgpr_dispatch_ptr 0
		.amdhsa_user_sgpr_queue_ptr 0
		.amdhsa_user_sgpr_kernarg_segment_ptr 1
		.amdhsa_user_sgpr_dispatch_id 0
		.amdhsa_user_sgpr_kernarg_preload_length 0
		.amdhsa_user_sgpr_kernarg_preload_offset 0
		.amdhsa_user_sgpr_private_segment_size 0
		.amdhsa_wavefront_size32 1
		.amdhsa_uses_dynamic_stack 0
		.amdhsa_enable_private_segment 0
		.amdhsa_system_sgpr_workgroup_id_x 1
		.amdhsa_system_sgpr_workgroup_id_y 1
		.amdhsa_system_sgpr_workgroup_id_z 1
		.amdhsa_system_sgpr_workgroup_info 0
		.amdhsa_system_vgpr_workitem_id 1
		.amdhsa_next_free_vgpr 56
		.amdhsa_next_free_sgpr 42
		.amdhsa_named_barrier_count 0
		.amdhsa_reserve_vcc 1
		.amdhsa_float_round_mode_32 0
		.amdhsa_float_round_mode_16_64 0
		.amdhsa_float_denorm_mode_32 3
		.amdhsa_float_denorm_mode_16_64 3
		.amdhsa_fp16_overflow 0
		.amdhsa_memory_ordered 1
		.amdhsa_forward_progress 1
		.amdhsa_inst_pref_size 15
		.amdhsa_round_robin_scheduling 0
		.amdhsa_exception_fp_ieee_invalid_op 0
		.amdhsa_exception_fp_denorm_src 0
		.amdhsa_exception_fp_ieee_div_zero 0
		.amdhsa_exception_fp_ieee_overflow 0
		.amdhsa_exception_fp_ieee_underflow 0
		.amdhsa_exception_fp_ieee_inexact 0
		.amdhsa_exception_int_div_zero 0
	.end_amdhsa_kernel
	.section	.text._ZN12_GLOBAL__N_135rocblas_gemm_batched_general_kernelIfLi16ELi16ELi32ELi32ELi8ELi32ELi8ELi8ELi32ELc84ELc84EKPKDF16_KPKfKPfEEvlllT_PT11_llSB_llS9_PT12_llPT13_lli,"axG",@progbits,_ZN12_GLOBAL__N_135rocblas_gemm_batched_general_kernelIfLi16ELi16ELi32ELi32ELi8ELi32ELi8ELi8ELi32ELc84ELc84EKPKDF16_KPKfKPfEEvlllT_PT11_llSB_llS9_PT12_llPT13_lli,comdat
.Lfunc_end133:
	.size	_ZN12_GLOBAL__N_135rocblas_gemm_batched_general_kernelIfLi16ELi16ELi32ELi32ELi8ELi32ELi8ELi8ELi32ELc84ELc84EKPKDF16_KPKfKPfEEvlllT_PT11_llSB_llS9_PT12_llPT13_lli, .Lfunc_end133-_ZN12_GLOBAL__N_135rocblas_gemm_batched_general_kernelIfLi16ELi16ELi32ELi32ELi8ELi32ELi8ELi8ELi32ELc84ELc84EKPKDF16_KPKfKPfEEvlllT_PT11_llSB_llS9_PT12_llPT13_lli
                                        ; -- End function
	.set _ZN12_GLOBAL__N_135rocblas_gemm_batched_general_kernelIfLi16ELi16ELi32ELi32ELi8ELi32ELi8ELi8ELi32ELc84ELc84EKPKDF16_KPKfKPfEEvlllT_PT11_llSB_llS9_PT12_llPT13_lli.num_vgpr, 56
	.set _ZN12_GLOBAL__N_135rocblas_gemm_batched_general_kernelIfLi16ELi16ELi32ELi32ELi8ELi32ELi8ELi8ELi32ELc84ELc84EKPKDF16_KPKfKPfEEvlllT_PT11_llSB_llS9_PT12_llPT13_lli.num_agpr, 0
	.set _ZN12_GLOBAL__N_135rocblas_gemm_batched_general_kernelIfLi16ELi16ELi32ELi32ELi8ELi32ELi8ELi8ELi32ELc84ELc84EKPKDF16_KPKfKPfEEvlllT_PT11_llSB_llS9_PT12_llPT13_lli.numbered_sgpr, 42
	.set _ZN12_GLOBAL__N_135rocblas_gemm_batched_general_kernelIfLi16ELi16ELi32ELi32ELi8ELi32ELi8ELi8ELi32ELc84ELc84EKPKDF16_KPKfKPfEEvlllT_PT11_llSB_llS9_PT12_llPT13_lli.num_named_barrier, 0
	.set _ZN12_GLOBAL__N_135rocblas_gemm_batched_general_kernelIfLi16ELi16ELi32ELi32ELi8ELi32ELi8ELi8ELi32ELc84ELc84EKPKDF16_KPKfKPfEEvlllT_PT11_llSB_llS9_PT12_llPT13_lli.private_seg_size, 0
	.set _ZN12_GLOBAL__N_135rocblas_gemm_batched_general_kernelIfLi16ELi16ELi32ELi32ELi8ELi32ELi8ELi8ELi32ELc84ELc84EKPKDF16_KPKfKPfEEvlllT_PT11_llSB_llS9_PT12_llPT13_lli.uses_vcc, 1
	.set _ZN12_GLOBAL__N_135rocblas_gemm_batched_general_kernelIfLi16ELi16ELi32ELi32ELi8ELi32ELi8ELi8ELi32ELc84ELc84EKPKDF16_KPKfKPfEEvlllT_PT11_llSB_llS9_PT12_llPT13_lli.uses_flat_scratch, 0
	.set _ZN12_GLOBAL__N_135rocblas_gemm_batched_general_kernelIfLi16ELi16ELi32ELi32ELi8ELi32ELi8ELi8ELi32ELc84ELc84EKPKDF16_KPKfKPfEEvlllT_PT11_llSB_llS9_PT12_llPT13_lli.has_dyn_sized_stack, 0
	.set _ZN12_GLOBAL__N_135rocblas_gemm_batched_general_kernelIfLi16ELi16ELi32ELi32ELi8ELi32ELi8ELi8ELi32ELc84ELc84EKPKDF16_KPKfKPfEEvlllT_PT11_llSB_llS9_PT12_llPT13_lli.has_recursion, 0
	.set _ZN12_GLOBAL__N_135rocblas_gemm_batched_general_kernelIfLi16ELi16ELi32ELi32ELi8ELi32ELi8ELi8ELi32ELc84ELc84EKPKDF16_KPKfKPfEEvlllT_PT11_llSB_llS9_PT12_llPT13_lli.has_indirect_call, 0
	.section	.AMDGPU.csdata,"",@progbits
; Kernel info:
; codeLenInByte = 1848
; TotalNumSgprs: 44
; NumVgprs: 56
; ScratchSize: 0
; MemoryBound: 0
; FloatMode: 240
; IeeeMode: 1
; LDSByteSize: 2048 bytes/workgroup (compile time only)
; SGPRBlocks: 0
; VGPRBlocks: 3
; NumSGPRsForWavesPerEU: 44
; NumVGPRsForWavesPerEU: 56
; NamedBarCnt: 0
; Occupancy: 16
; WaveLimiterHint : 1
; COMPUTE_PGM_RSRC2:SCRATCH_EN: 0
; COMPUTE_PGM_RSRC2:USER_SGPR: 2
; COMPUTE_PGM_RSRC2:TRAP_HANDLER: 0
; COMPUTE_PGM_RSRC2:TGID_X_EN: 1
; COMPUTE_PGM_RSRC2:TGID_Y_EN: 1
; COMPUTE_PGM_RSRC2:TGID_Z_EN: 1
; COMPUTE_PGM_RSRC2:TIDIG_COMP_CNT: 1
	.section	.text._ZN12_GLOBAL__N_135rocblas_gemm_batched_general_kernelIfLi16ELi16ELi32ELi32ELi8ELi32ELi8ELi8ELi32ELc67ELc67EKPKDF16_KPKfKPfEEvlllT_PT11_llSB_llS9_PT12_llPT13_lli,"axG",@progbits,_ZN12_GLOBAL__N_135rocblas_gemm_batched_general_kernelIfLi16ELi16ELi32ELi32ELi8ELi32ELi8ELi8ELi32ELc67ELc67EKPKDF16_KPKfKPfEEvlllT_PT11_llSB_llS9_PT12_llPT13_lli,comdat
	.globl	_ZN12_GLOBAL__N_135rocblas_gemm_batched_general_kernelIfLi16ELi16ELi32ELi32ELi8ELi32ELi8ELi8ELi32ELc67ELc67EKPKDF16_KPKfKPfEEvlllT_PT11_llSB_llS9_PT12_llPT13_lli ; -- Begin function _ZN12_GLOBAL__N_135rocblas_gemm_batched_general_kernelIfLi16ELi16ELi32ELi32ELi8ELi32ELi8ELi8ELi32ELc67ELc67EKPKDF16_KPKfKPfEEvlllT_PT11_llSB_llS9_PT12_llPT13_lli
	.p2align	8
	.type	_ZN12_GLOBAL__N_135rocblas_gemm_batched_general_kernelIfLi16ELi16ELi32ELi32ELi8ELi32ELi8ELi8ELi32ELc67ELc67EKPKDF16_KPKfKPfEEvlllT_PT11_llSB_llS9_PT12_llPT13_lli,@function
_ZN12_GLOBAL__N_135rocblas_gemm_batched_general_kernelIfLi16ELi16ELi32ELi32ELi8ELi32ELi8ELi8ELi32ELc67ELc67EKPKDF16_KPKfKPfEEvlllT_PT11_llSB_llS9_PT12_llPT13_lli: ; @_ZN12_GLOBAL__N_135rocblas_gemm_batched_general_kernelIfLi16ELi16ELi32ELi32ELi8ELi32ELi8ELi8ELi32ELc67ELc67EKPKDF16_KPKfKPfEEvlllT_PT11_llSB_llS9_PT12_llPT13_lli
; %bb.0:
	s_load_b32 s33, s[0:1], 0x88
	s_bfe_u32 s2, ttmp6, 0x40014
	s_lshr_b32 s3, ttmp7, 16
	s_add_co_i32 s2, s2, 1
	s_bfe_u32 s5, ttmp6, 0x40008
	s_mul_i32 s4, s3, s2
	s_getreg_b32 s2, hwreg(HW_REG_IB_STS2, 6, 4)
	s_add_co_i32 s5, s5, s4
	s_cmp_eq_u32 s2, 0
	s_mov_b32 s35, 0
	s_cselect_b32 s34, s3, s5
	s_wait_kmcnt 0x0
	s_cmp_ge_i32 s34, s33
	s_cbranch_scc1 .LBB134_34
; %bb.1:
	v_bfe_u32 v10, v0, 10, 10
	v_and_b32_e32 v12, 0x3ff, v0
	s_clause 0x6
	s_load_b128 s[4:7], s[0:1], 0x0
	s_load_b96 s[36:38], s[0:1], 0x10
	s_load_b256 s[8:15], s[0:1], 0x20
	s_load_b128 s[24:27], s[0:1], 0x40
	s_load_b32 s41, s[0:1], 0x50
	s_load_b128 s[28:31], s[0:1], 0x78
	s_load_b256 s[16:23], s[0:1], 0x58
	s_wait_xcnt 0x0
	s_bfe_u32 s0, ttmp6, 0x4000c
	s_bfe_u32 s3, ttmp6, 0x40010
	s_add_co_i32 s0, s0, 1
	s_and_b32 s39, ttmp7, 0xffff
	s_add_co_i32 s3, s3, 1
	s_and_b32 s1, ttmp6, 15
	s_mul_i32 s0, ttmp9, s0
	s_mul_i32 s3, s39, s3
	s_bfe_u32 s40, ttmp6, 0x40004
	v_lshl_add_u32 v6, v10, 4, v12
	s_add_co_i32 s1, s1, s0
	s_add_co_i32 s40, s40, s3
	s_cmp_eq_u32 s2, 0
	s_delay_alu instid0(VALU_DEP_1) | instskip(SKIP_3) | instid1(VALU_DEP_1)
	v_dual_mov_b32 v1, 0 :: v_dual_bitop2_b32 v8, 31, v6 bitop3:0x40
	s_cselect_b32 s0, ttmp9, s1
	s_cselect_b32 s40, s39, s40
	s_ashr_i32 s1, s0, 31
	v_dual_mov_b32 v11, v1 :: v_dual_bitop2_b32 v2, 7, v0 bitop3:0x40
	s_lshl_b64 s[2:3], s[0:1], 5
	v_dual_mov_b32 v3, v1 :: v_dual_lshrrev_b32 v14, 3, v6
	v_dual_mov_b32 v15, v1 :: v_dual_bitop2_b32 v4, s2, v8 bitop3:0x54
	s_delay_alu instid0(VALU_DEP_3) | instskip(SKIP_1) | instid1(VALU_DEP_3)
	v_dual_mov_b32 v5, s3 :: v_dual_lshlrev_b32 v9, 2, v2
	s_wait_kmcnt 0x0
	v_mul_u64_e32 v[16:17], s[24:25], v[2:3]
	s_lshl_b32 s0, s40, 5
	s_mov_b32 s1, s35
	v_mul_u64_e32 v[18:19], s[10:11], v[4:5]
	v_dual_lshrrev_b32 v0, 5, v6 :: v_dual_lshlrev_b32 v8, 2, v8
	v_add_nc_u64_e32 v[6:7], s[0:1], v[14:15]
	v_add_nc_u64_e32 v[20:21], s[0:1], v[10:11]
	v_lshl_or_b32 v9, v14, 5, v9
	v_dual_mov_b32 v13, v1 :: v_dual_lshlrev_b32 v30, 2, v12
	v_lshl_or_b32 v28, v0, 7, v8
	v_cmp_gt_i64_e64 s0, s[4:5], v[4:5]
	v_cmp_gt_i64_e64 s1, s[6:7], v[6:7]
	v_add_nc_u32_e32 v29, 0x400, v9
	v_mul_u64_e32 v[6:7], s[28:29], v[20:21]
	v_mul_u64_e32 v[8:9], s[18:19], v[20:21]
	v_add_nc_u64_e32 v[4:5], s[2:3], v[12:13]
	v_lshl_add_u32 v31, v10, 5, 0x400
	v_add_nc_u64_e32 v[12:13], 16, v[20:21]
	s_cmp_eq_f32 s41, 0
	s_mov_b32 s11, s35
	v_cmp_gt_i64_e64 s2, s[6:7], v[20:21]
	s_delay_alu instid0(VALU_DEP_4)
	v_add_nc_u64_e32 v[10:11], 16, v[4:5]
	s_cselect_b32 s39, -1, 0
	s_lshl_b32 s10, s40, 6
	s_lshl_b64 s[26:27], s[26:27], 1
	v_cmp_gt_i64_e64 s3, s[4:5], v[4:5]
	s_add_nc_u64 s[10:11], s[26:27], s[10:11]
	v_cmp_gt_i64_e64 s26, s[36:37], 0
	v_cmp_gt_i64_e64 s4, s[4:5], v[10:11]
	;; [unrolled: 1-line block ×3, first 2 shown]
	s_lshl_b64 s[6:7], s[12:13], 1
	v_lshl_add_u64 v[10:11], v[16:17], 1, s[10:11]
	v_dual_mov_b32 v13, v1 :: v_dual_lshlrev_b32 v12, 1, v14
	v_lshl_add_u64 v[14:15], v[18:19], 1, s[6:7]
	v_dual_mov_b32 v17, v1 :: v_dual_lshlrev_b32 v16, 1, v0
	s_lshl_b64 s[6:7], s[28:29], 4
	s_delay_alu instid0(VALU_DEP_3)
	v_add_nc_u64_e32 v[10:11], v[10:11], v[12:13]
	s_mov_b32 s40, s38
	s_lshl_b64 s[10:11], s[18:19], 4
	v_add_nc_u64_e32 v[12:13], v[14:15], v[16:17]
	s_lshl_b64 s[12:13], s[24:25], 4
	s_lshl_b64 s[18:19], s[30:31], 2
	;; [unrolled: 1-line block ×3, first 2 shown]
	s_branch .LBB134_4
.LBB134_2:                              ;   in Loop: Header=BB134_4 Depth=1
	s_wait_xcnt 0x0
	s_or_b32 exec_lo, exec_lo, s24
.LBB134_3:                              ;   in Loop: Header=BB134_4 Depth=1
	s_add_co_i32 s34, s34, 0x10000
	s_delay_alu instid0(SALU_CYCLE_1)
	s_cmp_lt_i32 s34, s33
	s_cbranch_scc0 .LBB134_34
.LBB134_4:                              ; =>This Loop Header: Depth=1
                                        ;     Child Loop BB134_7 Depth 2
	v_dual_mov_b32 v14, s34 :: v_dual_mov_b32 v19, 0
	v_dual_mov_b32 v18, 0 :: v_dual_mov_b32 v15, 0
	s_and_not1_b32 vcc_lo, exec_lo, s26
	s_clause 0x1
	global_load_b64 v[16:17], v14, s[16:17] scale_offset
	global_load_b64 v[20:21], v14, s[22:23] scale_offset
	s_wait_xcnt 0x0
	v_mov_b32_e32 v14, 0
	s_cbranch_vccnz .LBB134_11
; %bb.5:                                ;   in Loop: Header=BB134_4 Depth=1
	s_lshl_b64 s[24:25], s[34:35], 3
	v_mov_b32_e32 v18, 0
	s_add_nc_u64 s[28:29], s[14:15], s[24:25]
	s_add_nc_u64 s[24:25], s[8:9], s[24:25]
	s_clause 0x1
	global_load_b64 v[14:15], v1, s[28:29]
	global_load_b64 v[24:25], v1, s[24:25]
	s_wait_xcnt 0x0
	s_mov_b64 s[24:25], 0
	v_mov_b32_e32 v19, v18
	s_wait_loadcnt 0x1
	v_add_nc_u64_e32 v[22:23], v[14:15], v[10:11]
	s_wait_loadcnt 0x0
	v_add_nc_u64_e32 v[24:25], v[24:25], v[12:13]
	v_dual_mov_b32 v14, v18 :: v_dual_mov_b32 v15, v18
	s_branch .LBB134_7
.LBB134_6:                              ;   in Loop: Header=BB134_7 Depth=2
	s_wait_xcnt 0x0
	s_or_b32 exec_lo, exec_lo, s27
	ds_store_b32 v29, v27
	s_wait_dscnt 0x0
	s_barrier_signal -1
	s_barrier_wait -1
	ds_load_b128 v[32:35], v31
	ds_load_2addr_b32 v[26:27], v30 offset1:16
	ds_load_b128 v[36:39], v31 offset:512
	ds_load_2addr_b32 v[48:49], v30 offset0:32 offset1:48
	ds_load_2addr_b32 v[50:51], v30 offset0:64 offset1:80
	;; [unrolled: 1-line block ×3, first 2 shown]
	ds_load_b128 v[40:43], v31 offset:16
	ds_load_2addr_b32 v[54:55], v30 offset0:128 offset1:144
	ds_load_b128 v[44:47], v31 offset:528
	s_add_nc_u64 s[24:25], s[24:25], 8
	v_add_nc_u64_e32 v[22:23], s[12:13], v[22:23]
	v_cmp_lt_i64_e64 s27, s[24:25], s[36:37]
	v_add_nc_u64_e32 v[24:25], 16, v[24:25]
	s_and_b32 vcc_lo, exec_lo, s27
	s_wait_dscnt 0x7
	v_pk_fma_f32 v[18:19], v[26:27], v[32:33], v[18:19] op_sel_hi:[1,0,1]
	s_wait_dscnt 0x6
	v_pk_fma_f32 v[14:15], v[26:27], v[36:37], v[14:15] op_sel_hi:[1,0,1]
	ds_load_2addr_b32 v[26:27], v30 offset0:160 offset1:176
	s_wait_dscnt 0x6
	v_pk_fma_f32 v[18:19], v[48:49], v[32:33], v[18:19] op_sel:[0,1,0]
	v_pk_fma_f32 v[14:15], v[48:49], v[36:37], v[14:15] op_sel:[0,1,0]
	ds_load_2addr_b32 v[32:33], v30 offset0:192 offset1:208
	v_dual_mov_b32 v36, v35 :: v_dual_mov_b32 v48, v39
	s_wait_dscnt 0x6
	v_pk_fma_f32 v[18:19], v[50:51], v[34:35], v[18:19] op_sel_hi:[1,0,1]
	v_pk_fma_f32 v[14:15], v[50:51], v[38:39], v[14:15] op_sel_hi:[1,0,1]
	ds_load_2addr_b32 v[34:35], v30 offset0:224 offset1:240
	s_wait_dscnt 0x0
	s_barrier_signal -1
	v_pk_fma_f32 v[18:19], v[52:53], v[36:37], v[18:19] op_sel_hi:[1,0,1]
	v_pk_fma_f32 v[14:15], v[52:53], v[48:49], v[14:15] op_sel_hi:[1,0,1]
	s_barrier_wait -1
	v_mov_b32_e32 v36, v47
	s_delay_alu instid0(VALU_DEP_3) | instskip(NEXT) | instid1(VALU_DEP_3)
	v_pk_fma_f32 v[18:19], v[54:55], v[40:41], v[18:19] op_sel_hi:[1,0,1]
	v_pk_fma_f32 v[14:15], v[54:55], v[44:45], v[14:15] op_sel_hi:[1,0,1]
	s_delay_alu instid0(VALU_DEP_2) | instskip(NEXT) | instid1(VALU_DEP_2)
	v_pk_fma_f32 v[18:19], v[26:27], v[40:41], v[18:19] op_sel:[0,1,0]
	v_pk_fma_f32 v[14:15], v[26:27], v[44:45], v[14:15] op_sel:[0,1,0]
	v_mov_b32_e32 v26, v43
	s_delay_alu instid0(VALU_DEP_3) | instskip(NEXT) | instid1(VALU_DEP_3)
	v_pk_fma_f32 v[18:19], v[32:33], v[42:43], v[18:19] op_sel_hi:[1,0,1]
	v_pk_fma_f32 v[14:15], v[32:33], v[46:47], v[14:15] op_sel_hi:[1,0,1]
	s_delay_alu instid0(VALU_DEP_2) | instskip(NEXT) | instid1(VALU_DEP_2)
	v_pk_fma_f32 v[18:19], v[34:35], v[26:27], v[18:19] op_sel_hi:[1,0,1]
	v_pk_fma_f32 v[14:15], v[34:35], v[36:37], v[14:15] op_sel_hi:[1,0,1]
	s_cbranch_vccz .LBB134_11
.LBB134_7:                              ;   Parent Loop BB134_4 Depth=1
                                        ; =>  This Inner Loop Header: Depth=2
	v_add_nc_u64_e32 v[26:27], s[24:25], v[0:1]
	s_delay_alu instid0(VALU_DEP_1) | instskip(SKIP_2) | instid1(SALU_CYCLE_1)
	v_cmp_gt_i64_e32 vcc_lo, s[36:37], v[26:27]
	v_mov_b32_e32 v26, 0
	s_and_b32 s28, s0, vcc_lo
	s_and_saveexec_b32 s27, s28
	s_cbranch_execz .LBB134_9
; %bb.8:                                ;   in Loop: Header=BB134_7 Depth=2
	flat_load_u16 v26, v[24:25]
	s_wait_loadcnt_dscnt 0x0
	v_cvt_f32_f16_e32 v26, v26
.LBB134_9:                              ;   in Loop: Header=BB134_7 Depth=2
	s_wait_xcnt 0x0
	s_or_b32 exec_lo, exec_lo, s27
	v_add_nc_u64_e32 v[32:33], s[24:25], v[2:3]
	v_mov_b32_e32 v27, 0
	ds_store_b32 v28, v26
	v_cmp_gt_i64_e32 vcc_lo, s[36:37], v[32:33]
	s_and_b32 s28, vcc_lo, s1
	s_delay_alu instid0(SALU_CYCLE_1)
	s_and_saveexec_b32 s27, s28
	s_cbranch_execz .LBB134_6
; %bb.10:                               ;   in Loop: Header=BB134_7 Depth=2
	flat_load_u16 v26, v[22:23]
	s_wait_loadcnt_dscnt 0x0
	v_cvt_f32_f16_e32 v27, v26
	s_branch .LBB134_6
.LBB134_11:                             ;   in Loop: Header=BB134_4 Depth=1
	s_wait_loadcnt 0x0
	v_add_nc_u64_e32 v[20:21], s[18:19], v[20:21]
	s_and_not1_b32 vcc_lo, exec_lo, s39
	s_cbranch_vccnz .LBB134_16
; %bb.12:                               ;   in Loop: Header=BB134_4 Depth=1
	s_and_saveexec_b32 s24, s2
	s_cbranch_execz .LBB134_23
; %bb.13:                               ;   in Loop: Header=BB134_4 Depth=1
	s_delay_alu instid0(VALU_DEP_1) | instskip(NEXT) | instid1(VALU_DEP_1)
	v_lshl_add_u64 v[22:23], v[6:7], 2, v[20:21]
	v_lshl_add_u64 v[24:25], v[4:5], 2, v[22:23]
	s_and_saveexec_b32 s25, s3
	s_cbranch_execnz .LBB134_17
; %bb.14:                               ;   in Loop: Header=BB134_4 Depth=1
	s_or_b32 exec_lo, exec_lo, s25
	s_and_saveexec_b32 s25, s4
	s_cbranch_execnz .LBB134_18
.LBB134_15:                             ;   in Loop: Header=BB134_4 Depth=1
	s_or_b32 exec_lo, exec_lo, s25
	s_delay_alu instid0(SALU_CYCLE_1)
	s_and_b32 exec_lo, exec_lo, s5
	s_cbranch_execnz .LBB134_19
	s_branch .LBB134_23
.LBB134_16:                             ;   in Loop: Header=BB134_4 Depth=1
	s_branch .LBB134_24
.LBB134_17:                             ;   in Loop: Header=BB134_4 Depth=1
	v_mul_f32_e32 v26, s38, v18
	flat_store_b32 v[24:25], v26
	s_wait_xcnt 0x0
	s_or_b32 exec_lo, exec_lo, s25
	s_and_saveexec_b32 s25, s4
	s_cbranch_execz .LBB134_15
.LBB134_18:                             ;   in Loop: Header=BB134_4 Depth=1
	v_mul_f32_e32 v26, s38, v19
	flat_store_b32 v[24:25], v26 offset:64
	s_wait_xcnt 0x0
	s_or_b32 exec_lo, exec_lo, s25
	s_delay_alu instid0(SALU_CYCLE_1)
	s_and_b32 exec_lo, exec_lo, s5
	s_cbranch_execz .LBB134_23
.LBB134_19:                             ;   in Loop: Header=BB134_4 Depth=1
	v_lshl_add_u64 v[22:23], s[6:7], 2, v[22:23]
	s_delay_alu instid0(VALU_DEP_1)
	v_lshl_add_u64 v[22:23], v[4:5], 2, v[22:23]
	s_and_saveexec_b32 s25, s3
	s_cbranch_execz .LBB134_21
; %bb.20:                               ;   in Loop: Header=BB134_4 Depth=1
	v_mul_f32_e32 v24, s38, v14
	flat_store_b32 v[22:23], v24
.LBB134_21:                             ;   in Loop: Header=BB134_4 Depth=1
	s_wait_xcnt 0x0
	s_or_b32 exec_lo, exec_lo, s25
	s_delay_alu instid0(SALU_CYCLE_1)
	s_and_b32 exec_lo, exec_lo, s4
	s_cbranch_execz .LBB134_23
; %bb.22:                               ;   in Loop: Header=BB134_4 Depth=1
	v_mul_f32_e32 v24, s38, v15
	flat_store_b32 v[22:23], v24 offset:64
.LBB134_23:                             ;   in Loop: Header=BB134_4 Depth=1
	s_wait_xcnt 0x0
	s_or_b32 exec_lo, exec_lo, s24
	s_cbranch_execnz .LBB134_3
.LBB134_24:                             ;   in Loop: Header=BB134_4 Depth=1
	s_and_saveexec_b32 s24, s2
	s_cbranch_execz .LBB134_2
; %bb.25:                               ;   in Loop: Header=BB134_4 Depth=1
	v_add_nc_u64_e32 v[22:23], s[20:21], v[16:17]
	v_lshlrev_b64_e32 v[16:17], 2, v[4:5]
	v_lshl_add_u64 v[20:21], v[6:7], 2, v[20:21]
	s_delay_alu instid0(VALU_DEP_3) | instskip(NEXT) | instid1(VALU_DEP_2)
	v_lshl_add_u64 v[22:23], v[8:9], 2, v[22:23]
	v_add_nc_u64_e32 v[24:25], v[20:21], v[16:17]
	s_delay_alu instid0(VALU_DEP_2)
	v_add_nc_u64_e32 v[26:27], v[22:23], v[16:17]
	s_and_saveexec_b32 s25, s3
	s_cbranch_execnz .LBB134_28
; %bb.26:                               ;   in Loop: Header=BB134_4 Depth=1
	s_or_b32 exec_lo, exec_lo, s25
	s_and_saveexec_b32 s25, s4
	s_cbranch_execnz .LBB134_29
.LBB134_27:                             ;   in Loop: Header=BB134_4 Depth=1
	s_or_b32 exec_lo, exec_lo, s25
	s_delay_alu instid0(SALU_CYCLE_1)
	s_and_b32 exec_lo, exec_lo, s5
	s_cbranch_execz .LBB134_2
	s_branch .LBB134_30
.LBB134_28:                             ;   in Loop: Header=BB134_4 Depth=1
	flat_load_b32 v33, v[26:27]
	v_mov_b64_e32 v[34:35], s[40:41]
	v_mov_b32_e32 v32, v18
	s_wait_loadcnt_dscnt 0x0
	s_delay_alu instid0(VALU_DEP_1) | instskip(NEXT) | instid1(VALU_DEP_1)
	v_pk_mul_f32 v[32:33], v[34:35], v[32:33]
	v_add_f32_e32 v18, v32, v33
	flat_store_b32 v[24:25], v18
	s_wait_xcnt 0x0
	s_or_b32 exec_lo, exec_lo, s25
	s_and_saveexec_b32 s25, s4
	s_cbranch_execz .LBB134_27
.LBB134_29:                             ;   in Loop: Header=BB134_4 Depth=1
	flat_load_b32 v27, v[26:27] offset:64
	s_wait_xcnt 0x0
	v_mov_b32_e32 v26, v19
	v_mov_b64_e32 v[18:19], s[40:41]
	s_wait_loadcnt_dscnt 0x0
	s_delay_alu instid0(VALU_DEP_1) | instskip(NEXT) | instid1(VALU_DEP_1)
	v_pk_mul_f32 v[18:19], v[18:19], v[26:27]
	v_add_f32_e32 v18, v18, v19
	flat_store_b32 v[24:25], v18 offset:64
	s_wait_xcnt 0x0
	s_or_b32 exec_lo, exec_lo, s25
	s_delay_alu instid0(SALU_CYCLE_1)
	s_and_b32 exec_lo, exec_lo, s5
	s_cbranch_execz .LBB134_2
.LBB134_30:                             ;   in Loop: Header=BB134_4 Depth=1
	v_lshl_add_u64 v[18:19], s[10:11], 2, v[22:23]
	v_lshl_add_u64 v[20:21], s[6:7], 2, v[20:21]
	s_delay_alu instid0(VALU_DEP_2) | instskip(NEXT) | instid1(VALU_DEP_2)
	v_add_nc_u64_e32 v[18:19], v[18:19], v[16:17]
	v_add_nc_u64_e32 v[16:17], v[20:21], v[16:17]
	s_and_saveexec_b32 s25, s3
	s_cbranch_execz .LBB134_32
; %bb.31:                               ;   in Loop: Header=BB134_4 Depth=1
	flat_load_b32 v21, v[18:19]
	v_mov_b64_e32 v[22:23], s[40:41]
	v_mov_b32_e32 v20, v14
	s_wait_loadcnt_dscnt 0x0
	s_delay_alu instid0(VALU_DEP_1) | instskip(NEXT) | instid1(VALU_DEP_1)
	v_pk_mul_f32 v[20:21], v[22:23], v[20:21]
	v_add_f32_e32 v14, v20, v21
	flat_store_b32 v[16:17], v14
.LBB134_32:                             ;   in Loop: Header=BB134_4 Depth=1
	s_wait_xcnt 0x0
	s_or_b32 exec_lo, exec_lo, s25
	s_delay_alu instid0(SALU_CYCLE_1)
	s_and_b32 exec_lo, exec_lo, s4
	s_cbranch_execz .LBB134_2
; %bb.33:                               ;   in Loop: Header=BB134_4 Depth=1
	flat_load_b32 v19, v[18:19] offset:64
	s_wait_xcnt 0x0
	v_mov_b32_e32 v18, v15
	v_mov_b64_e32 v[14:15], s[40:41]
	s_wait_loadcnt_dscnt 0x0
	s_delay_alu instid0(VALU_DEP_1) | instskip(NEXT) | instid1(VALU_DEP_1)
	v_pk_mul_f32 v[14:15], v[14:15], v[18:19]
	v_add_f32_e32 v14, v14, v15
	flat_store_b32 v[16:17], v14 offset:64
	s_branch .LBB134_2
.LBB134_34:
	s_endpgm
	.section	.rodata,"a",@progbits
	.p2align	6, 0x0
	.amdhsa_kernel _ZN12_GLOBAL__N_135rocblas_gemm_batched_general_kernelIfLi16ELi16ELi32ELi32ELi8ELi32ELi8ELi8ELi32ELc67ELc67EKPKDF16_KPKfKPfEEvlllT_PT11_llSB_llS9_PT12_llPT13_lli
		.amdhsa_group_segment_fixed_size 2048
		.amdhsa_private_segment_fixed_size 0
		.amdhsa_kernarg_size 140
		.amdhsa_user_sgpr_count 2
		.amdhsa_user_sgpr_dispatch_ptr 0
		.amdhsa_user_sgpr_queue_ptr 0
		.amdhsa_user_sgpr_kernarg_segment_ptr 1
		.amdhsa_user_sgpr_dispatch_id 0
		.amdhsa_user_sgpr_kernarg_preload_length 0
		.amdhsa_user_sgpr_kernarg_preload_offset 0
		.amdhsa_user_sgpr_private_segment_size 0
		.amdhsa_wavefront_size32 1
		.amdhsa_uses_dynamic_stack 0
		.amdhsa_enable_private_segment 0
		.amdhsa_system_sgpr_workgroup_id_x 1
		.amdhsa_system_sgpr_workgroup_id_y 1
		.amdhsa_system_sgpr_workgroup_id_z 1
		.amdhsa_system_sgpr_workgroup_info 0
		.amdhsa_system_vgpr_workitem_id 1
		.amdhsa_next_free_vgpr 56
		.amdhsa_next_free_sgpr 42
		.amdhsa_named_barrier_count 0
		.amdhsa_reserve_vcc 1
		.amdhsa_float_round_mode_32 0
		.amdhsa_float_round_mode_16_64 0
		.amdhsa_float_denorm_mode_32 3
		.amdhsa_float_denorm_mode_16_64 3
		.amdhsa_fp16_overflow 0
		.amdhsa_memory_ordered 1
		.amdhsa_forward_progress 1
		.amdhsa_inst_pref_size 15
		.amdhsa_round_robin_scheduling 0
		.amdhsa_exception_fp_ieee_invalid_op 0
		.amdhsa_exception_fp_denorm_src 0
		.amdhsa_exception_fp_ieee_div_zero 0
		.amdhsa_exception_fp_ieee_overflow 0
		.amdhsa_exception_fp_ieee_underflow 0
		.amdhsa_exception_fp_ieee_inexact 0
		.amdhsa_exception_int_div_zero 0
	.end_amdhsa_kernel
	.section	.text._ZN12_GLOBAL__N_135rocblas_gemm_batched_general_kernelIfLi16ELi16ELi32ELi32ELi8ELi32ELi8ELi8ELi32ELc67ELc67EKPKDF16_KPKfKPfEEvlllT_PT11_llSB_llS9_PT12_llPT13_lli,"axG",@progbits,_ZN12_GLOBAL__N_135rocblas_gemm_batched_general_kernelIfLi16ELi16ELi32ELi32ELi8ELi32ELi8ELi8ELi32ELc67ELc67EKPKDF16_KPKfKPfEEvlllT_PT11_llSB_llS9_PT12_llPT13_lli,comdat
.Lfunc_end134:
	.size	_ZN12_GLOBAL__N_135rocblas_gemm_batched_general_kernelIfLi16ELi16ELi32ELi32ELi8ELi32ELi8ELi8ELi32ELc67ELc67EKPKDF16_KPKfKPfEEvlllT_PT11_llSB_llS9_PT12_llPT13_lli, .Lfunc_end134-_ZN12_GLOBAL__N_135rocblas_gemm_batched_general_kernelIfLi16ELi16ELi32ELi32ELi8ELi32ELi8ELi8ELi32ELc67ELc67EKPKDF16_KPKfKPfEEvlllT_PT11_llSB_llS9_PT12_llPT13_lli
                                        ; -- End function
	.set _ZN12_GLOBAL__N_135rocblas_gemm_batched_general_kernelIfLi16ELi16ELi32ELi32ELi8ELi32ELi8ELi8ELi32ELc67ELc67EKPKDF16_KPKfKPfEEvlllT_PT11_llSB_llS9_PT12_llPT13_lli.num_vgpr, 56
	.set _ZN12_GLOBAL__N_135rocblas_gemm_batched_general_kernelIfLi16ELi16ELi32ELi32ELi8ELi32ELi8ELi8ELi32ELc67ELc67EKPKDF16_KPKfKPfEEvlllT_PT11_llSB_llS9_PT12_llPT13_lli.num_agpr, 0
	.set _ZN12_GLOBAL__N_135rocblas_gemm_batched_general_kernelIfLi16ELi16ELi32ELi32ELi8ELi32ELi8ELi8ELi32ELc67ELc67EKPKDF16_KPKfKPfEEvlllT_PT11_llSB_llS9_PT12_llPT13_lli.numbered_sgpr, 42
	.set _ZN12_GLOBAL__N_135rocblas_gemm_batched_general_kernelIfLi16ELi16ELi32ELi32ELi8ELi32ELi8ELi8ELi32ELc67ELc67EKPKDF16_KPKfKPfEEvlllT_PT11_llSB_llS9_PT12_llPT13_lli.num_named_barrier, 0
	.set _ZN12_GLOBAL__N_135rocblas_gemm_batched_general_kernelIfLi16ELi16ELi32ELi32ELi8ELi32ELi8ELi8ELi32ELc67ELc67EKPKDF16_KPKfKPfEEvlllT_PT11_llSB_llS9_PT12_llPT13_lli.private_seg_size, 0
	.set _ZN12_GLOBAL__N_135rocblas_gemm_batched_general_kernelIfLi16ELi16ELi32ELi32ELi8ELi32ELi8ELi8ELi32ELc67ELc67EKPKDF16_KPKfKPfEEvlllT_PT11_llSB_llS9_PT12_llPT13_lli.uses_vcc, 1
	.set _ZN12_GLOBAL__N_135rocblas_gemm_batched_general_kernelIfLi16ELi16ELi32ELi32ELi8ELi32ELi8ELi8ELi32ELc67ELc67EKPKDF16_KPKfKPfEEvlllT_PT11_llSB_llS9_PT12_llPT13_lli.uses_flat_scratch, 0
	.set _ZN12_GLOBAL__N_135rocblas_gemm_batched_general_kernelIfLi16ELi16ELi32ELi32ELi8ELi32ELi8ELi8ELi32ELc67ELc67EKPKDF16_KPKfKPfEEvlllT_PT11_llSB_llS9_PT12_llPT13_lli.has_dyn_sized_stack, 0
	.set _ZN12_GLOBAL__N_135rocblas_gemm_batched_general_kernelIfLi16ELi16ELi32ELi32ELi8ELi32ELi8ELi8ELi32ELc67ELc67EKPKDF16_KPKfKPfEEvlllT_PT11_llSB_llS9_PT12_llPT13_lli.has_recursion, 0
	.set _ZN12_GLOBAL__N_135rocblas_gemm_batched_general_kernelIfLi16ELi16ELi32ELi32ELi8ELi32ELi8ELi8ELi32ELc67ELc67EKPKDF16_KPKfKPfEEvlllT_PT11_llSB_llS9_PT12_llPT13_lli.has_indirect_call, 0
	.section	.AMDGPU.csdata,"",@progbits
; Kernel info:
; codeLenInByte = 1848
; TotalNumSgprs: 44
; NumVgprs: 56
; ScratchSize: 0
; MemoryBound: 0
; FloatMode: 240
; IeeeMode: 1
; LDSByteSize: 2048 bytes/workgroup (compile time only)
; SGPRBlocks: 0
; VGPRBlocks: 3
; NumSGPRsForWavesPerEU: 44
; NumVGPRsForWavesPerEU: 56
; NamedBarCnt: 0
; Occupancy: 16
; WaveLimiterHint : 1
; COMPUTE_PGM_RSRC2:SCRATCH_EN: 0
; COMPUTE_PGM_RSRC2:USER_SGPR: 2
; COMPUTE_PGM_RSRC2:TRAP_HANDLER: 0
; COMPUTE_PGM_RSRC2:TGID_X_EN: 1
; COMPUTE_PGM_RSRC2:TGID_Y_EN: 1
; COMPUTE_PGM_RSRC2:TGID_Z_EN: 1
; COMPUTE_PGM_RSRC2:TIDIG_COMP_CNT: 1
	.section	.text._ZN12_GLOBAL__N_135rocblas_gemm_batched_general_kernelIfLi16ELi16ELi32ELi32ELi8ELi32ELi8ELi8ELi32ELc67ELc78EKPKDF16_KPKfKPfEEvlllT_PT11_llSB_llS9_PT12_llPT13_lli,"axG",@progbits,_ZN12_GLOBAL__N_135rocblas_gemm_batched_general_kernelIfLi16ELi16ELi32ELi32ELi8ELi32ELi8ELi8ELi32ELc67ELc78EKPKDF16_KPKfKPfEEvlllT_PT11_llSB_llS9_PT12_llPT13_lli,comdat
	.globl	_ZN12_GLOBAL__N_135rocblas_gemm_batched_general_kernelIfLi16ELi16ELi32ELi32ELi8ELi32ELi8ELi8ELi32ELc67ELc78EKPKDF16_KPKfKPfEEvlllT_PT11_llSB_llS9_PT12_llPT13_lli ; -- Begin function _ZN12_GLOBAL__N_135rocblas_gemm_batched_general_kernelIfLi16ELi16ELi32ELi32ELi8ELi32ELi8ELi8ELi32ELc67ELc78EKPKDF16_KPKfKPfEEvlllT_PT11_llSB_llS9_PT12_llPT13_lli
	.p2align	8
	.type	_ZN12_GLOBAL__N_135rocblas_gemm_batched_general_kernelIfLi16ELi16ELi32ELi32ELi8ELi32ELi8ELi8ELi32ELc67ELc78EKPKDF16_KPKfKPfEEvlllT_PT11_llSB_llS9_PT12_llPT13_lli,@function
_ZN12_GLOBAL__N_135rocblas_gemm_batched_general_kernelIfLi16ELi16ELi32ELi32ELi8ELi32ELi8ELi8ELi32ELc67ELc78EKPKDF16_KPKfKPfEEvlllT_PT11_llSB_llS9_PT12_llPT13_lli: ; @_ZN12_GLOBAL__N_135rocblas_gemm_batched_general_kernelIfLi16ELi16ELi32ELi32ELi8ELi32ELi8ELi8ELi32ELc67ELc78EKPKDF16_KPKfKPfEEvlllT_PT11_llSB_llS9_PT12_llPT13_lli
; %bb.0:
	s_load_b32 s33, s[0:1], 0x88
	s_bfe_u32 s2, ttmp6, 0x40014
	s_lshr_b32 s3, ttmp7, 16
	s_add_co_i32 s2, s2, 1
	s_bfe_u32 s5, ttmp6, 0x40008
	s_mul_i32 s4, s3, s2
	s_getreg_b32 s2, hwreg(HW_REG_IB_STS2, 6, 4)
	s_add_co_i32 s5, s5, s4
	s_cmp_eq_u32 s2, 0
	s_mov_b32 s35, 0
	s_cselect_b32 s34, s3, s5
	s_wait_kmcnt 0x0
	s_cmp_ge_i32 s34, s33
	s_cbranch_scc1 .LBB135_34
; %bb.1:
	v_bfe_u32 v10, v0, 10, 10
	v_and_b32_e32 v12, 0x3ff, v0
	s_bfe_u32 s16, ttmp6, 0x4000c
	s_bfe_u32 s17, ttmp6, 0x40010
	s_clause 0x3
	s_load_b128 s[4:7], s[0:1], 0x0
	s_load_b256 s[8:15], s[0:1], 0x20
	s_load_b128 s[24:27], s[0:1], 0x40
	s_load_b32 s41, s[0:1], 0x50
	s_add_co_i32 s16, s16, 1
	s_and_b32 s18, ttmp7, 0xffff
	s_add_co_i32 s17, s17, 1
	v_lshl_add_u32 v3, v10, 4, v12
	v_mov_b32_e32 v1, 0
	s_and_b32 s3, ttmp6, 15
	s_mul_i32 s16, ttmp9, s16
	s_mul_i32 s17, s18, s17
	s_bfe_u32 s19, ttmp6, 0x40004
	s_add_co_i32 s3, s3, s16
	s_add_co_i32 s19, s19, s17
	s_cmp_eq_u32 s2, 0
	v_dual_mov_b32 v7, v1 :: v_dual_lshrrev_b32 v6, 3, v3
	v_and_b32_e32 v8, 31, v3
	s_cselect_b32 s16, s18, s19
	s_cselect_b32 s2, ttmp9, s3
	s_lshl_b32 s42, s16, 5
	s_mov_b32 s43, s35
	s_ashr_i32 s3, s2, 31
	v_add_nc_u64_e32 v[14:15], s[42:43], v[6:7]
	s_clause 0x1
	s_load_b128 s[28:31], s[0:1], 0x78
	s_load_b256 s[16:23], s[0:1], 0x58
	s_lshl_b64 s[2:3], s[2:3], 5
	v_dual_mov_b32 v11, v1 :: v_dual_bitop2_b32 v2, 7, v0 bitop3:0x40
	v_dual_mov_b32 v5, s3 :: v_dual_bitop2_b32 v4, s2, v8 bitop3:0x54
	s_wait_kmcnt 0x0
	v_mul_u64_e32 v[16:17], s[24:25], v[14:15]
	s_delay_alu instid0(VALU_DEP_3)
	v_add_nc_u64_e32 v[20:21], s[42:43], v[10:11]
	v_dual_mov_b32 v13, v1 :: v_dual_lshrrev_b32 v0, 5, v3
	v_mul_u64_e32 v[18:19], s[10:11], v[4:5]
	v_dual_lshlrev_b32 v7, 2, v2 :: v_dual_mov_b32 v3, v1
	s_load_b96 s[36:38], s[0:1], 0x10
	s_wait_xcnt 0x0
	v_cmp_gt_i64_e64 s0, s[4:5], v[4:5]
	v_lshlrev_b32_e32 v11, 2, v8
	v_add_nc_u64_e32 v[4:5], s[2:3], v[12:13]
	v_lshl_or_b32 v13, v6, 5, v7
	v_cmp_gt_i64_e64 s1, s[6:7], v[14:15]
	v_mul_u64_e32 v[6:7], s[28:29], v[20:21]
	v_mul_u64_e32 v[8:9], s[18:19], v[20:21]
	s_cmp_eq_f32 s41, 0
	v_add_nc_u32_e32 v29, 0x400, v13
	v_add_nc_u64_e32 v[14:15], 16, v[4:5]
	v_lshlrev_b32_e32 v30, 2, v12
	s_cselect_b32 s24, -1, 0
	s_lshl_b64 s[10:11], s[26:27], 1
	v_lshl_add_u32 v31, v10, 5, 0x400
	v_cmp_gt_i64_e64 s3, s[4:5], v[4:5]
	v_cmp_gt_i64_e64 s2, s[6:7], v[20:21]
	;; [unrolled: 1-line block ×3, first 2 shown]
	v_lshlrev_b32_e32 v14, 1, v2
	v_lshl_or_b32 v28, v0, 7, v11
	v_add_nc_u64_e32 v[10:11], 16, v[20:21]
	v_mov_b32_e32 v15, v1
	s_wait_kmcnt 0x0
	v_cmp_gt_i64_e64 s25, s[36:37], 0
	s_mov_b32 s40, s38
	v_lshl_add_u64 v[12:13], v[16:17], 1, s[10:11]
	s_lshl_b64 s[10:11], s[12:13], 1
	v_cmp_gt_i64_e64 s5, s[6:7], v[10:11]
	s_lshl_b64 s[6:7], s[28:29], 4
	v_lshl_add_u64 v[16:17], v[18:19], 1, s[10:11]
	v_dual_mov_b32 v19, v1 :: v_dual_lshlrev_b32 v18, 1, v0
	v_add_nc_u64_e32 v[10:11], v[12:13], v[14:15]
	s_lshl_b64 s[10:11], s[18:19], 4
	s_lshl_b64 s[12:13], s[30:31], 2
	;; [unrolled: 1-line block ×3, first 2 shown]
	v_add_nc_u64_e32 v[12:13], v[16:17], v[18:19]
	s_branch .LBB135_4
.LBB135_2:                              ;   in Loop: Header=BB135_4 Depth=1
	s_wait_xcnt 0x0
	s_or_b32 exec_lo, exec_lo, s20
.LBB135_3:                              ;   in Loop: Header=BB135_4 Depth=1
	s_add_co_i32 s34, s34, 0x10000
	s_delay_alu instid0(SALU_CYCLE_1)
	s_cmp_lt_i32 s34, s33
	s_cbranch_scc0 .LBB135_34
.LBB135_4:                              ; =>This Loop Header: Depth=1
                                        ;     Child Loop BB135_7 Depth 2
	v_dual_mov_b32 v14, s34 :: v_dual_mov_b32 v19, 0
	v_dual_mov_b32 v18, 0 :: v_dual_mov_b32 v15, 0
	s_and_not1_b32 vcc_lo, exec_lo, s25
	s_clause 0x1
	global_load_b64 v[16:17], v14, s[16:17] scale_offset
	global_load_b64 v[20:21], v14, s[22:23] scale_offset
	s_wait_xcnt 0x0
	v_mov_b32_e32 v14, 0
	s_cbranch_vccnz .LBB135_11
; %bb.5:                                ;   in Loop: Header=BB135_4 Depth=1
	s_lshl_b64 s[20:21], s[34:35], 3
	v_mov_b32_e32 v18, 0
	s_add_nc_u64 s[26:27], s[14:15], s[20:21]
	s_add_nc_u64 s[20:21], s[8:9], s[20:21]
	s_clause 0x1
	global_load_b64 v[14:15], v1, s[26:27]
	global_load_b64 v[24:25], v1, s[20:21]
	s_wait_xcnt 0x0
	s_mov_b64 s[20:21], 0
	v_mov_b32_e32 v19, v18
	s_wait_loadcnt 0x1
	v_add_nc_u64_e32 v[22:23], v[14:15], v[10:11]
	s_wait_loadcnt 0x0
	v_add_nc_u64_e32 v[24:25], v[24:25], v[12:13]
	v_dual_mov_b32 v14, v18 :: v_dual_mov_b32 v15, v18
	s_branch .LBB135_7
.LBB135_6:                              ;   in Loop: Header=BB135_7 Depth=2
	s_wait_xcnt 0x0
	s_or_b32 exec_lo, exec_lo, s26
	ds_store_b32 v29, v27
	s_wait_dscnt 0x0
	s_barrier_signal -1
	s_barrier_wait -1
	ds_load_b128 v[32:35], v31
	ds_load_2addr_b32 v[26:27], v30 offset1:16
	ds_load_b128 v[36:39], v31 offset:512
	ds_load_2addr_b32 v[48:49], v30 offset0:32 offset1:48
	ds_load_2addr_b32 v[50:51], v30 offset0:64 offset1:80
	ds_load_2addr_b32 v[52:53], v30 offset0:96 offset1:112
	ds_load_b128 v[40:43], v31 offset:16
	ds_load_2addr_b32 v[54:55], v30 offset0:128 offset1:144
	ds_load_b128 v[44:47], v31 offset:528
	s_add_nc_u64 s[20:21], s[20:21], 8
	v_add_nc_u64_e32 v[22:23], 16, v[22:23]
	v_cmp_lt_i64_e64 s26, s[20:21], s[36:37]
	v_add_nc_u64_e32 v[24:25], 16, v[24:25]
	s_and_b32 vcc_lo, exec_lo, s26
	s_wait_dscnt 0x7
	v_pk_fma_f32 v[18:19], v[26:27], v[32:33], v[18:19] op_sel_hi:[1,0,1]
	s_wait_dscnt 0x6
	v_pk_fma_f32 v[14:15], v[26:27], v[36:37], v[14:15] op_sel_hi:[1,0,1]
	ds_load_2addr_b32 v[26:27], v30 offset0:160 offset1:176
	s_wait_dscnt 0x6
	v_pk_fma_f32 v[18:19], v[48:49], v[32:33], v[18:19] op_sel:[0,1,0]
	v_pk_fma_f32 v[14:15], v[48:49], v[36:37], v[14:15] op_sel:[0,1,0]
	ds_load_2addr_b32 v[32:33], v30 offset0:192 offset1:208
	v_dual_mov_b32 v36, v35 :: v_dual_mov_b32 v48, v39
	s_wait_dscnt 0x6
	v_pk_fma_f32 v[18:19], v[50:51], v[34:35], v[18:19] op_sel_hi:[1,0,1]
	v_pk_fma_f32 v[14:15], v[50:51], v[38:39], v[14:15] op_sel_hi:[1,0,1]
	ds_load_2addr_b32 v[34:35], v30 offset0:224 offset1:240
	s_wait_dscnt 0x0
	s_barrier_signal -1
	v_pk_fma_f32 v[18:19], v[52:53], v[36:37], v[18:19] op_sel_hi:[1,0,1]
	v_pk_fma_f32 v[14:15], v[52:53], v[48:49], v[14:15] op_sel_hi:[1,0,1]
	s_barrier_wait -1
	v_mov_b32_e32 v36, v47
	s_delay_alu instid0(VALU_DEP_3) | instskip(NEXT) | instid1(VALU_DEP_3)
	v_pk_fma_f32 v[18:19], v[54:55], v[40:41], v[18:19] op_sel_hi:[1,0,1]
	v_pk_fma_f32 v[14:15], v[54:55], v[44:45], v[14:15] op_sel_hi:[1,0,1]
	s_delay_alu instid0(VALU_DEP_2) | instskip(NEXT) | instid1(VALU_DEP_2)
	v_pk_fma_f32 v[18:19], v[26:27], v[40:41], v[18:19] op_sel:[0,1,0]
	v_pk_fma_f32 v[14:15], v[26:27], v[44:45], v[14:15] op_sel:[0,1,0]
	v_mov_b32_e32 v26, v43
	s_delay_alu instid0(VALU_DEP_3) | instskip(NEXT) | instid1(VALU_DEP_3)
	v_pk_fma_f32 v[18:19], v[32:33], v[42:43], v[18:19] op_sel_hi:[1,0,1]
	v_pk_fma_f32 v[14:15], v[32:33], v[46:47], v[14:15] op_sel_hi:[1,0,1]
	s_delay_alu instid0(VALU_DEP_2) | instskip(NEXT) | instid1(VALU_DEP_2)
	v_pk_fma_f32 v[18:19], v[34:35], v[26:27], v[18:19] op_sel_hi:[1,0,1]
	v_pk_fma_f32 v[14:15], v[34:35], v[36:37], v[14:15] op_sel_hi:[1,0,1]
	s_cbranch_vccz .LBB135_11
.LBB135_7:                              ;   Parent Loop BB135_4 Depth=1
                                        ; =>  This Inner Loop Header: Depth=2
	v_add_nc_u64_e32 v[26:27], s[20:21], v[0:1]
	s_delay_alu instid0(VALU_DEP_1) | instskip(SKIP_2) | instid1(SALU_CYCLE_1)
	v_cmp_gt_i64_e32 vcc_lo, s[36:37], v[26:27]
	v_mov_b32_e32 v26, 0
	s_and_b32 s27, s0, vcc_lo
	s_and_saveexec_b32 s26, s27
	s_cbranch_execz .LBB135_9
; %bb.8:                                ;   in Loop: Header=BB135_7 Depth=2
	flat_load_u16 v26, v[24:25]
	s_wait_loadcnt_dscnt 0x0
	v_cvt_f32_f16_e32 v26, v26
.LBB135_9:                              ;   in Loop: Header=BB135_7 Depth=2
	s_wait_xcnt 0x0
	s_or_b32 exec_lo, exec_lo, s26
	v_add_nc_u64_e32 v[32:33], s[20:21], v[2:3]
	v_mov_b32_e32 v27, 0
	ds_store_b32 v28, v26
	v_cmp_gt_i64_e32 vcc_lo, s[36:37], v[32:33]
	s_and_b32 s27, vcc_lo, s1
	s_delay_alu instid0(SALU_CYCLE_1)
	s_and_saveexec_b32 s26, s27
	s_cbranch_execz .LBB135_6
; %bb.10:                               ;   in Loop: Header=BB135_7 Depth=2
	flat_load_u16 v26, v[22:23]
	s_wait_loadcnt_dscnt 0x0
	v_cvt_f32_f16_e32 v27, v26
	s_branch .LBB135_6
.LBB135_11:                             ;   in Loop: Header=BB135_4 Depth=1
	s_wait_loadcnt 0x0
	v_add_nc_u64_e32 v[20:21], s[12:13], v[20:21]
	s_and_not1_b32 vcc_lo, exec_lo, s24
	s_cbranch_vccnz .LBB135_16
; %bb.12:                               ;   in Loop: Header=BB135_4 Depth=1
	s_and_saveexec_b32 s20, s2
	s_cbranch_execz .LBB135_23
; %bb.13:                               ;   in Loop: Header=BB135_4 Depth=1
	s_delay_alu instid0(VALU_DEP_1) | instskip(NEXT) | instid1(VALU_DEP_1)
	v_lshl_add_u64 v[22:23], v[6:7], 2, v[20:21]
	v_lshl_add_u64 v[24:25], v[4:5], 2, v[22:23]
	s_and_saveexec_b32 s21, s3
	s_cbranch_execnz .LBB135_17
; %bb.14:                               ;   in Loop: Header=BB135_4 Depth=1
	s_or_b32 exec_lo, exec_lo, s21
	s_and_saveexec_b32 s21, s4
	s_cbranch_execnz .LBB135_18
.LBB135_15:                             ;   in Loop: Header=BB135_4 Depth=1
	s_or_b32 exec_lo, exec_lo, s21
	s_delay_alu instid0(SALU_CYCLE_1)
	s_and_b32 exec_lo, exec_lo, s5
	s_cbranch_execnz .LBB135_19
	s_branch .LBB135_23
.LBB135_16:                             ;   in Loop: Header=BB135_4 Depth=1
	s_branch .LBB135_24
.LBB135_17:                             ;   in Loop: Header=BB135_4 Depth=1
	v_mul_f32_e32 v26, s38, v18
	flat_store_b32 v[24:25], v26
	s_wait_xcnt 0x0
	s_or_b32 exec_lo, exec_lo, s21
	s_and_saveexec_b32 s21, s4
	s_cbranch_execz .LBB135_15
.LBB135_18:                             ;   in Loop: Header=BB135_4 Depth=1
	v_mul_f32_e32 v26, s38, v19
	flat_store_b32 v[24:25], v26 offset:64
	s_wait_xcnt 0x0
	s_or_b32 exec_lo, exec_lo, s21
	s_delay_alu instid0(SALU_CYCLE_1)
	s_and_b32 exec_lo, exec_lo, s5
	s_cbranch_execz .LBB135_23
.LBB135_19:                             ;   in Loop: Header=BB135_4 Depth=1
	v_lshl_add_u64 v[22:23], s[6:7], 2, v[22:23]
	s_delay_alu instid0(VALU_DEP_1)
	v_lshl_add_u64 v[22:23], v[4:5], 2, v[22:23]
	s_and_saveexec_b32 s21, s3
	s_cbranch_execz .LBB135_21
; %bb.20:                               ;   in Loop: Header=BB135_4 Depth=1
	v_mul_f32_e32 v24, s38, v14
	flat_store_b32 v[22:23], v24
.LBB135_21:                             ;   in Loop: Header=BB135_4 Depth=1
	s_wait_xcnt 0x0
	s_or_b32 exec_lo, exec_lo, s21
	s_delay_alu instid0(SALU_CYCLE_1)
	s_and_b32 exec_lo, exec_lo, s4
	s_cbranch_execz .LBB135_23
; %bb.22:                               ;   in Loop: Header=BB135_4 Depth=1
	v_mul_f32_e32 v24, s38, v15
	flat_store_b32 v[22:23], v24 offset:64
.LBB135_23:                             ;   in Loop: Header=BB135_4 Depth=1
	s_wait_xcnt 0x0
	s_or_b32 exec_lo, exec_lo, s20
	s_cbranch_execnz .LBB135_3
.LBB135_24:                             ;   in Loop: Header=BB135_4 Depth=1
	s_and_saveexec_b32 s20, s2
	s_cbranch_execz .LBB135_2
; %bb.25:                               ;   in Loop: Header=BB135_4 Depth=1
	v_add_nc_u64_e32 v[22:23], s[18:19], v[16:17]
	v_lshlrev_b64_e32 v[16:17], 2, v[4:5]
	v_lshl_add_u64 v[20:21], v[6:7], 2, v[20:21]
	s_delay_alu instid0(VALU_DEP_3) | instskip(NEXT) | instid1(VALU_DEP_2)
	v_lshl_add_u64 v[22:23], v[8:9], 2, v[22:23]
	v_add_nc_u64_e32 v[24:25], v[20:21], v[16:17]
	s_delay_alu instid0(VALU_DEP_2)
	v_add_nc_u64_e32 v[26:27], v[22:23], v[16:17]
	s_and_saveexec_b32 s21, s3
	s_cbranch_execnz .LBB135_28
; %bb.26:                               ;   in Loop: Header=BB135_4 Depth=1
	s_or_b32 exec_lo, exec_lo, s21
	s_and_saveexec_b32 s21, s4
	s_cbranch_execnz .LBB135_29
.LBB135_27:                             ;   in Loop: Header=BB135_4 Depth=1
	s_or_b32 exec_lo, exec_lo, s21
	s_delay_alu instid0(SALU_CYCLE_1)
	s_and_b32 exec_lo, exec_lo, s5
	s_cbranch_execz .LBB135_2
	s_branch .LBB135_30
.LBB135_28:                             ;   in Loop: Header=BB135_4 Depth=1
	flat_load_b32 v33, v[26:27]
	v_mov_b64_e32 v[34:35], s[40:41]
	v_mov_b32_e32 v32, v18
	s_wait_loadcnt_dscnt 0x0
	s_delay_alu instid0(VALU_DEP_1) | instskip(NEXT) | instid1(VALU_DEP_1)
	v_pk_mul_f32 v[32:33], v[34:35], v[32:33]
	v_add_f32_e32 v18, v32, v33
	flat_store_b32 v[24:25], v18
	s_wait_xcnt 0x0
	s_or_b32 exec_lo, exec_lo, s21
	s_and_saveexec_b32 s21, s4
	s_cbranch_execz .LBB135_27
.LBB135_29:                             ;   in Loop: Header=BB135_4 Depth=1
	flat_load_b32 v27, v[26:27] offset:64
	s_wait_xcnt 0x0
	v_mov_b32_e32 v26, v19
	v_mov_b64_e32 v[18:19], s[40:41]
	s_wait_loadcnt_dscnt 0x0
	s_delay_alu instid0(VALU_DEP_1) | instskip(NEXT) | instid1(VALU_DEP_1)
	v_pk_mul_f32 v[18:19], v[18:19], v[26:27]
	v_add_f32_e32 v18, v18, v19
	flat_store_b32 v[24:25], v18 offset:64
	s_wait_xcnt 0x0
	s_or_b32 exec_lo, exec_lo, s21
	s_delay_alu instid0(SALU_CYCLE_1)
	s_and_b32 exec_lo, exec_lo, s5
	s_cbranch_execz .LBB135_2
.LBB135_30:                             ;   in Loop: Header=BB135_4 Depth=1
	v_lshl_add_u64 v[18:19], s[10:11], 2, v[22:23]
	v_lshl_add_u64 v[20:21], s[6:7], 2, v[20:21]
	s_delay_alu instid0(VALU_DEP_2) | instskip(NEXT) | instid1(VALU_DEP_2)
	v_add_nc_u64_e32 v[18:19], v[18:19], v[16:17]
	v_add_nc_u64_e32 v[16:17], v[20:21], v[16:17]
	s_and_saveexec_b32 s21, s3
	s_cbranch_execz .LBB135_32
; %bb.31:                               ;   in Loop: Header=BB135_4 Depth=1
	flat_load_b32 v21, v[18:19]
	v_mov_b64_e32 v[22:23], s[40:41]
	v_mov_b32_e32 v20, v14
	s_wait_loadcnt_dscnt 0x0
	s_delay_alu instid0(VALU_DEP_1) | instskip(NEXT) | instid1(VALU_DEP_1)
	v_pk_mul_f32 v[20:21], v[22:23], v[20:21]
	v_add_f32_e32 v14, v20, v21
	flat_store_b32 v[16:17], v14
.LBB135_32:                             ;   in Loop: Header=BB135_4 Depth=1
	s_wait_xcnt 0x0
	s_or_b32 exec_lo, exec_lo, s21
	s_delay_alu instid0(SALU_CYCLE_1)
	s_and_b32 exec_lo, exec_lo, s4
	s_cbranch_execz .LBB135_2
; %bb.33:                               ;   in Loop: Header=BB135_4 Depth=1
	flat_load_b32 v19, v[18:19] offset:64
	s_wait_xcnt 0x0
	v_mov_b32_e32 v18, v15
	v_mov_b64_e32 v[14:15], s[40:41]
	s_wait_loadcnt_dscnt 0x0
	s_delay_alu instid0(VALU_DEP_1) | instskip(NEXT) | instid1(VALU_DEP_1)
	v_pk_mul_f32 v[14:15], v[14:15], v[18:19]
	v_add_f32_e32 v14, v14, v15
	flat_store_b32 v[16:17], v14 offset:64
	s_branch .LBB135_2
.LBB135_34:
	s_endpgm
	.section	.rodata,"a",@progbits
	.p2align	6, 0x0
	.amdhsa_kernel _ZN12_GLOBAL__N_135rocblas_gemm_batched_general_kernelIfLi16ELi16ELi32ELi32ELi8ELi32ELi8ELi8ELi32ELc67ELc78EKPKDF16_KPKfKPfEEvlllT_PT11_llSB_llS9_PT12_llPT13_lli
		.amdhsa_group_segment_fixed_size 2048
		.amdhsa_private_segment_fixed_size 0
		.amdhsa_kernarg_size 140
		.amdhsa_user_sgpr_count 2
		.amdhsa_user_sgpr_dispatch_ptr 0
		.amdhsa_user_sgpr_queue_ptr 0
		.amdhsa_user_sgpr_kernarg_segment_ptr 1
		.amdhsa_user_sgpr_dispatch_id 0
		.amdhsa_user_sgpr_kernarg_preload_length 0
		.amdhsa_user_sgpr_kernarg_preload_offset 0
		.amdhsa_user_sgpr_private_segment_size 0
		.amdhsa_wavefront_size32 1
		.amdhsa_uses_dynamic_stack 0
		.amdhsa_enable_private_segment 0
		.amdhsa_system_sgpr_workgroup_id_x 1
		.amdhsa_system_sgpr_workgroup_id_y 1
		.amdhsa_system_sgpr_workgroup_id_z 1
		.amdhsa_system_sgpr_workgroup_info 0
		.amdhsa_system_vgpr_workitem_id 1
		.amdhsa_next_free_vgpr 56
		.amdhsa_next_free_sgpr 44
		.amdhsa_named_barrier_count 0
		.amdhsa_reserve_vcc 1
		.amdhsa_float_round_mode_32 0
		.amdhsa_float_round_mode_16_64 0
		.amdhsa_float_denorm_mode_32 3
		.amdhsa_float_denorm_mode_16_64 3
		.amdhsa_fp16_overflow 0
		.amdhsa_memory_ordered 1
		.amdhsa_forward_progress 1
		.amdhsa_inst_pref_size 15
		.amdhsa_round_robin_scheduling 0
		.amdhsa_exception_fp_ieee_invalid_op 0
		.amdhsa_exception_fp_denorm_src 0
		.amdhsa_exception_fp_ieee_div_zero 0
		.amdhsa_exception_fp_ieee_overflow 0
		.amdhsa_exception_fp_ieee_underflow 0
		.amdhsa_exception_fp_ieee_inexact 0
		.amdhsa_exception_int_div_zero 0
	.end_amdhsa_kernel
	.section	.text._ZN12_GLOBAL__N_135rocblas_gemm_batched_general_kernelIfLi16ELi16ELi32ELi32ELi8ELi32ELi8ELi8ELi32ELc67ELc78EKPKDF16_KPKfKPfEEvlllT_PT11_llSB_llS9_PT12_llPT13_lli,"axG",@progbits,_ZN12_GLOBAL__N_135rocblas_gemm_batched_general_kernelIfLi16ELi16ELi32ELi32ELi8ELi32ELi8ELi8ELi32ELc67ELc78EKPKDF16_KPKfKPfEEvlllT_PT11_llSB_llS9_PT12_llPT13_lli,comdat
.Lfunc_end135:
	.size	_ZN12_GLOBAL__N_135rocblas_gemm_batched_general_kernelIfLi16ELi16ELi32ELi32ELi8ELi32ELi8ELi8ELi32ELc67ELc78EKPKDF16_KPKfKPfEEvlllT_PT11_llSB_llS9_PT12_llPT13_lli, .Lfunc_end135-_ZN12_GLOBAL__N_135rocblas_gemm_batched_general_kernelIfLi16ELi16ELi32ELi32ELi8ELi32ELi8ELi8ELi32ELc67ELc78EKPKDF16_KPKfKPfEEvlllT_PT11_llSB_llS9_PT12_llPT13_lli
                                        ; -- End function
	.set _ZN12_GLOBAL__N_135rocblas_gemm_batched_general_kernelIfLi16ELi16ELi32ELi32ELi8ELi32ELi8ELi8ELi32ELc67ELc78EKPKDF16_KPKfKPfEEvlllT_PT11_llSB_llS9_PT12_llPT13_lli.num_vgpr, 56
	.set _ZN12_GLOBAL__N_135rocblas_gemm_batched_general_kernelIfLi16ELi16ELi32ELi32ELi8ELi32ELi8ELi8ELi32ELc67ELc78EKPKDF16_KPKfKPfEEvlllT_PT11_llSB_llS9_PT12_llPT13_lli.num_agpr, 0
	.set _ZN12_GLOBAL__N_135rocblas_gemm_batched_general_kernelIfLi16ELi16ELi32ELi32ELi8ELi32ELi8ELi8ELi32ELc67ELc78EKPKDF16_KPKfKPfEEvlllT_PT11_llSB_llS9_PT12_llPT13_lli.numbered_sgpr, 44
	.set _ZN12_GLOBAL__N_135rocblas_gemm_batched_general_kernelIfLi16ELi16ELi32ELi32ELi8ELi32ELi8ELi8ELi32ELc67ELc78EKPKDF16_KPKfKPfEEvlllT_PT11_llSB_llS9_PT12_llPT13_lli.num_named_barrier, 0
	.set _ZN12_GLOBAL__N_135rocblas_gemm_batched_general_kernelIfLi16ELi16ELi32ELi32ELi8ELi32ELi8ELi8ELi32ELc67ELc78EKPKDF16_KPKfKPfEEvlllT_PT11_llSB_llS9_PT12_llPT13_lli.private_seg_size, 0
	.set _ZN12_GLOBAL__N_135rocblas_gemm_batched_general_kernelIfLi16ELi16ELi32ELi32ELi8ELi32ELi8ELi8ELi32ELc67ELc78EKPKDF16_KPKfKPfEEvlllT_PT11_llSB_llS9_PT12_llPT13_lli.uses_vcc, 1
	.set _ZN12_GLOBAL__N_135rocblas_gemm_batched_general_kernelIfLi16ELi16ELi32ELi32ELi8ELi32ELi8ELi8ELi32ELc67ELc78EKPKDF16_KPKfKPfEEvlllT_PT11_llSB_llS9_PT12_llPT13_lli.uses_flat_scratch, 0
	.set _ZN12_GLOBAL__N_135rocblas_gemm_batched_general_kernelIfLi16ELi16ELi32ELi32ELi8ELi32ELi8ELi8ELi32ELc67ELc78EKPKDF16_KPKfKPfEEvlllT_PT11_llSB_llS9_PT12_llPT13_lli.has_dyn_sized_stack, 0
	.set _ZN12_GLOBAL__N_135rocblas_gemm_batched_general_kernelIfLi16ELi16ELi32ELi32ELi8ELi32ELi8ELi8ELi32ELc67ELc78EKPKDF16_KPKfKPfEEvlllT_PT11_llSB_llS9_PT12_llPT13_lli.has_recursion, 0
	.set _ZN12_GLOBAL__N_135rocblas_gemm_batched_general_kernelIfLi16ELi16ELi32ELi32ELi8ELi32ELi8ELi8ELi32ELc67ELc78EKPKDF16_KPKfKPfEEvlllT_PT11_llSB_llS9_PT12_llPT13_lli.has_indirect_call, 0
	.section	.AMDGPU.csdata,"",@progbits
; Kernel info:
; codeLenInByte = 1820
; TotalNumSgprs: 46
; NumVgprs: 56
; ScratchSize: 0
; MemoryBound: 0
; FloatMode: 240
; IeeeMode: 1
; LDSByteSize: 2048 bytes/workgroup (compile time only)
; SGPRBlocks: 0
; VGPRBlocks: 3
; NumSGPRsForWavesPerEU: 46
; NumVGPRsForWavesPerEU: 56
; NamedBarCnt: 0
; Occupancy: 16
; WaveLimiterHint : 1
; COMPUTE_PGM_RSRC2:SCRATCH_EN: 0
; COMPUTE_PGM_RSRC2:USER_SGPR: 2
; COMPUTE_PGM_RSRC2:TRAP_HANDLER: 0
; COMPUTE_PGM_RSRC2:TGID_X_EN: 1
; COMPUTE_PGM_RSRC2:TGID_Y_EN: 1
; COMPUTE_PGM_RSRC2:TGID_Z_EN: 1
; COMPUTE_PGM_RSRC2:TIDIG_COMP_CNT: 1
	.section	.text._ZN12_GLOBAL__N_135rocblas_gemm_batched_general_kernelIfLi16ELi16ELi32ELi32ELi8ELi32ELi8ELi8ELi32ELc67ELc84EKPKDF16_KPKfKPfEEvlllT_PT11_llSB_llS9_PT12_llPT13_lli,"axG",@progbits,_ZN12_GLOBAL__N_135rocblas_gemm_batched_general_kernelIfLi16ELi16ELi32ELi32ELi8ELi32ELi8ELi8ELi32ELc67ELc84EKPKDF16_KPKfKPfEEvlllT_PT11_llSB_llS9_PT12_llPT13_lli,comdat
	.globl	_ZN12_GLOBAL__N_135rocblas_gemm_batched_general_kernelIfLi16ELi16ELi32ELi32ELi8ELi32ELi8ELi8ELi32ELc67ELc84EKPKDF16_KPKfKPfEEvlllT_PT11_llSB_llS9_PT12_llPT13_lli ; -- Begin function _ZN12_GLOBAL__N_135rocblas_gemm_batched_general_kernelIfLi16ELi16ELi32ELi32ELi8ELi32ELi8ELi8ELi32ELc67ELc84EKPKDF16_KPKfKPfEEvlllT_PT11_llSB_llS9_PT12_llPT13_lli
	.p2align	8
	.type	_ZN12_GLOBAL__N_135rocblas_gemm_batched_general_kernelIfLi16ELi16ELi32ELi32ELi8ELi32ELi8ELi8ELi32ELc67ELc84EKPKDF16_KPKfKPfEEvlllT_PT11_llSB_llS9_PT12_llPT13_lli,@function
_ZN12_GLOBAL__N_135rocblas_gemm_batched_general_kernelIfLi16ELi16ELi32ELi32ELi8ELi32ELi8ELi8ELi32ELc67ELc84EKPKDF16_KPKfKPfEEvlllT_PT11_llSB_llS9_PT12_llPT13_lli: ; @_ZN12_GLOBAL__N_135rocblas_gemm_batched_general_kernelIfLi16ELi16ELi32ELi32ELi8ELi32ELi8ELi8ELi32ELc67ELc84EKPKDF16_KPKfKPfEEvlllT_PT11_llSB_llS9_PT12_llPT13_lli
; %bb.0:
	s_load_b32 s33, s[0:1], 0x88
	s_bfe_u32 s2, ttmp6, 0x40014
	s_lshr_b32 s3, ttmp7, 16
	s_add_co_i32 s2, s2, 1
	s_bfe_u32 s5, ttmp6, 0x40008
	s_mul_i32 s4, s3, s2
	s_getreg_b32 s2, hwreg(HW_REG_IB_STS2, 6, 4)
	s_add_co_i32 s5, s5, s4
	s_cmp_eq_u32 s2, 0
	s_mov_b32 s35, 0
	s_cselect_b32 s34, s3, s5
	s_wait_kmcnt 0x0
	s_cmp_ge_i32 s34, s33
	s_cbranch_scc1 .LBB136_34
; %bb.1:
	v_bfe_u32 v10, v0, 10, 10
	v_and_b32_e32 v12, 0x3ff, v0
	s_clause 0x6
	s_load_b128 s[4:7], s[0:1], 0x0
	s_load_b96 s[36:38], s[0:1], 0x10
	s_load_b256 s[8:15], s[0:1], 0x20
	s_load_b128 s[24:27], s[0:1], 0x40
	s_load_b32 s41, s[0:1], 0x50
	s_load_b128 s[28:31], s[0:1], 0x78
	s_load_b256 s[16:23], s[0:1], 0x58
	s_wait_xcnt 0x0
	s_bfe_u32 s0, ttmp6, 0x4000c
	s_bfe_u32 s3, ttmp6, 0x40010
	s_add_co_i32 s0, s0, 1
	s_and_b32 s39, ttmp7, 0xffff
	s_add_co_i32 s3, s3, 1
	s_and_b32 s1, ttmp6, 15
	s_mul_i32 s0, ttmp9, s0
	s_mul_i32 s3, s39, s3
	s_bfe_u32 s40, ttmp6, 0x40004
	v_lshl_add_u32 v6, v10, 4, v12
	s_add_co_i32 s1, s1, s0
	s_add_co_i32 s40, s40, s3
	s_cmp_eq_u32 s2, 0
	s_delay_alu instid0(VALU_DEP_1) | instskip(SKIP_3) | instid1(VALU_DEP_1)
	v_dual_mov_b32 v1, 0 :: v_dual_bitop2_b32 v8, 31, v6 bitop3:0x40
	s_cselect_b32 s0, ttmp9, s1
	s_cselect_b32 s40, s39, s40
	s_ashr_i32 s1, s0, 31
	v_dual_mov_b32 v11, v1 :: v_dual_bitop2_b32 v2, 7, v0 bitop3:0x40
	s_lshl_b64 s[2:3], s[0:1], 5
	v_dual_mov_b32 v3, v1 :: v_dual_lshrrev_b32 v14, 3, v6
	v_dual_mov_b32 v15, v1 :: v_dual_bitop2_b32 v4, s2, v8 bitop3:0x54
	s_delay_alu instid0(VALU_DEP_3) | instskip(SKIP_1) | instid1(VALU_DEP_3)
	v_dual_mov_b32 v5, s3 :: v_dual_lshlrev_b32 v9, 2, v2
	s_wait_kmcnt 0x0
	v_mul_u64_e32 v[16:17], s[24:25], v[2:3]
	s_lshl_b32 s0, s40, 5
	s_mov_b32 s1, s35
	v_mul_u64_e32 v[18:19], s[10:11], v[4:5]
	v_dual_lshrrev_b32 v0, 5, v6 :: v_dual_lshlrev_b32 v8, 2, v8
	v_add_nc_u64_e32 v[6:7], s[0:1], v[14:15]
	v_add_nc_u64_e32 v[20:21], s[0:1], v[10:11]
	v_lshl_or_b32 v9, v14, 5, v9
	v_dual_mov_b32 v13, v1 :: v_dual_lshlrev_b32 v30, 2, v12
	v_lshl_or_b32 v28, v0, 7, v8
	v_cmp_gt_i64_e64 s0, s[4:5], v[4:5]
	v_cmp_gt_i64_e64 s1, s[6:7], v[6:7]
	v_add_nc_u32_e32 v29, 0x400, v9
	v_mul_u64_e32 v[6:7], s[28:29], v[20:21]
	v_mul_u64_e32 v[8:9], s[18:19], v[20:21]
	v_add_nc_u64_e32 v[4:5], s[2:3], v[12:13]
	v_lshl_add_u32 v31, v10, 5, 0x400
	v_add_nc_u64_e32 v[12:13], 16, v[20:21]
	s_cmp_eq_f32 s41, 0
	s_mov_b32 s11, s35
	v_cmp_gt_i64_e64 s2, s[6:7], v[20:21]
	s_delay_alu instid0(VALU_DEP_4)
	v_add_nc_u64_e32 v[10:11], 16, v[4:5]
	s_cselect_b32 s39, -1, 0
	s_lshl_b32 s10, s40, 6
	s_lshl_b64 s[26:27], s[26:27], 1
	v_cmp_gt_i64_e64 s3, s[4:5], v[4:5]
	s_add_nc_u64 s[10:11], s[26:27], s[10:11]
	v_cmp_gt_i64_e64 s26, s[36:37], 0
	v_cmp_gt_i64_e64 s4, s[4:5], v[10:11]
	;; [unrolled: 1-line block ×3, first 2 shown]
	s_lshl_b64 s[6:7], s[12:13], 1
	v_lshl_add_u64 v[10:11], v[16:17], 1, s[10:11]
	v_dual_mov_b32 v13, v1 :: v_dual_lshlrev_b32 v12, 1, v14
	v_lshl_add_u64 v[14:15], v[18:19], 1, s[6:7]
	v_dual_mov_b32 v17, v1 :: v_dual_lshlrev_b32 v16, 1, v0
	s_lshl_b64 s[6:7], s[28:29], 4
	s_delay_alu instid0(VALU_DEP_3)
	v_add_nc_u64_e32 v[10:11], v[10:11], v[12:13]
	s_mov_b32 s40, s38
	s_lshl_b64 s[10:11], s[18:19], 4
	v_add_nc_u64_e32 v[12:13], v[14:15], v[16:17]
	s_lshl_b64 s[12:13], s[24:25], 4
	s_lshl_b64 s[18:19], s[30:31], 2
	;; [unrolled: 1-line block ×3, first 2 shown]
	s_branch .LBB136_4
.LBB136_2:                              ;   in Loop: Header=BB136_4 Depth=1
	s_wait_xcnt 0x0
	s_or_b32 exec_lo, exec_lo, s24
.LBB136_3:                              ;   in Loop: Header=BB136_4 Depth=1
	s_add_co_i32 s34, s34, 0x10000
	s_delay_alu instid0(SALU_CYCLE_1)
	s_cmp_lt_i32 s34, s33
	s_cbranch_scc0 .LBB136_34
.LBB136_4:                              ; =>This Loop Header: Depth=1
                                        ;     Child Loop BB136_7 Depth 2
	v_dual_mov_b32 v14, s34 :: v_dual_mov_b32 v19, 0
	v_dual_mov_b32 v18, 0 :: v_dual_mov_b32 v15, 0
	s_and_not1_b32 vcc_lo, exec_lo, s26
	s_clause 0x1
	global_load_b64 v[16:17], v14, s[16:17] scale_offset
	global_load_b64 v[20:21], v14, s[22:23] scale_offset
	s_wait_xcnt 0x0
	v_mov_b32_e32 v14, 0
	s_cbranch_vccnz .LBB136_11
; %bb.5:                                ;   in Loop: Header=BB136_4 Depth=1
	s_lshl_b64 s[24:25], s[34:35], 3
	v_mov_b32_e32 v18, 0
	s_add_nc_u64 s[28:29], s[14:15], s[24:25]
	s_add_nc_u64 s[24:25], s[8:9], s[24:25]
	s_clause 0x1
	global_load_b64 v[14:15], v1, s[28:29]
	global_load_b64 v[24:25], v1, s[24:25]
	s_wait_xcnt 0x0
	s_mov_b64 s[24:25], 0
	v_mov_b32_e32 v19, v18
	s_wait_loadcnt 0x1
	v_add_nc_u64_e32 v[22:23], v[14:15], v[10:11]
	s_wait_loadcnt 0x0
	v_add_nc_u64_e32 v[24:25], v[24:25], v[12:13]
	v_dual_mov_b32 v14, v18 :: v_dual_mov_b32 v15, v18
	s_branch .LBB136_7
.LBB136_6:                              ;   in Loop: Header=BB136_7 Depth=2
	s_wait_xcnt 0x0
	s_or_b32 exec_lo, exec_lo, s27
	ds_store_b32 v29, v27
	s_wait_dscnt 0x0
	s_barrier_signal -1
	s_barrier_wait -1
	ds_load_b128 v[32:35], v31
	ds_load_2addr_b32 v[26:27], v30 offset1:16
	ds_load_b128 v[36:39], v31 offset:512
	ds_load_2addr_b32 v[48:49], v30 offset0:32 offset1:48
	ds_load_2addr_b32 v[50:51], v30 offset0:64 offset1:80
	;; [unrolled: 1-line block ×3, first 2 shown]
	ds_load_b128 v[40:43], v31 offset:16
	ds_load_2addr_b32 v[54:55], v30 offset0:128 offset1:144
	ds_load_b128 v[44:47], v31 offset:528
	s_add_nc_u64 s[24:25], s[24:25], 8
	v_add_nc_u64_e32 v[22:23], s[12:13], v[22:23]
	v_cmp_lt_i64_e64 s27, s[24:25], s[36:37]
	v_add_nc_u64_e32 v[24:25], 16, v[24:25]
	s_and_b32 vcc_lo, exec_lo, s27
	s_wait_dscnt 0x7
	v_pk_fma_f32 v[18:19], v[26:27], v[32:33], v[18:19] op_sel_hi:[1,0,1]
	s_wait_dscnt 0x6
	v_pk_fma_f32 v[14:15], v[26:27], v[36:37], v[14:15] op_sel_hi:[1,0,1]
	ds_load_2addr_b32 v[26:27], v30 offset0:160 offset1:176
	s_wait_dscnt 0x6
	v_pk_fma_f32 v[18:19], v[48:49], v[32:33], v[18:19] op_sel:[0,1,0]
	v_pk_fma_f32 v[14:15], v[48:49], v[36:37], v[14:15] op_sel:[0,1,0]
	ds_load_2addr_b32 v[32:33], v30 offset0:192 offset1:208
	v_dual_mov_b32 v36, v35 :: v_dual_mov_b32 v48, v39
	s_wait_dscnt 0x6
	v_pk_fma_f32 v[18:19], v[50:51], v[34:35], v[18:19] op_sel_hi:[1,0,1]
	v_pk_fma_f32 v[14:15], v[50:51], v[38:39], v[14:15] op_sel_hi:[1,0,1]
	ds_load_2addr_b32 v[34:35], v30 offset0:224 offset1:240
	s_wait_dscnt 0x0
	s_barrier_signal -1
	v_pk_fma_f32 v[18:19], v[52:53], v[36:37], v[18:19] op_sel_hi:[1,0,1]
	v_pk_fma_f32 v[14:15], v[52:53], v[48:49], v[14:15] op_sel_hi:[1,0,1]
	s_barrier_wait -1
	v_mov_b32_e32 v36, v47
	s_delay_alu instid0(VALU_DEP_3) | instskip(NEXT) | instid1(VALU_DEP_3)
	v_pk_fma_f32 v[18:19], v[54:55], v[40:41], v[18:19] op_sel_hi:[1,0,1]
	v_pk_fma_f32 v[14:15], v[54:55], v[44:45], v[14:15] op_sel_hi:[1,0,1]
	s_delay_alu instid0(VALU_DEP_2) | instskip(NEXT) | instid1(VALU_DEP_2)
	v_pk_fma_f32 v[18:19], v[26:27], v[40:41], v[18:19] op_sel:[0,1,0]
	v_pk_fma_f32 v[14:15], v[26:27], v[44:45], v[14:15] op_sel:[0,1,0]
	v_mov_b32_e32 v26, v43
	s_delay_alu instid0(VALU_DEP_3) | instskip(NEXT) | instid1(VALU_DEP_3)
	v_pk_fma_f32 v[18:19], v[32:33], v[42:43], v[18:19] op_sel_hi:[1,0,1]
	v_pk_fma_f32 v[14:15], v[32:33], v[46:47], v[14:15] op_sel_hi:[1,0,1]
	s_delay_alu instid0(VALU_DEP_2) | instskip(NEXT) | instid1(VALU_DEP_2)
	v_pk_fma_f32 v[18:19], v[34:35], v[26:27], v[18:19] op_sel_hi:[1,0,1]
	v_pk_fma_f32 v[14:15], v[34:35], v[36:37], v[14:15] op_sel_hi:[1,0,1]
	s_cbranch_vccz .LBB136_11
.LBB136_7:                              ;   Parent Loop BB136_4 Depth=1
                                        ; =>  This Inner Loop Header: Depth=2
	v_add_nc_u64_e32 v[26:27], s[24:25], v[0:1]
	s_delay_alu instid0(VALU_DEP_1) | instskip(SKIP_2) | instid1(SALU_CYCLE_1)
	v_cmp_gt_i64_e32 vcc_lo, s[36:37], v[26:27]
	v_mov_b32_e32 v26, 0
	s_and_b32 s28, s0, vcc_lo
	s_and_saveexec_b32 s27, s28
	s_cbranch_execz .LBB136_9
; %bb.8:                                ;   in Loop: Header=BB136_7 Depth=2
	flat_load_u16 v26, v[24:25]
	s_wait_loadcnt_dscnt 0x0
	v_cvt_f32_f16_e32 v26, v26
.LBB136_9:                              ;   in Loop: Header=BB136_7 Depth=2
	s_wait_xcnt 0x0
	s_or_b32 exec_lo, exec_lo, s27
	v_add_nc_u64_e32 v[32:33], s[24:25], v[2:3]
	v_mov_b32_e32 v27, 0
	ds_store_b32 v28, v26
	v_cmp_gt_i64_e32 vcc_lo, s[36:37], v[32:33]
	s_and_b32 s28, vcc_lo, s1
	s_delay_alu instid0(SALU_CYCLE_1)
	s_and_saveexec_b32 s27, s28
	s_cbranch_execz .LBB136_6
; %bb.10:                               ;   in Loop: Header=BB136_7 Depth=2
	flat_load_u16 v26, v[22:23]
	s_wait_loadcnt_dscnt 0x0
	v_cvt_f32_f16_e32 v27, v26
	s_branch .LBB136_6
.LBB136_11:                             ;   in Loop: Header=BB136_4 Depth=1
	s_wait_loadcnt 0x0
	v_add_nc_u64_e32 v[20:21], s[18:19], v[20:21]
	s_and_not1_b32 vcc_lo, exec_lo, s39
	s_cbranch_vccnz .LBB136_16
; %bb.12:                               ;   in Loop: Header=BB136_4 Depth=1
	s_and_saveexec_b32 s24, s2
	s_cbranch_execz .LBB136_23
; %bb.13:                               ;   in Loop: Header=BB136_4 Depth=1
	s_delay_alu instid0(VALU_DEP_1) | instskip(NEXT) | instid1(VALU_DEP_1)
	v_lshl_add_u64 v[22:23], v[6:7], 2, v[20:21]
	v_lshl_add_u64 v[24:25], v[4:5], 2, v[22:23]
	s_and_saveexec_b32 s25, s3
	s_cbranch_execnz .LBB136_17
; %bb.14:                               ;   in Loop: Header=BB136_4 Depth=1
	s_or_b32 exec_lo, exec_lo, s25
	s_and_saveexec_b32 s25, s4
	s_cbranch_execnz .LBB136_18
.LBB136_15:                             ;   in Loop: Header=BB136_4 Depth=1
	s_or_b32 exec_lo, exec_lo, s25
	s_delay_alu instid0(SALU_CYCLE_1)
	s_and_b32 exec_lo, exec_lo, s5
	s_cbranch_execnz .LBB136_19
	s_branch .LBB136_23
.LBB136_16:                             ;   in Loop: Header=BB136_4 Depth=1
	s_branch .LBB136_24
.LBB136_17:                             ;   in Loop: Header=BB136_4 Depth=1
	v_mul_f32_e32 v26, s38, v18
	flat_store_b32 v[24:25], v26
	s_wait_xcnt 0x0
	s_or_b32 exec_lo, exec_lo, s25
	s_and_saveexec_b32 s25, s4
	s_cbranch_execz .LBB136_15
.LBB136_18:                             ;   in Loop: Header=BB136_4 Depth=1
	v_mul_f32_e32 v26, s38, v19
	flat_store_b32 v[24:25], v26 offset:64
	s_wait_xcnt 0x0
	s_or_b32 exec_lo, exec_lo, s25
	s_delay_alu instid0(SALU_CYCLE_1)
	s_and_b32 exec_lo, exec_lo, s5
	s_cbranch_execz .LBB136_23
.LBB136_19:                             ;   in Loop: Header=BB136_4 Depth=1
	v_lshl_add_u64 v[22:23], s[6:7], 2, v[22:23]
	s_delay_alu instid0(VALU_DEP_1)
	v_lshl_add_u64 v[22:23], v[4:5], 2, v[22:23]
	s_and_saveexec_b32 s25, s3
	s_cbranch_execz .LBB136_21
; %bb.20:                               ;   in Loop: Header=BB136_4 Depth=1
	v_mul_f32_e32 v24, s38, v14
	flat_store_b32 v[22:23], v24
.LBB136_21:                             ;   in Loop: Header=BB136_4 Depth=1
	s_wait_xcnt 0x0
	s_or_b32 exec_lo, exec_lo, s25
	s_delay_alu instid0(SALU_CYCLE_1)
	s_and_b32 exec_lo, exec_lo, s4
	s_cbranch_execz .LBB136_23
; %bb.22:                               ;   in Loop: Header=BB136_4 Depth=1
	v_mul_f32_e32 v24, s38, v15
	flat_store_b32 v[22:23], v24 offset:64
.LBB136_23:                             ;   in Loop: Header=BB136_4 Depth=1
	s_wait_xcnt 0x0
	s_or_b32 exec_lo, exec_lo, s24
	s_cbranch_execnz .LBB136_3
.LBB136_24:                             ;   in Loop: Header=BB136_4 Depth=1
	s_and_saveexec_b32 s24, s2
	s_cbranch_execz .LBB136_2
; %bb.25:                               ;   in Loop: Header=BB136_4 Depth=1
	v_add_nc_u64_e32 v[22:23], s[20:21], v[16:17]
	v_lshlrev_b64_e32 v[16:17], 2, v[4:5]
	v_lshl_add_u64 v[20:21], v[6:7], 2, v[20:21]
	s_delay_alu instid0(VALU_DEP_3) | instskip(NEXT) | instid1(VALU_DEP_2)
	v_lshl_add_u64 v[22:23], v[8:9], 2, v[22:23]
	v_add_nc_u64_e32 v[24:25], v[20:21], v[16:17]
	s_delay_alu instid0(VALU_DEP_2)
	v_add_nc_u64_e32 v[26:27], v[22:23], v[16:17]
	s_and_saveexec_b32 s25, s3
	s_cbranch_execnz .LBB136_28
; %bb.26:                               ;   in Loop: Header=BB136_4 Depth=1
	s_or_b32 exec_lo, exec_lo, s25
	s_and_saveexec_b32 s25, s4
	s_cbranch_execnz .LBB136_29
.LBB136_27:                             ;   in Loop: Header=BB136_4 Depth=1
	s_or_b32 exec_lo, exec_lo, s25
	s_delay_alu instid0(SALU_CYCLE_1)
	s_and_b32 exec_lo, exec_lo, s5
	s_cbranch_execz .LBB136_2
	s_branch .LBB136_30
.LBB136_28:                             ;   in Loop: Header=BB136_4 Depth=1
	flat_load_b32 v33, v[26:27]
	v_mov_b64_e32 v[34:35], s[40:41]
	v_mov_b32_e32 v32, v18
	s_wait_loadcnt_dscnt 0x0
	s_delay_alu instid0(VALU_DEP_1) | instskip(NEXT) | instid1(VALU_DEP_1)
	v_pk_mul_f32 v[32:33], v[34:35], v[32:33]
	v_add_f32_e32 v18, v32, v33
	flat_store_b32 v[24:25], v18
	s_wait_xcnt 0x0
	s_or_b32 exec_lo, exec_lo, s25
	s_and_saveexec_b32 s25, s4
	s_cbranch_execz .LBB136_27
.LBB136_29:                             ;   in Loop: Header=BB136_4 Depth=1
	flat_load_b32 v27, v[26:27] offset:64
	s_wait_xcnt 0x0
	v_mov_b32_e32 v26, v19
	v_mov_b64_e32 v[18:19], s[40:41]
	s_wait_loadcnt_dscnt 0x0
	s_delay_alu instid0(VALU_DEP_1) | instskip(NEXT) | instid1(VALU_DEP_1)
	v_pk_mul_f32 v[18:19], v[18:19], v[26:27]
	v_add_f32_e32 v18, v18, v19
	flat_store_b32 v[24:25], v18 offset:64
	s_wait_xcnt 0x0
	s_or_b32 exec_lo, exec_lo, s25
	s_delay_alu instid0(SALU_CYCLE_1)
	s_and_b32 exec_lo, exec_lo, s5
	s_cbranch_execz .LBB136_2
.LBB136_30:                             ;   in Loop: Header=BB136_4 Depth=1
	v_lshl_add_u64 v[18:19], s[10:11], 2, v[22:23]
	v_lshl_add_u64 v[20:21], s[6:7], 2, v[20:21]
	s_delay_alu instid0(VALU_DEP_2) | instskip(NEXT) | instid1(VALU_DEP_2)
	v_add_nc_u64_e32 v[18:19], v[18:19], v[16:17]
	v_add_nc_u64_e32 v[16:17], v[20:21], v[16:17]
	s_and_saveexec_b32 s25, s3
	s_cbranch_execz .LBB136_32
; %bb.31:                               ;   in Loop: Header=BB136_4 Depth=1
	flat_load_b32 v21, v[18:19]
	v_mov_b64_e32 v[22:23], s[40:41]
	v_mov_b32_e32 v20, v14
	s_wait_loadcnt_dscnt 0x0
	s_delay_alu instid0(VALU_DEP_1) | instskip(NEXT) | instid1(VALU_DEP_1)
	v_pk_mul_f32 v[20:21], v[22:23], v[20:21]
	v_add_f32_e32 v14, v20, v21
	flat_store_b32 v[16:17], v14
.LBB136_32:                             ;   in Loop: Header=BB136_4 Depth=1
	s_wait_xcnt 0x0
	s_or_b32 exec_lo, exec_lo, s25
	s_delay_alu instid0(SALU_CYCLE_1)
	s_and_b32 exec_lo, exec_lo, s4
	s_cbranch_execz .LBB136_2
; %bb.33:                               ;   in Loop: Header=BB136_4 Depth=1
	flat_load_b32 v19, v[18:19] offset:64
	s_wait_xcnt 0x0
	v_mov_b32_e32 v18, v15
	v_mov_b64_e32 v[14:15], s[40:41]
	s_wait_loadcnt_dscnt 0x0
	s_delay_alu instid0(VALU_DEP_1) | instskip(NEXT) | instid1(VALU_DEP_1)
	v_pk_mul_f32 v[14:15], v[14:15], v[18:19]
	v_add_f32_e32 v14, v14, v15
	flat_store_b32 v[16:17], v14 offset:64
	s_branch .LBB136_2
.LBB136_34:
	s_endpgm
	.section	.rodata,"a",@progbits
	.p2align	6, 0x0
	.amdhsa_kernel _ZN12_GLOBAL__N_135rocblas_gemm_batched_general_kernelIfLi16ELi16ELi32ELi32ELi8ELi32ELi8ELi8ELi32ELc67ELc84EKPKDF16_KPKfKPfEEvlllT_PT11_llSB_llS9_PT12_llPT13_lli
		.amdhsa_group_segment_fixed_size 2048
		.amdhsa_private_segment_fixed_size 0
		.amdhsa_kernarg_size 140
		.amdhsa_user_sgpr_count 2
		.amdhsa_user_sgpr_dispatch_ptr 0
		.amdhsa_user_sgpr_queue_ptr 0
		.amdhsa_user_sgpr_kernarg_segment_ptr 1
		.amdhsa_user_sgpr_dispatch_id 0
		.amdhsa_user_sgpr_kernarg_preload_length 0
		.amdhsa_user_sgpr_kernarg_preload_offset 0
		.amdhsa_user_sgpr_private_segment_size 0
		.amdhsa_wavefront_size32 1
		.amdhsa_uses_dynamic_stack 0
		.amdhsa_enable_private_segment 0
		.amdhsa_system_sgpr_workgroup_id_x 1
		.amdhsa_system_sgpr_workgroup_id_y 1
		.amdhsa_system_sgpr_workgroup_id_z 1
		.amdhsa_system_sgpr_workgroup_info 0
		.amdhsa_system_vgpr_workitem_id 1
		.amdhsa_next_free_vgpr 56
		.amdhsa_next_free_sgpr 42
		.amdhsa_named_barrier_count 0
		.amdhsa_reserve_vcc 1
		.amdhsa_float_round_mode_32 0
		.amdhsa_float_round_mode_16_64 0
		.amdhsa_float_denorm_mode_32 3
		.amdhsa_float_denorm_mode_16_64 3
		.amdhsa_fp16_overflow 0
		.amdhsa_memory_ordered 1
		.amdhsa_forward_progress 1
		.amdhsa_inst_pref_size 15
		.amdhsa_round_robin_scheduling 0
		.amdhsa_exception_fp_ieee_invalid_op 0
		.amdhsa_exception_fp_denorm_src 0
		.amdhsa_exception_fp_ieee_div_zero 0
		.amdhsa_exception_fp_ieee_overflow 0
		.amdhsa_exception_fp_ieee_underflow 0
		.amdhsa_exception_fp_ieee_inexact 0
		.amdhsa_exception_int_div_zero 0
	.end_amdhsa_kernel
	.section	.text._ZN12_GLOBAL__N_135rocblas_gemm_batched_general_kernelIfLi16ELi16ELi32ELi32ELi8ELi32ELi8ELi8ELi32ELc67ELc84EKPKDF16_KPKfKPfEEvlllT_PT11_llSB_llS9_PT12_llPT13_lli,"axG",@progbits,_ZN12_GLOBAL__N_135rocblas_gemm_batched_general_kernelIfLi16ELi16ELi32ELi32ELi8ELi32ELi8ELi8ELi32ELc67ELc84EKPKDF16_KPKfKPfEEvlllT_PT11_llSB_llS9_PT12_llPT13_lli,comdat
.Lfunc_end136:
	.size	_ZN12_GLOBAL__N_135rocblas_gemm_batched_general_kernelIfLi16ELi16ELi32ELi32ELi8ELi32ELi8ELi8ELi32ELc67ELc84EKPKDF16_KPKfKPfEEvlllT_PT11_llSB_llS9_PT12_llPT13_lli, .Lfunc_end136-_ZN12_GLOBAL__N_135rocblas_gemm_batched_general_kernelIfLi16ELi16ELi32ELi32ELi8ELi32ELi8ELi8ELi32ELc67ELc84EKPKDF16_KPKfKPfEEvlllT_PT11_llSB_llS9_PT12_llPT13_lli
                                        ; -- End function
	.set _ZN12_GLOBAL__N_135rocblas_gemm_batched_general_kernelIfLi16ELi16ELi32ELi32ELi8ELi32ELi8ELi8ELi32ELc67ELc84EKPKDF16_KPKfKPfEEvlllT_PT11_llSB_llS9_PT12_llPT13_lli.num_vgpr, 56
	.set _ZN12_GLOBAL__N_135rocblas_gemm_batched_general_kernelIfLi16ELi16ELi32ELi32ELi8ELi32ELi8ELi8ELi32ELc67ELc84EKPKDF16_KPKfKPfEEvlllT_PT11_llSB_llS9_PT12_llPT13_lli.num_agpr, 0
	.set _ZN12_GLOBAL__N_135rocblas_gemm_batched_general_kernelIfLi16ELi16ELi32ELi32ELi8ELi32ELi8ELi8ELi32ELc67ELc84EKPKDF16_KPKfKPfEEvlllT_PT11_llSB_llS9_PT12_llPT13_lli.numbered_sgpr, 42
	.set _ZN12_GLOBAL__N_135rocblas_gemm_batched_general_kernelIfLi16ELi16ELi32ELi32ELi8ELi32ELi8ELi8ELi32ELc67ELc84EKPKDF16_KPKfKPfEEvlllT_PT11_llSB_llS9_PT12_llPT13_lli.num_named_barrier, 0
	.set _ZN12_GLOBAL__N_135rocblas_gemm_batched_general_kernelIfLi16ELi16ELi32ELi32ELi8ELi32ELi8ELi8ELi32ELc67ELc84EKPKDF16_KPKfKPfEEvlllT_PT11_llSB_llS9_PT12_llPT13_lli.private_seg_size, 0
	.set _ZN12_GLOBAL__N_135rocblas_gemm_batched_general_kernelIfLi16ELi16ELi32ELi32ELi8ELi32ELi8ELi8ELi32ELc67ELc84EKPKDF16_KPKfKPfEEvlllT_PT11_llSB_llS9_PT12_llPT13_lli.uses_vcc, 1
	.set _ZN12_GLOBAL__N_135rocblas_gemm_batched_general_kernelIfLi16ELi16ELi32ELi32ELi8ELi32ELi8ELi8ELi32ELc67ELc84EKPKDF16_KPKfKPfEEvlllT_PT11_llSB_llS9_PT12_llPT13_lli.uses_flat_scratch, 0
	.set _ZN12_GLOBAL__N_135rocblas_gemm_batched_general_kernelIfLi16ELi16ELi32ELi32ELi8ELi32ELi8ELi8ELi32ELc67ELc84EKPKDF16_KPKfKPfEEvlllT_PT11_llSB_llS9_PT12_llPT13_lli.has_dyn_sized_stack, 0
	.set _ZN12_GLOBAL__N_135rocblas_gemm_batched_general_kernelIfLi16ELi16ELi32ELi32ELi8ELi32ELi8ELi8ELi32ELc67ELc84EKPKDF16_KPKfKPfEEvlllT_PT11_llSB_llS9_PT12_llPT13_lli.has_recursion, 0
	.set _ZN12_GLOBAL__N_135rocblas_gemm_batched_general_kernelIfLi16ELi16ELi32ELi32ELi8ELi32ELi8ELi8ELi32ELc67ELc84EKPKDF16_KPKfKPfEEvlllT_PT11_llSB_llS9_PT12_llPT13_lli.has_indirect_call, 0
	.section	.AMDGPU.csdata,"",@progbits
; Kernel info:
; codeLenInByte = 1848
; TotalNumSgprs: 44
; NumVgprs: 56
; ScratchSize: 0
; MemoryBound: 0
; FloatMode: 240
; IeeeMode: 1
; LDSByteSize: 2048 bytes/workgroup (compile time only)
; SGPRBlocks: 0
; VGPRBlocks: 3
; NumSGPRsForWavesPerEU: 44
; NumVGPRsForWavesPerEU: 56
; NamedBarCnt: 0
; Occupancy: 16
; WaveLimiterHint : 1
; COMPUTE_PGM_RSRC2:SCRATCH_EN: 0
; COMPUTE_PGM_RSRC2:USER_SGPR: 2
; COMPUTE_PGM_RSRC2:TRAP_HANDLER: 0
; COMPUTE_PGM_RSRC2:TGID_X_EN: 1
; COMPUTE_PGM_RSRC2:TGID_Y_EN: 1
; COMPUTE_PGM_RSRC2:TGID_Z_EN: 1
; COMPUTE_PGM_RSRC2:TIDIG_COMP_CNT: 1
	.section	.text._ZN12_GLOBAL__N_135rocblas_gemm_batched_general_kernelIfLi16ELi16ELi32ELi32ELi8ELi32ELi8ELi8ELi32ELc78ELc67EKPKDF16_KPKfKPfEEvlllT_PT11_llSB_llS9_PT12_llPT13_lli,"axG",@progbits,_ZN12_GLOBAL__N_135rocblas_gemm_batched_general_kernelIfLi16ELi16ELi32ELi32ELi8ELi32ELi8ELi8ELi32ELc78ELc67EKPKDF16_KPKfKPfEEvlllT_PT11_llSB_llS9_PT12_llPT13_lli,comdat
	.globl	_ZN12_GLOBAL__N_135rocblas_gemm_batched_general_kernelIfLi16ELi16ELi32ELi32ELi8ELi32ELi8ELi8ELi32ELc78ELc67EKPKDF16_KPKfKPfEEvlllT_PT11_llSB_llS9_PT12_llPT13_lli ; -- Begin function _ZN12_GLOBAL__N_135rocblas_gemm_batched_general_kernelIfLi16ELi16ELi32ELi32ELi8ELi32ELi8ELi8ELi32ELc78ELc67EKPKDF16_KPKfKPfEEvlllT_PT11_llSB_llS9_PT12_llPT13_lli
	.p2align	8
	.type	_ZN12_GLOBAL__N_135rocblas_gemm_batched_general_kernelIfLi16ELi16ELi32ELi32ELi8ELi32ELi8ELi8ELi32ELc78ELc67EKPKDF16_KPKfKPfEEvlllT_PT11_llSB_llS9_PT12_llPT13_lli,@function
_ZN12_GLOBAL__N_135rocblas_gemm_batched_general_kernelIfLi16ELi16ELi32ELi32ELi8ELi32ELi8ELi8ELi32ELc78ELc67EKPKDF16_KPKfKPfEEvlllT_PT11_llSB_llS9_PT12_llPT13_lli: ; @_ZN12_GLOBAL__N_135rocblas_gemm_batched_general_kernelIfLi16ELi16ELi32ELi32ELi8ELi32ELi8ELi8ELi32ELc78ELc67EKPKDF16_KPKfKPfEEvlllT_PT11_llSB_llS9_PT12_llPT13_lli
; %bb.0:
	s_load_b32 s33, s[0:1], 0x88
	s_bfe_u32 s2, ttmp6, 0x40014
	s_lshr_b32 s3, ttmp7, 16
	s_add_co_i32 s2, s2, 1
	s_bfe_u32 s5, ttmp6, 0x40008
	s_mul_i32 s4, s3, s2
	s_getreg_b32 s2, hwreg(HW_REG_IB_STS2, 6, 4)
	s_add_co_i32 s5, s5, s4
	s_cmp_eq_u32 s2, 0
	s_mov_b32 s35, 0
	s_cselect_b32 s34, s3, s5
	s_wait_kmcnt 0x0
	s_cmp_ge_i32 s34, s33
	s_cbranch_scc1 .LBB137_34
; %bb.1:
	s_clause 0x6
	s_load_b128 s[4:7], s[0:1], 0x0
	s_load_b96 s[36:38], s[0:1], 0x10
	s_load_b256 s[8:15], s[0:1], 0x20
	s_load_b128 s[28:31], s[0:1], 0x40
	s_load_b32 s41, s[0:1], 0x50
	s_load_b128 s[24:27], s[0:1], 0x78
	s_load_b256 s[16:23], s[0:1], 0x58
	v_bfe_u32 v6, v0, 10, 10
	v_and_b32_e32 v8, 0x3ff, v0
	s_wait_xcnt 0x0
	s_bfe_u32 s0, ttmp6, 0x4000c
	s_bfe_u32 s3, ttmp6, 0x40010
	s_add_co_i32 s0, s0, 1
	s_and_b32 s39, ttmp7, 0xffff
	s_add_co_i32 s3, s3, 1
	v_lshl_add_u32 v1, v6, 4, v8
	v_mov_b32_e32 v3, 0
	s_and_b32 s1, ttmp6, 15
	s_mul_i32 s0, ttmp9, s0
	s_mul_i32 s3, s39, s3
	s_bfe_u32 s40, ttmp6, 0x40004
	s_add_co_i32 s1, s1, s0
	s_add_co_i32 s40, s40, s3
	s_cmp_eq_u32 s2, 0
	v_dual_mov_b32 v9, v3 :: v_dual_bitop2_b32 v22, 31, v1 bitop3:0x40
	v_dual_lshrrev_b32 v2, 5, v1 :: v_dual_bitop2_b32 v0, 7, v0 bitop3:0x40
	v_dual_mov_b32 v1, v3 :: v_dual_lshrrev_b32 v10, 3, v1
	v_mov_b32_e32 v11, v3
	s_cselect_b32 s40, s39, s40
	s_cselect_b32 s42, ttmp9, s1
	s_lshl_b32 s44, s40, 5
	s_mov_b32 s45, s35
	s_wait_kmcnt 0x0
	v_mul_u64_e32 v[12:13], s[28:29], v[0:1]
	v_add_nc_u64_e32 v[14:15], s[44:45], v[10:11]
	v_dual_lshlrev_b32 v11, 2, v0 :: v_dual_lshlrev_b32 v18, 2, v22
	v_mul_u64_e32 v[16:17], s[10:11], v[2:3]
	v_dual_mov_b32 v7, v3 :: v_dual_lshlrev_b32 v30, 2, v8
	s_ashr_i32 s43, s42, 31
	s_delay_alu instid0(VALU_DEP_3) | instskip(SKIP_1) | instid1(VALU_DEP_2)
	v_lshl_or_b32 v28, v2, 7, v18
	s_lshl_b64 s[2:3], s[42:43], 5
	v_add_nc_u64_e32 v[18:19], s[44:45], v[6:7]
	v_dual_mov_b32 v5, s3 :: v_dual_bitop2_b32 v4, s2, v22 bitop3:0x54
	v_lshl_add_u32 v31, v6, 5, 0x400
	v_cmp_gt_i64_e64 s1, s[6:7], v[14:15]
	s_cmp_eq_f32 s41, 0
	v_lshl_or_b32 v11, v10, 5, v11
	v_cmp_gt_i64_e64 s0, s[4:5], v[4:5]
	v_add_nc_u64_e32 v[4:5], s[2:3], v[8:9]
	v_mul_u64_e32 v[6:7], s[24:25], v[18:19]
	v_mul_u64_e32 v[8:9], s[18:19], v[18:19]
	v_add_nc_u64_e32 v[20:21], 16, v[18:19]
	s_cselect_b32 s39, -1, 0
	v_cmp_gt_i64_e64 s2, s[6:7], v[18:19]
	s_lshl_b32 s44, s40, 6
	v_add_nc_u64_e32 v[14:15], 16, v[4:5]
	v_cmp_gt_i64_e64 s3, s[4:5], v[4:5]
	s_lshl_b64 s[30:31], s[30:31], 1
	s_lshl_b64 s[12:13], s[12:13], 1
	s_add_nc_u64 s[30:31], s[30:31], s[44:45]
	v_add_nc_u32_e32 v29, 0x400, v11
	v_dual_mov_b32 v11, v3 :: v_dual_lshlrev_b32 v10, 1, v10
	v_cmp_gt_i64_e64 s4, s[4:5], v[14:15]
	v_cmp_gt_i64_e64 s5, s[6:7], v[20:21]
	s_lshl_b64 s[6:7], s[24:25], 4
	s_lshl_b64 s[24:25], s[42:43], 6
	v_lshl_add_u64 v[12:13], v[12:13], 1, s[30:31]
	s_add_nc_u64 s[12:13], s[12:13], s[24:25]
	s_mov_b32 s40, s38
	v_lshl_add_u64 v[14:15], v[16:17], 1, s[12:13]
	v_dual_mov_b32 v17, v3 :: v_dual_lshlrev_b32 v16, 1, v22
	s_lshl_b64 s[12:13], s[18:19], 4
	v_add_nc_u64_e32 v[10:11], v[12:13], v[10:11]
	s_lshl_b64 s[18:19], s[28:29], 4
	v_cmp_gt_i64_e64 s28, s[36:37], 0
	v_add_nc_u64_e32 v[12:13], v[14:15], v[16:17]
	s_lshl_b64 s[10:11], s[10:11], 4
	s_lshl_b64 s[24:25], s[26:27], 2
	;; [unrolled: 1-line block ×3, first 2 shown]
	s_branch .LBB137_4
.LBB137_2:                              ;   in Loop: Header=BB137_4 Depth=1
	s_wait_xcnt 0x0
	s_or_b32 exec_lo, exec_lo, s26
.LBB137_3:                              ;   in Loop: Header=BB137_4 Depth=1
	s_add_co_i32 s34, s34, 0x10000
	s_delay_alu instid0(SALU_CYCLE_1)
	s_cmp_lt_i32 s34, s33
	s_cbranch_scc0 .LBB137_34
.LBB137_4:                              ; =>This Loop Header: Depth=1
                                        ;     Child Loop BB137_7 Depth 2
	v_dual_mov_b32 v14, s34 :: v_dual_mov_b32 v19, 0
	v_dual_mov_b32 v18, 0 :: v_dual_mov_b32 v15, 0
	s_and_not1_b32 vcc_lo, exec_lo, s28
	s_clause 0x1
	global_load_b64 v[16:17], v14, s[16:17] scale_offset
	global_load_b64 v[20:21], v14, s[22:23] scale_offset
	s_wait_xcnt 0x0
	v_mov_b32_e32 v14, 0
	s_cbranch_vccnz .LBB137_11
; %bb.5:                                ;   in Loop: Header=BB137_4 Depth=1
	s_lshl_b64 s[26:27], s[34:35], 3
	v_mov_b32_e32 v18, 0
	s_add_nc_u64 s[30:31], s[14:15], s[26:27]
	s_add_nc_u64 s[26:27], s[8:9], s[26:27]
	s_clause 0x1
	global_load_b64 v[14:15], v3, s[30:31]
	global_load_b64 v[24:25], v3, s[26:27]
	s_wait_xcnt 0x0
	s_mov_b64 s[26:27], 0
	v_mov_b32_e32 v19, v18
	s_wait_loadcnt 0x1
	v_add_nc_u64_e32 v[22:23], v[14:15], v[10:11]
	s_wait_loadcnt 0x0
	v_add_nc_u64_e32 v[24:25], v[24:25], v[12:13]
	v_dual_mov_b32 v14, v18 :: v_dual_mov_b32 v15, v18
	s_branch .LBB137_7
.LBB137_6:                              ;   in Loop: Header=BB137_7 Depth=2
	s_wait_xcnt 0x0
	s_or_b32 exec_lo, exec_lo, s29
	ds_store_b32 v29, v27
	s_wait_dscnt 0x0
	s_barrier_signal -1
	s_barrier_wait -1
	ds_load_b128 v[32:35], v31
	ds_load_2addr_b32 v[26:27], v30 offset1:16
	ds_load_b128 v[36:39], v31 offset:512
	ds_load_2addr_b32 v[48:49], v30 offset0:32 offset1:48
	ds_load_2addr_b32 v[50:51], v30 offset0:64 offset1:80
	;; [unrolled: 1-line block ×3, first 2 shown]
	ds_load_b128 v[40:43], v31 offset:16
	ds_load_2addr_b32 v[54:55], v30 offset0:128 offset1:144
	ds_load_b128 v[44:47], v31 offset:528
	s_add_nc_u64 s[26:27], s[26:27], 8
	v_add_nc_u64_e32 v[22:23], s[18:19], v[22:23]
	v_cmp_lt_i64_e64 s29, s[26:27], s[36:37]
	v_add_nc_u64_e32 v[24:25], s[10:11], v[24:25]
	s_and_b32 vcc_lo, exec_lo, s29
	s_wait_dscnt 0x7
	v_pk_fma_f32 v[18:19], v[26:27], v[32:33], v[18:19] op_sel_hi:[1,0,1]
	s_wait_dscnt 0x6
	v_pk_fma_f32 v[14:15], v[26:27], v[36:37], v[14:15] op_sel_hi:[1,0,1]
	ds_load_2addr_b32 v[26:27], v30 offset0:160 offset1:176
	s_wait_dscnt 0x6
	v_pk_fma_f32 v[18:19], v[48:49], v[32:33], v[18:19] op_sel:[0,1,0]
	v_pk_fma_f32 v[14:15], v[48:49], v[36:37], v[14:15] op_sel:[0,1,0]
	ds_load_2addr_b32 v[32:33], v30 offset0:192 offset1:208
	v_dual_mov_b32 v36, v35 :: v_dual_mov_b32 v48, v39
	s_wait_dscnt 0x6
	v_pk_fma_f32 v[18:19], v[50:51], v[34:35], v[18:19] op_sel_hi:[1,0,1]
	v_pk_fma_f32 v[14:15], v[50:51], v[38:39], v[14:15] op_sel_hi:[1,0,1]
	ds_load_2addr_b32 v[34:35], v30 offset0:224 offset1:240
	s_wait_dscnt 0x0
	s_barrier_signal -1
	v_pk_fma_f32 v[18:19], v[52:53], v[36:37], v[18:19] op_sel_hi:[1,0,1]
	v_pk_fma_f32 v[14:15], v[52:53], v[48:49], v[14:15] op_sel_hi:[1,0,1]
	s_barrier_wait -1
	v_mov_b32_e32 v36, v47
	s_delay_alu instid0(VALU_DEP_3) | instskip(NEXT) | instid1(VALU_DEP_3)
	v_pk_fma_f32 v[18:19], v[54:55], v[40:41], v[18:19] op_sel_hi:[1,0,1]
	v_pk_fma_f32 v[14:15], v[54:55], v[44:45], v[14:15] op_sel_hi:[1,0,1]
	s_delay_alu instid0(VALU_DEP_2) | instskip(NEXT) | instid1(VALU_DEP_2)
	v_pk_fma_f32 v[18:19], v[26:27], v[40:41], v[18:19] op_sel:[0,1,0]
	v_pk_fma_f32 v[14:15], v[26:27], v[44:45], v[14:15] op_sel:[0,1,0]
	v_mov_b32_e32 v26, v43
	s_delay_alu instid0(VALU_DEP_3) | instskip(NEXT) | instid1(VALU_DEP_3)
	v_pk_fma_f32 v[18:19], v[32:33], v[42:43], v[18:19] op_sel_hi:[1,0,1]
	v_pk_fma_f32 v[14:15], v[32:33], v[46:47], v[14:15] op_sel_hi:[1,0,1]
	s_delay_alu instid0(VALU_DEP_2) | instskip(NEXT) | instid1(VALU_DEP_2)
	v_pk_fma_f32 v[18:19], v[34:35], v[26:27], v[18:19] op_sel_hi:[1,0,1]
	v_pk_fma_f32 v[14:15], v[34:35], v[36:37], v[14:15] op_sel_hi:[1,0,1]
	s_cbranch_vccz .LBB137_11
.LBB137_7:                              ;   Parent Loop BB137_4 Depth=1
                                        ; =>  This Inner Loop Header: Depth=2
	v_add_nc_u64_e32 v[26:27], s[26:27], v[2:3]
	s_delay_alu instid0(VALU_DEP_1) | instskip(SKIP_2) | instid1(SALU_CYCLE_1)
	v_cmp_gt_i64_e32 vcc_lo, s[36:37], v[26:27]
	v_mov_b32_e32 v26, 0
	s_and_b32 s30, s0, vcc_lo
	s_and_saveexec_b32 s29, s30
	s_cbranch_execz .LBB137_9
; %bb.8:                                ;   in Loop: Header=BB137_7 Depth=2
	flat_load_u16 v26, v[24:25]
	s_wait_loadcnt_dscnt 0x0
	v_cvt_f32_f16_e32 v26, v26
.LBB137_9:                              ;   in Loop: Header=BB137_7 Depth=2
	s_wait_xcnt 0x0
	s_or_b32 exec_lo, exec_lo, s29
	v_add_nc_u64_e32 v[32:33], s[26:27], v[0:1]
	v_mov_b32_e32 v27, 0
	ds_store_b32 v28, v26
	v_cmp_gt_i64_e32 vcc_lo, s[36:37], v[32:33]
	s_and_b32 s30, vcc_lo, s1
	s_delay_alu instid0(SALU_CYCLE_1)
	s_and_saveexec_b32 s29, s30
	s_cbranch_execz .LBB137_6
; %bb.10:                               ;   in Loop: Header=BB137_7 Depth=2
	flat_load_u16 v26, v[22:23]
	s_wait_loadcnt_dscnt 0x0
	v_cvt_f32_f16_e32 v27, v26
	s_branch .LBB137_6
.LBB137_11:                             ;   in Loop: Header=BB137_4 Depth=1
	s_wait_loadcnt 0x0
	v_add_nc_u64_e32 v[20:21], s[24:25], v[20:21]
	s_and_not1_b32 vcc_lo, exec_lo, s39
	s_cbranch_vccnz .LBB137_16
; %bb.12:                               ;   in Loop: Header=BB137_4 Depth=1
	s_and_saveexec_b32 s26, s2
	s_cbranch_execz .LBB137_23
; %bb.13:                               ;   in Loop: Header=BB137_4 Depth=1
	s_delay_alu instid0(VALU_DEP_1) | instskip(NEXT) | instid1(VALU_DEP_1)
	v_lshl_add_u64 v[22:23], v[6:7], 2, v[20:21]
	v_lshl_add_u64 v[24:25], v[4:5], 2, v[22:23]
	s_and_saveexec_b32 s27, s3
	s_cbranch_execnz .LBB137_17
; %bb.14:                               ;   in Loop: Header=BB137_4 Depth=1
	s_or_b32 exec_lo, exec_lo, s27
	s_and_saveexec_b32 s27, s4
	s_cbranch_execnz .LBB137_18
.LBB137_15:                             ;   in Loop: Header=BB137_4 Depth=1
	s_or_b32 exec_lo, exec_lo, s27
	s_delay_alu instid0(SALU_CYCLE_1)
	s_and_b32 exec_lo, exec_lo, s5
	s_cbranch_execnz .LBB137_19
	s_branch .LBB137_23
.LBB137_16:                             ;   in Loop: Header=BB137_4 Depth=1
	s_branch .LBB137_24
.LBB137_17:                             ;   in Loop: Header=BB137_4 Depth=1
	v_mul_f32_e32 v26, s38, v18
	flat_store_b32 v[24:25], v26
	s_wait_xcnt 0x0
	s_or_b32 exec_lo, exec_lo, s27
	s_and_saveexec_b32 s27, s4
	s_cbranch_execz .LBB137_15
.LBB137_18:                             ;   in Loop: Header=BB137_4 Depth=1
	v_mul_f32_e32 v26, s38, v19
	flat_store_b32 v[24:25], v26 offset:64
	s_wait_xcnt 0x0
	s_or_b32 exec_lo, exec_lo, s27
	s_delay_alu instid0(SALU_CYCLE_1)
	s_and_b32 exec_lo, exec_lo, s5
	s_cbranch_execz .LBB137_23
.LBB137_19:                             ;   in Loop: Header=BB137_4 Depth=1
	v_lshl_add_u64 v[22:23], s[6:7], 2, v[22:23]
	s_delay_alu instid0(VALU_DEP_1)
	v_lshl_add_u64 v[22:23], v[4:5], 2, v[22:23]
	s_and_saveexec_b32 s27, s3
	s_cbranch_execz .LBB137_21
; %bb.20:                               ;   in Loop: Header=BB137_4 Depth=1
	v_mul_f32_e32 v24, s38, v14
	flat_store_b32 v[22:23], v24
.LBB137_21:                             ;   in Loop: Header=BB137_4 Depth=1
	s_wait_xcnt 0x0
	s_or_b32 exec_lo, exec_lo, s27
	s_delay_alu instid0(SALU_CYCLE_1)
	s_and_b32 exec_lo, exec_lo, s4
	s_cbranch_execz .LBB137_23
; %bb.22:                               ;   in Loop: Header=BB137_4 Depth=1
	v_mul_f32_e32 v24, s38, v15
	flat_store_b32 v[22:23], v24 offset:64
.LBB137_23:                             ;   in Loop: Header=BB137_4 Depth=1
	s_wait_xcnt 0x0
	s_or_b32 exec_lo, exec_lo, s26
	s_cbranch_execnz .LBB137_3
.LBB137_24:                             ;   in Loop: Header=BB137_4 Depth=1
	s_and_saveexec_b32 s26, s2
	s_cbranch_execz .LBB137_2
; %bb.25:                               ;   in Loop: Header=BB137_4 Depth=1
	v_add_nc_u64_e32 v[22:23], s[20:21], v[16:17]
	v_lshlrev_b64_e32 v[16:17], 2, v[4:5]
	v_lshl_add_u64 v[20:21], v[6:7], 2, v[20:21]
	s_delay_alu instid0(VALU_DEP_3) | instskip(NEXT) | instid1(VALU_DEP_2)
	v_lshl_add_u64 v[22:23], v[8:9], 2, v[22:23]
	v_add_nc_u64_e32 v[24:25], v[20:21], v[16:17]
	s_delay_alu instid0(VALU_DEP_2)
	v_add_nc_u64_e32 v[26:27], v[22:23], v[16:17]
	s_and_saveexec_b32 s27, s3
	s_cbranch_execnz .LBB137_28
; %bb.26:                               ;   in Loop: Header=BB137_4 Depth=1
	s_or_b32 exec_lo, exec_lo, s27
	s_and_saveexec_b32 s27, s4
	s_cbranch_execnz .LBB137_29
.LBB137_27:                             ;   in Loop: Header=BB137_4 Depth=1
	s_or_b32 exec_lo, exec_lo, s27
	s_delay_alu instid0(SALU_CYCLE_1)
	s_and_b32 exec_lo, exec_lo, s5
	s_cbranch_execz .LBB137_2
	s_branch .LBB137_30
.LBB137_28:                             ;   in Loop: Header=BB137_4 Depth=1
	flat_load_b32 v33, v[26:27]
	v_mov_b64_e32 v[34:35], s[40:41]
	v_mov_b32_e32 v32, v18
	s_wait_loadcnt_dscnt 0x0
	s_delay_alu instid0(VALU_DEP_1) | instskip(NEXT) | instid1(VALU_DEP_1)
	v_pk_mul_f32 v[32:33], v[34:35], v[32:33]
	v_add_f32_e32 v18, v32, v33
	flat_store_b32 v[24:25], v18
	s_wait_xcnt 0x0
	s_or_b32 exec_lo, exec_lo, s27
	s_and_saveexec_b32 s27, s4
	s_cbranch_execz .LBB137_27
.LBB137_29:                             ;   in Loop: Header=BB137_4 Depth=1
	flat_load_b32 v27, v[26:27] offset:64
	s_wait_xcnt 0x0
	v_mov_b32_e32 v26, v19
	v_mov_b64_e32 v[18:19], s[40:41]
	s_wait_loadcnt_dscnt 0x0
	s_delay_alu instid0(VALU_DEP_1) | instskip(NEXT) | instid1(VALU_DEP_1)
	v_pk_mul_f32 v[18:19], v[18:19], v[26:27]
	v_add_f32_e32 v18, v18, v19
	flat_store_b32 v[24:25], v18 offset:64
	s_wait_xcnt 0x0
	s_or_b32 exec_lo, exec_lo, s27
	s_delay_alu instid0(SALU_CYCLE_1)
	s_and_b32 exec_lo, exec_lo, s5
	s_cbranch_execz .LBB137_2
.LBB137_30:                             ;   in Loop: Header=BB137_4 Depth=1
	v_lshl_add_u64 v[18:19], s[12:13], 2, v[22:23]
	v_lshl_add_u64 v[20:21], s[6:7], 2, v[20:21]
	s_delay_alu instid0(VALU_DEP_2) | instskip(NEXT) | instid1(VALU_DEP_2)
	v_add_nc_u64_e32 v[18:19], v[18:19], v[16:17]
	v_add_nc_u64_e32 v[16:17], v[20:21], v[16:17]
	s_and_saveexec_b32 s27, s3
	s_cbranch_execz .LBB137_32
; %bb.31:                               ;   in Loop: Header=BB137_4 Depth=1
	flat_load_b32 v21, v[18:19]
	v_mov_b64_e32 v[22:23], s[40:41]
	v_mov_b32_e32 v20, v14
	s_wait_loadcnt_dscnt 0x0
	s_delay_alu instid0(VALU_DEP_1) | instskip(NEXT) | instid1(VALU_DEP_1)
	v_pk_mul_f32 v[20:21], v[22:23], v[20:21]
	v_add_f32_e32 v14, v20, v21
	flat_store_b32 v[16:17], v14
.LBB137_32:                             ;   in Loop: Header=BB137_4 Depth=1
	s_wait_xcnt 0x0
	s_or_b32 exec_lo, exec_lo, s27
	s_delay_alu instid0(SALU_CYCLE_1)
	s_and_b32 exec_lo, exec_lo, s4
	s_cbranch_execz .LBB137_2
; %bb.33:                               ;   in Loop: Header=BB137_4 Depth=1
	flat_load_b32 v19, v[18:19] offset:64
	s_wait_xcnt 0x0
	v_mov_b32_e32 v18, v15
	v_mov_b64_e32 v[14:15], s[40:41]
	s_wait_loadcnt_dscnt 0x0
	s_delay_alu instid0(VALU_DEP_1) | instskip(NEXT) | instid1(VALU_DEP_1)
	v_pk_mul_f32 v[14:15], v[14:15], v[18:19]
	v_add_f32_e32 v14, v14, v15
	flat_store_b32 v[16:17], v14 offset:64
	s_branch .LBB137_2
.LBB137_34:
	s_endpgm
	.section	.rodata,"a",@progbits
	.p2align	6, 0x0
	.amdhsa_kernel _ZN12_GLOBAL__N_135rocblas_gemm_batched_general_kernelIfLi16ELi16ELi32ELi32ELi8ELi32ELi8ELi8ELi32ELc78ELc67EKPKDF16_KPKfKPfEEvlllT_PT11_llSB_llS9_PT12_llPT13_lli
		.amdhsa_group_segment_fixed_size 2048
		.amdhsa_private_segment_fixed_size 0
		.amdhsa_kernarg_size 140
		.amdhsa_user_sgpr_count 2
		.amdhsa_user_sgpr_dispatch_ptr 0
		.amdhsa_user_sgpr_queue_ptr 0
		.amdhsa_user_sgpr_kernarg_segment_ptr 1
		.amdhsa_user_sgpr_dispatch_id 0
		.amdhsa_user_sgpr_kernarg_preload_length 0
		.amdhsa_user_sgpr_kernarg_preload_offset 0
		.amdhsa_user_sgpr_private_segment_size 0
		.amdhsa_wavefront_size32 1
		.amdhsa_uses_dynamic_stack 0
		.amdhsa_enable_private_segment 0
		.amdhsa_system_sgpr_workgroup_id_x 1
		.amdhsa_system_sgpr_workgroup_id_y 1
		.amdhsa_system_sgpr_workgroup_id_z 1
		.amdhsa_system_sgpr_workgroup_info 0
		.amdhsa_system_vgpr_workitem_id 1
		.amdhsa_next_free_vgpr 56
		.amdhsa_next_free_sgpr 46
		.amdhsa_named_barrier_count 0
		.amdhsa_reserve_vcc 1
		.amdhsa_float_round_mode_32 0
		.amdhsa_float_round_mode_16_64 0
		.amdhsa_float_denorm_mode_32 3
		.amdhsa_float_denorm_mode_16_64 3
		.amdhsa_fp16_overflow 0
		.amdhsa_memory_ordered 1
		.amdhsa_forward_progress 1
		.amdhsa_inst_pref_size 15
		.amdhsa_round_robin_scheduling 0
		.amdhsa_exception_fp_ieee_invalid_op 0
		.amdhsa_exception_fp_denorm_src 0
		.amdhsa_exception_fp_ieee_div_zero 0
		.amdhsa_exception_fp_ieee_overflow 0
		.amdhsa_exception_fp_ieee_underflow 0
		.amdhsa_exception_fp_ieee_inexact 0
		.amdhsa_exception_int_div_zero 0
	.end_amdhsa_kernel
	.section	.text._ZN12_GLOBAL__N_135rocblas_gemm_batched_general_kernelIfLi16ELi16ELi32ELi32ELi8ELi32ELi8ELi8ELi32ELc78ELc67EKPKDF16_KPKfKPfEEvlllT_PT11_llSB_llS9_PT12_llPT13_lli,"axG",@progbits,_ZN12_GLOBAL__N_135rocblas_gemm_batched_general_kernelIfLi16ELi16ELi32ELi32ELi8ELi32ELi8ELi8ELi32ELc78ELc67EKPKDF16_KPKfKPfEEvlllT_PT11_llSB_llS9_PT12_llPT13_lli,comdat
.Lfunc_end137:
	.size	_ZN12_GLOBAL__N_135rocblas_gemm_batched_general_kernelIfLi16ELi16ELi32ELi32ELi8ELi32ELi8ELi8ELi32ELc78ELc67EKPKDF16_KPKfKPfEEvlllT_PT11_llSB_llS9_PT12_llPT13_lli, .Lfunc_end137-_ZN12_GLOBAL__N_135rocblas_gemm_batched_general_kernelIfLi16ELi16ELi32ELi32ELi8ELi32ELi8ELi8ELi32ELc78ELc67EKPKDF16_KPKfKPfEEvlllT_PT11_llSB_llS9_PT12_llPT13_lli
                                        ; -- End function
	.set _ZN12_GLOBAL__N_135rocblas_gemm_batched_general_kernelIfLi16ELi16ELi32ELi32ELi8ELi32ELi8ELi8ELi32ELc78ELc67EKPKDF16_KPKfKPfEEvlllT_PT11_llSB_llS9_PT12_llPT13_lli.num_vgpr, 56
	.set _ZN12_GLOBAL__N_135rocblas_gemm_batched_general_kernelIfLi16ELi16ELi32ELi32ELi8ELi32ELi8ELi8ELi32ELc78ELc67EKPKDF16_KPKfKPfEEvlllT_PT11_llSB_llS9_PT12_llPT13_lli.num_agpr, 0
	.set _ZN12_GLOBAL__N_135rocblas_gemm_batched_general_kernelIfLi16ELi16ELi32ELi32ELi8ELi32ELi8ELi8ELi32ELc78ELc67EKPKDF16_KPKfKPfEEvlllT_PT11_llSB_llS9_PT12_llPT13_lli.numbered_sgpr, 46
	.set _ZN12_GLOBAL__N_135rocblas_gemm_batched_general_kernelIfLi16ELi16ELi32ELi32ELi8ELi32ELi8ELi8ELi32ELc78ELc67EKPKDF16_KPKfKPfEEvlllT_PT11_llSB_llS9_PT12_llPT13_lli.num_named_barrier, 0
	.set _ZN12_GLOBAL__N_135rocblas_gemm_batched_general_kernelIfLi16ELi16ELi32ELi32ELi8ELi32ELi8ELi8ELi32ELc78ELc67EKPKDF16_KPKfKPfEEvlllT_PT11_llSB_llS9_PT12_llPT13_lli.private_seg_size, 0
	.set _ZN12_GLOBAL__N_135rocblas_gemm_batched_general_kernelIfLi16ELi16ELi32ELi32ELi8ELi32ELi8ELi8ELi32ELc78ELc67EKPKDF16_KPKfKPfEEvlllT_PT11_llSB_llS9_PT12_llPT13_lli.uses_vcc, 1
	.set _ZN12_GLOBAL__N_135rocblas_gemm_batched_general_kernelIfLi16ELi16ELi32ELi32ELi8ELi32ELi8ELi8ELi32ELc78ELc67EKPKDF16_KPKfKPfEEvlllT_PT11_llSB_llS9_PT12_llPT13_lli.uses_flat_scratch, 0
	.set _ZN12_GLOBAL__N_135rocblas_gemm_batched_general_kernelIfLi16ELi16ELi32ELi32ELi8ELi32ELi8ELi8ELi32ELc78ELc67EKPKDF16_KPKfKPfEEvlllT_PT11_llSB_llS9_PT12_llPT13_lli.has_dyn_sized_stack, 0
	.set _ZN12_GLOBAL__N_135rocblas_gemm_batched_general_kernelIfLi16ELi16ELi32ELi32ELi8ELi32ELi8ELi8ELi32ELc78ELc67EKPKDF16_KPKfKPfEEvlllT_PT11_llSB_llS9_PT12_llPT13_lli.has_recursion, 0
	.set _ZN12_GLOBAL__N_135rocblas_gemm_batched_general_kernelIfLi16ELi16ELi32ELi32ELi8ELi32ELi8ELi8ELi32ELc78ELc67EKPKDF16_KPKfKPfEEvlllT_PT11_llSB_llS9_PT12_llPT13_lli.has_indirect_call, 0
	.section	.AMDGPU.csdata,"",@progbits
; Kernel info:
; codeLenInByte = 1840
; TotalNumSgprs: 48
; NumVgprs: 56
; ScratchSize: 0
; MemoryBound: 0
; FloatMode: 240
; IeeeMode: 1
; LDSByteSize: 2048 bytes/workgroup (compile time only)
; SGPRBlocks: 0
; VGPRBlocks: 3
; NumSGPRsForWavesPerEU: 48
; NumVGPRsForWavesPerEU: 56
; NamedBarCnt: 0
; Occupancy: 16
; WaveLimiterHint : 1
; COMPUTE_PGM_RSRC2:SCRATCH_EN: 0
; COMPUTE_PGM_RSRC2:USER_SGPR: 2
; COMPUTE_PGM_RSRC2:TRAP_HANDLER: 0
; COMPUTE_PGM_RSRC2:TGID_X_EN: 1
; COMPUTE_PGM_RSRC2:TGID_Y_EN: 1
; COMPUTE_PGM_RSRC2:TGID_Z_EN: 1
; COMPUTE_PGM_RSRC2:TIDIG_COMP_CNT: 1
	.section	.text._ZN12_GLOBAL__N_135rocblas_gemm_batched_general_kernelIfLi16ELi16ELi32ELi32ELi8ELi32ELi8ELi8ELi32ELc84ELc67EKPKDF16_KPKfKPfEEvlllT_PT11_llSB_llS9_PT12_llPT13_lli,"axG",@progbits,_ZN12_GLOBAL__N_135rocblas_gemm_batched_general_kernelIfLi16ELi16ELi32ELi32ELi8ELi32ELi8ELi8ELi32ELc84ELc67EKPKDF16_KPKfKPfEEvlllT_PT11_llSB_llS9_PT12_llPT13_lli,comdat
	.globl	_ZN12_GLOBAL__N_135rocblas_gemm_batched_general_kernelIfLi16ELi16ELi32ELi32ELi8ELi32ELi8ELi8ELi32ELc84ELc67EKPKDF16_KPKfKPfEEvlllT_PT11_llSB_llS9_PT12_llPT13_lli ; -- Begin function _ZN12_GLOBAL__N_135rocblas_gemm_batched_general_kernelIfLi16ELi16ELi32ELi32ELi8ELi32ELi8ELi8ELi32ELc84ELc67EKPKDF16_KPKfKPfEEvlllT_PT11_llSB_llS9_PT12_llPT13_lli
	.p2align	8
	.type	_ZN12_GLOBAL__N_135rocblas_gemm_batched_general_kernelIfLi16ELi16ELi32ELi32ELi8ELi32ELi8ELi8ELi32ELc84ELc67EKPKDF16_KPKfKPfEEvlllT_PT11_llSB_llS9_PT12_llPT13_lli,@function
_ZN12_GLOBAL__N_135rocblas_gemm_batched_general_kernelIfLi16ELi16ELi32ELi32ELi8ELi32ELi8ELi8ELi32ELc84ELc67EKPKDF16_KPKfKPfEEvlllT_PT11_llSB_llS9_PT12_llPT13_lli: ; @_ZN12_GLOBAL__N_135rocblas_gemm_batched_general_kernelIfLi16ELi16ELi32ELi32ELi8ELi32ELi8ELi8ELi32ELc84ELc67EKPKDF16_KPKfKPfEEvlllT_PT11_llSB_llS9_PT12_llPT13_lli
; %bb.0:
	s_load_b32 s33, s[0:1], 0x88
	s_bfe_u32 s2, ttmp6, 0x40014
	s_lshr_b32 s3, ttmp7, 16
	s_add_co_i32 s2, s2, 1
	s_bfe_u32 s5, ttmp6, 0x40008
	s_mul_i32 s4, s3, s2
	s_getreg_b32 s2, hwreg(HW_REG_IB_STS2, 6, 4)
	s_add_co_i32 s5, s5, s4
	s_cmp_eq_u32 s2, 0
	s_mov_b32 s35, 0
	s_cselect_b32 s34, s3, s5
	s_wait_kmcnt 0x0
	s_cmp_ge_i32 s34, s33
	s_cbranch_scc1 .LBB138_34
; %bb.1:
	v_bfe_u32 v10, v0, 10, 10
	v_and_b32_e32 v12, 0x3ff, v0
	s_clause 0x6
	s_load_b128 s[4:7], s[0:1], 0x0
	s_load_b96 s[36:38], s[0:1], 0x10
	s_load_b256 s[8:15], s[0:1], 0x20
	s_load_b128 s[24:27], s[0:1], 0x40
	s_load_b32 s41, s[0:1], 0x50
	s_load_b128 s[28:31], s[0:1], 0x78
	s_load_b256 s[16:23], s[0:1], 0x58
	s_wait_xcnt 0x0
	s_bfe_u32 s0, ttmp6, 0x4000c
	s_bfe_u32 s3, ttmp6, 0x40010
	s_add_co_i32 s0, s0, 1
	s_and_b32 s39, ttmp7, 0xffff
	s_add_co_i32 s3, s3, 1
	s_and_b32 s1, ttmp6, 15
	s_mul_i32 s0, ttmp9, s0
	s_mul_i32 s3, s39, s3
	s_bfe_u32 s40, ttmp6, 0x40004
	v_lshl_add_u32 v6, v10, 4, v12
	s_add_co_i32 s1, s1, s0
	s_add_co_i32 s40, s40, s3
	s_cmp_eq_u32 s2, 0
	s_delay_alu instid0(VALU_DEP_1) | instskip(SKIP_3) | instid1(VALU_DEP_1)
	v_dual_mov_b32 v1, 0 :: v_dual_bitop2_b32 v8, 31, v6 bitop3:0x40
	s_cselect_b32 s0, ttmp9, s1
	s_cselect_b32 s40, s39, s40
	s_ashr_i32 s1, s0, 31
	v_dual_mov_b32 v11, v1 :: v_dual_bitop2_b32 v2, 7, v0 bitop3:0x40
	s_lshl_b64 s[2:3], s[0:1], 5
	v_dual_mov_b32 v3, v1 :: v_dual_lshrrev_b32 v14, 3, v6
	v_dual_mov_b32 v15, v1 :: v_dual_bitop2_b32 v4, s2, v8 bitop3:0x54
	s_delay_alu instid0(VALU_DEP_3) | instskip(SKIP_1) | instid1(VALU_DEP_3)
	v_dual_mov_b32 v5, s3 :: v_dual_lshlrev_b32 v9, 2, v2
	s_wait_kmcnt 0x0
	v_mul_u64_e32 v[16:17], s[24:25], v[2:3]
	s_lshl_b32 s0, s40, 5
	s_mov_b32 s1, s35
	v_mul_u64_e32 v[18:19], s[10:11], v[4:5]
	v_dual_lshrrev_b32 v0, 5, v6 :: v_dual_lshlrev_b32 v8, 2, v8
	v_add_nc_u64_e32 v[6:7], s[0:1], v[14:15]
	v_add_nc_u64_e32 v[20:21], s[0:1], v[10:11]
	v_lshl_or_b32 v9, v14, 5, v9
	v_dual_mov_b32 v13, v1 :: v_dual_lshlrev_b32 v30, 2, v12
	v_lshl_or_b32 v28, v0, 7, v8
	v_cmp_gt_i64_e64 s0, s[4:5], v[4:5]
	v_cmp_gt_i64_e64 s1, s[6:7], v[6:7]
	v_add_nc_u32_e32 v29, 0x400, v9
	v_mul_u64_e32 v[6:7], s[28:29], v[20:21]
	v_mul_u64_e32 v[8:9], s[18:19], v[20:21]
	v_add_nc_u64_e32 v[4:5], s[2:3], v[12:13]
	v_lshl_add_u32 v31, v10, 5, 0x400
	v_add_nc_u64_e32 v[12:13], 16, v[20:21]
	s_cmp_eq_f32 s41, 0
	s_mov_b32 s11, s35
	v_cmp_gt_i64_e64 s2, s[6:7], v[20:21]
	s_delay_alu instid0(VALU_DEP_4)
	v_add_nc_u64_e32 v[10:11], 16, v[4:5]
	s_cselect_b32 s39, -1, 0
	s_lshl_b32 s10, s40, 6
	s_lshl_b64 s[26:27], s[26:27], 1
	v_cmp_gt_i64_e64 s3, s[4:5], v[4:5]
	s_add_nc_u64 s[10:11], s[26:27], s[10:11]
	v_cmp_gt_i64_e64 s26, s[36:37], 0
	v_cmp_gt_i64_e64 s4, s[4:5], v[10:11]
	;; [unrolled: 1-line block ×3, first 2 shown]
	s_lshl_b64 s[6:7], s[12:13], 1
	v_lshl_add_u64 v[10:11], v[16:17], 1, s[10:11]
	v_dual_mov_b32 v13, v1 :: v_dual_lshlrev_b32 v12, 1, v14
	v_lshl_add_u64 v[14:15], v[18:19], 1, s[6:7]
	v_dual_mov_b32 v17, v1 :: v_dual_lshlrev_b32 v16, 1, v0
	s_lshl_b64 s[6:7], s[28:29], 4
	s_delay_alu instid0(VALU_DEP_3)
	v_add_nc_u64_e32 v[10:11], v[10:11], v[12:13]
	s_mov_b32 s40, s38
	s_lshl_b64 s[10:11], s[18:19], 4
	v_add_nc_u64_e32 v[12:13], v[14:15], v[16:17]
	s_lshl_b64 s[12:13], s[24:25], 4
	s_lshl_b64 s[18:19], s[30:31], 2
	;; [unrolled: 1-line block ×3, first 2 shown]
	s_branch .LBB138_4
.LBB138_2:                              ;   in Loop: Header=BB138_4 Depth=1
	s_wait_xcnt 0x0
	s_or_b32 exec_lo, exec_lo, s24
.LBB138_3:                              ;   in Loop: Header=BB138_4 Depth=1
	s_add_co_i32 s34, s34, 0x10000
	s_delay_alu instid0(SALU_CYCLE_1)
	s_cmp_lt_i32 s34, s33
	s_cbranch_scc0 .LBB138_34
.LBB138_4:                              ; =>This Loop Header: Depth=1
                                        ;     Child Loop BB138_7 Depth 2
	v_dual_mov_b32 v14, s34 :: v_dual_mov_b32 v19, 0
	v_dual_mov_b32 v18, 0 :: v_dual_mov_b32 v15, 0
	s_and_not1_b32 vcc_lo, exec_lo, s26
	s_clause 0x1
	global_load_b64 v[16:17], v14, s[16:17] scale_offset
	global_load_b64 v[20:21], v14, s[22:23] scale_offset
	s_wait_xcnt 0x0
	v_mov_b32_e32 v14, 0
	s_cbranch_vccnz .LBB138_11
; %bb.5:                                ;   in Loop: Header=BB138_4 Depth=1
	s_lshl_b64 s[24:25], s[34:35], 3
	v_mov_b32_e32 v18, 0
	s_add_nc_u64 s[28:29], s[14:15], s[24:25]
	s_add_nc_u64 s[24:25], s[8:9], s[24:25]
	s_clause 0x1
	global_load_b64 v[14:15], v1, s[28:29]
	global_load_b64 v[24:25], v1, s[24:25]
	s_wait_xcnt 0x0
	s_mov_b64 s[24:25], 0
	v_mov_b32_e32 v19, v18
	s_wait_loadcnt 0x1
	v_add_nc_u64_e32 v[22:23], v[14:15], v[10:11]
	s_wait_loadcnt 0x0
	v_add_nc_u64_e32 v[24:25], v[24:25], v[12:13]
	v_dual_mov_b32 v14, v18 :: v_dual_mov_b32 v15, v18
	s_branch .LBB138_7
.LBB138_6:                              ;   in Loop: Header=BB138_7 Depth=2
	s_wait_xcnt 0x0
	s_or_b32 exec_lo, exec_lo, s27
	ds_store_b32 v29, v27
	s_wait_dscnt 0x0
	s_barrier_signal -1
	s_barrier_wait -1
	ds_load_b128 v[32:35], v31
	ds_load_2addr_b32 v[26:27], v30 offset1:16
	ds_load_b128 v[36:39], v31 offset:512
	ds_load_2addr_b32 v[48:49], v30 offset0:32 offset1:48
	ds_load_2addr_b32 v[50:51], v30 offset0:64 offset1:80
	;; [unrolled: 1-line block ×3, first 2 shown]
	ds_load_b128 v[40:43], v31 offset:16
	ds_load_2addr_b32 v[54:55], v30 offset0:128 offset1:144
	ds_load_b128 v[44:47], v31 offset:528
	s_add_nc_u64 s[24:25], s[24:25], 8
	v_add_nc_u64_e32 v[22:23], s[12:13], v[22:23]
	v_cmp_lt_i64_e64 s27, s[24:25], s[36:37]
	v_add_nc_u64_e32 v[24:25], 16, v[24:25]
	s_and_b32 vcc_lo, exec_lo, s27
	s_wait_dscnt 0x7
	v_pk_fma_f32 v[18:19], v[26:27], v[32:33], v[18:19] op_sel_hi:[1,0,1]
	s_wait_dscnt 0x6
	v_pk_fma_f32 v[14:15], v[26:27], v[36:37], v[14:15] op_sel_hi:[1,0,1]
	ds_load_2addr_b32 v[26:27], v30 offset0:160 offset1:176
	s_wait_dscnt 0x6
	v_pk_fma_f32 v[18:19], v[48:49], v[32:33], v[18:19] op_sel:[0,1,0]
	v_pk_fma_f32 v[14:15], v[48:49], v[36:37], v[14:15] op_sel:[0,1,0]
	ds_load_2addr_b32 v[32:33], v30 offset0:192 offset1:208
	v_dual_mov_b32 v36, v35 :: v_dual_mov_b32 v48, v39
	s_wait_dscnt 0x6
	v_pk_fma_f32 v[18:19], v[50:51], v[34:35], v[18:19] op_sel_hi:[1,0,1]
	v_pk_fma_f32 v[14:15], v[50:51], v[38:39], v[14:15] op_sel_hi:[1,0,1]
	ds_load_2addr_b32 v[34:35], v30 offset0:224 offset1:240
	s_wait_dscnt 0x0
	s_barrier_signal -1
	v_pk_fma_f32 v[18:19], v[52:53], v[36:37], v[18:19] op_sel_hi:[1,0,1]
	v_pk_fma_f32 v[14:15], v[52:53], v[48:49], v[14:15] op_sel_hi:[1,0,1]
	s_barrier_wait -1
	v_mov_b32_e32 v36, v47
	s_delay_alu instid0(VALU_DEP_3) | instskip(NEXT) | instid1(VALU_DEP_3)
	v_pk_fma_f32 v[18:19], v[54:55], v[40:41], v[18:19] op_sel_hi:[1,0,1]
	v_pk_fma_f32 v[14:15], v[54:55], v[44:45], v[14:15] op_sel_hi:[1,0,1]
	s_delay_alu instid0(VALU_DEP_2) | instskip(NEXT) | instid1(VALU_DEP_2)
	v_pk_fma_f32 v[18:19], v[26:27], v[40:41], v[18:19] op_sel:[0,1,0]
	v_pk_fma_f32 v[14:15], v[26:27], v[44:45], v[14:15] op_sel:[0,1,0]
	v_mov_b32_e32 v26, v43
	s_delay_alu instid0(VALU_DEP_3) | instskip(NEXT) | instid1(VALU_DEP_3)
	v_pk_fma_f32 v[18:19], v[32:33], v[42:43], v[18:19] op_sel_hi:[1,0,1]
	v_pk_fma_f32 v[14:15], v[32:33], v[46:47], v[14:15] op_sel_hi:[1,0,1]
	s_delay_alu instid0(VALU_DEP_2) | instskip(NEXT) | instid1(VALU_DEP_2)
	v_pk_fma_f32 v[18:19], v[34:35], v[26:27], v[18:19] op_sel_hi:[1,0,1]
	v_pk_fma_f32 v[14:15], v[34:35], v[36:37], v[14:15] op_sel_hi:[1,0,1]
	s_cbranch_vccz .LBB138_11
.LBB138_7:                              ;   Parent Loop BB138_4 Depth=1
                                        ; =>  This Inner Loop Header: Depth=2
	v_add_nc_u64_e32 v[26:27], s[24:25], v[0:1]
	s_delay_alu instid0(VALU_DEP_1) | instskip(SKIP_2) | instid1(SALU_CYCLE_1)
	v_cmp_gt_i64_e32 vcc_lo, s[36:37], v[26:27]
	v_mov_b32_e32 v26, 0
	s_and_b32 s28, s0, vcc_lo
	s_and_saveexec_b32 s27, s28
	s_cbranch_execz .LBB138_9
; %bb.8:                                ;   in Loop: Header=BB138_7 Depth=2
	flat_load_u16 v26, v[24:25]
	s_wait_loadcnt_dscnt 0x0
	v_cvt_f32_f16_e32 v26, v26
.LBB138_9:                              ;   in Loop: Header=BB138_7 Depth=2
	s_wait_xcnt 0x0
	s_or_b32 exec_lo, exec_lo, s27
	v_add_nc_u64_e32 v[32:33], s[24:25], v[2:3]
	v_mov_b32_e32 v27, 0
	ds_store_b32 v28, v26
	v_cmp_gt_i64_e32 vcc_lo, s[36:37], v[32:33]
	s_and_b32 s28, vcc_lo, s1
	s_delay_alu instid0(SALU_CYCLE_1)
	s_and_saveexec_b32 s27, s28
	s_cbranch_execz .LBB138_6
; %bb.10:                               ;   in Loop: Header=BB138_7 Depth=2
	flat_load_u16 v26, v[22:23]
	s_wait_loadcnt_dscnt 0x0
	v_cvt_f32_f16_e32 v27, v26
	s_branch .LBB138_6
.LBB138_11:                             ;   in Loop: Header=BB138_4 Depth=1
	s_wait_loadcnt 0x0
	v_add_nc_u64_e32 v[20:21], s[18:19], v[20:21]
	s_and_not1_b32 vcc_lo, exec_lo, s39
	s_cbranch_vccnz .LBB138_16
; %bb.12:                               ;   in Loop: Header=BB138_4 Depth=1
	s_and_saveexec_b32 s24, s2
	s_cbranch_execz .LBB138_23
; %bb.13:                               ;   in Loop: Header=BB138_4 Depth=1
	s_delay_alu instid0(VALU_DEP_1) | instskip(NEXT) | instid1(VALU_DEP_1)
	v_lshl_add_u64 v[22:23], v[6:7], 2, v[20:21]
	v_lshl_add_u64 v[24:25], v[4:5], 2, v[22:23]
	s_and_saveexec_b32 s25, s3
	s_cbranch_execnz .LBB138_17
; %bb.14:                               ;   in Loop: Header=BB138_4 Depth=1
	s_or_b32 exec_lo, exec_lo, s25
	s_and_saveexec_b32 s25, s4
	s_cbranch_execnz .LBB138_18
.LBB138_15:                             ;   in Loop: Header=BB138_4 Depth=1
	s_or_b32 exec_lo, exec_lo, s25
	s_delay_alu instid0(SALU_CYCLE_1)
	s_and_b32 exec_lo, exec_lo, s5
	s_cbranch_execnz .LBB138_19
	s_branch .LBB138_23
.LBB138_16:                             ;   in Loop: Header=BB138_4 Depth=1
	s_branch .LBB138_24
.LBB138_17:                             ;   in Loop: Header=BB138_4 Depth=1
	v_mul_f32_e32 v26, s38, v18
	flat_store_b32 v[24:25], v26
	s_wait_xcnt 0x0
	s_or_b32 exec_lo, exec_lo, s25
	s_and_saveexec_b32 s25, s4
	s_cbranch_execz .LBB138_15
.LBB138_18:                             ;   in Loop: Header=BB138_4 Depth=1
	v_mul_f32_e32 v26, s38, v19
	flat_store_b32 v[24:25], v26 offset:64
	s_wait_xcnt 0x0
	s_or_b32 exec_lo, exec_lo, s25
	s_delay_alu instid0(SALU_CYCLE_1)
	s_and_b32 exec_lo, exec_lo, s5
	s_cbranch_execz .LBB138_23
.LBB138_19:                             ;   in Loop: Header=BB138_4 Depth=1
	v_lshl_add_u64 v[22:23], s[6:7], 2, v[22:23]
	s_delay_alu instid0(VALU_DEP_1)
	v_lshl_add_u64 v[22:23], v[4:5], 2, v[22:23]
	s_and_saveexec_b32 s25, s3
	s_cbranch_execz .LBB138_21
; %bb.20:                               ;   in Loop: Header=BB138_4 Depth=1
	v_mul_f32_e32 v24, s38, v14
	flat_store_b32 v[22:23], v24
.LBB138_21:                             ;   in Loop: Header=BB138_4 Depth=1
	s_wait_xcnt 0x0
	s_or_b32 exec_lo, exec_lo, s25
	s_delay_alu instid0(SALU_CYCLE_1)
	s_and_b32 exec_lo, exec_lo, s4
	s_cbranch_execz .LBB138_23
; %bb.22:                               ;   in Loop: Header=BB138_4 Depth=1
	v_mul_f32_e32 v24, s38, v15
	flat_store_b32 v[22:23], v24 offset:64
.LBB138_23:                             ;   in Loop: Header=BB138_4 Depth=1
	s_wait_xcnt 0x0
	s_or_b32 exec_lo, exec_lo, s24
	s_cbranch_execnz .LBB138_3
.LBB138_24:                             ;   in Loop: Header=BB138_4 Depth=1
	s_and_saveexec_b32 s24, s2
	s_cbranch_execz .LBB138_2
; %bb.25:                               ;   in Loop: Header=BB138_4 Depth=1
	v_add_nc_u64_e32 v[22:23], s[20:21], v[16:17]
	v_lshlrev_b64_e32 v[16:17], 2, v[4:5]
	v_lshl_add_u64 v[20:21], v[6:7], 2, v[20:21]
	s_delay_alu instid0(VALU_DEP_3) | instskip(NEXT) | instid1(VALU_DEP_2)
	v_lshl_add_u64 v[22:23], v[8:9], 2, v[22:23]
	v_add_nc_u64_e32 v[24:25], v[20:21], v[16:17]
	s_delay_alu instid0(VALU_DEP_2)
	v_add_nc_u64_e32 v[26:27], v[22:23], v[16:17]
	s_and_saveexec_b32 s25, s3
	s_cbranch_execnz .LBB138_28
; %bb.26:                               ;   in Loop: Header=BB138_4 Depth=1
	s_or_b32 exec_lo, exec_lo, s25
	s_and_saveexec_b32 s25, s4
	s_cbranch_execnz .LBB138_29
.LBB138_27:                             ;   in Loop: Header=BB138_4 Depth=1
	s_or_b32 exec_lo, exec_lo, s25
	s_delay_alu instid0(SALU_CYCLE_1)
	s_and_b32 exec_lo, exec_lo, s5
	s_cbranch_execz .LBB138_2
	s_branch .LBB138_30
.LBB138_28:                             ;   in Loop: Header=BB138_4 Depth=1
	flat_load_b32 v33, v[26:27]
	v_mov_b64_e32 v[34:35], s[40:41]
	v_mov_b32_e32 v32, v18
	s_wait_loadcnt_dscnt 0x0
	s_delay_alu instid0(VALU_DEP_1) | instskip(NEXT) | instid1(VALU_DEP_1)
	v_pk_mul_f32 v[32:33], v[34:35], v[32:33]
	v_add_f32_e32 v18, v32, v33
	flat_store_b32 v[24:25], v18
	s_wait_xcnt 0x0
	s_or_b32 exec_lo, exec_lo, s25
	s_and_saveexec_b32 s25, s4
	s_cbranch_execz .LBB138_27
.LBB138_29:                             ;   in Loop: Header=BB138_4 Depth=1
	flat_load_b32 v27, v[26:27] offset:64
	s_wait_xcnt 0x0
	v_mov_b32_e32 v26, v19
	v_mov_b64_e32 v[18:19], s[40:41]
	s_wait_loadcnt_dscnt 0x0
	s_delay_alu instid0(VALU_DEP_1) | instskip(NEXT) | instid1(VALU_DEP_1)
	v_pk_mul_f32 v[18:19], v[18:19], v[26:27]
	v_add_f32_e32 v18, v18, v19
	flat_store_b32 v[24:25], v18 offset:64
	s_wait_xcnt 0x0
	s_or_b32 exec_lo, exec_lo, s25
	s_delay_alu instid0(SALU_CYCLE_1)
	s_and_b32 exec_lo, exec_lo, s5
	s_cbranch_execz .LBB138_2
.LBB138_30:                             ;   in Loop: Header=BB138_4 Depth=1
	v_lshl_add_u64 v[18:19], s[10:11], 2, v[22:23]
	v_lshl_add_u64 v[20:21], s[6:7], 2, v[20:21]
	s_delay_alu instid0(VALU_DEP_2) | instskip(NEXT) | instid1(VALU_DEP_2)
	v_add_nc_u64_e32 v[18:19], v[18:19], v[16:17]
	v_add_nc_u64_e32 v[16:17], v[20:21], v[16:17]
	s_and_saveexec_b32 s25, s3
	s_cbranch_execz .LBB138_32
; %bb.31:                               ;   in Loop: Header=BB138_4 Depth=1
	flat_load_b32 v21, v[18:19]
	v_mov_b64_e32 v[22:23], s[40:41]
	v_mov_b32_e32 v20, v14
	s_wait_loadcnt_dscnt 0x0
	s_delay_alu instid0(VALU_DEP_1) | instskip(NEXT) | instid1(VALU_DEP_1)
	v_pk_mul_f32 v[20:21], v[22:23], v[20:21]
	v_add_f32_e32 v14, v20, v21
	flat_store_b32 v[16:17], v14
.LBB138_32:                             ;   in Loop: Header=BB138_4 Depth=1
	s_wait_xcnt 0x0
	s_or_b32 exec_lo, exec_lo, s25
	s_delay_alu instid0(SALU_CYCLE_1)
	s_and_b32 exec_lo, exec_lo, s4
	s_cbranch_execz .LBB138_2
; %bb.33:                               ;   in Loop: Header=BB138_4 Depth=1
	flat_load_b32 v19, v[18:19] offset:64
	s_wait_xcnt 0x0
	v_mov_b32_e32 v18, v15
	v_mov_b64_e32 v[14:15], s[40:41]
	s_wait_loadcnt_dscnt 0x0
	s_delay_alu instid0(VALU_DEP_1) | instskip(NEXT) | instid1(VALU_DEP_1)
	v_pk_mul_f32 v[14:15], v[14:15], v[18:19]
	v_add_f32_e32 v14, v14, v15
	flat_store_b32 v[16:17], v14 offset:64
	s_branch .LBB138_2
.LBB138_34:
	s_endpgm
	.section	.rodata,"a",@progbits
	.p2align	6, 0x0
	.amdhsa_kernel _ZN12_GLOBAL__N_135rocblas_gemm_batched_general_kernelIfLi16ELi16ELi32ELi32ELi8ELi32ELi8ELi8ELi32ELc84ELc67EKPKDF16_KPKfKPfEEvlllT_PT11_llSB_llS9_PT12_llPT13_lli
		.amdhsa_group_segment_fixed_size 2048
		.amdhsa_private_segment_fixed_size 0
		.amdhsa_kernarg_size 140
		.amdhsa_user_sgpr_count 2
		.amdhsa_user_sgpr_dispatch_ptr 0
		.amdhsa_user_sgpr_queue_ptr 0
		.amdhsa_user_sgpr_kernarg_segment_ptr 1
		.amdhsa_user_sgpr_dispatch_id 0
		.amdhsa_user_sgpr_kernarg_preload_length 0
		.amdhsa_user_sgpr_kernarg_preload_offset 0
		.amdhsa_user_sgpr_private_segment_size 0
		.amdhsa_wavefront_size32 1
		.amdhsa_uses_dynamic_stack 0
		.amdhsa_enable_private_segment 0
		.amdhsa_system_sgpr_workgroup_id_x 1
		.amdhsa_system_sgpr_workgroup_id_y 1
		.amdhsa_system_sgpr_workgroup_id_z 1
		.amdhsa_system_sgpr_workgroup_info 0
		.amdhsa_system_vgpr_workitem_id 1
		.amdhsa_next_free_vgpr 56
		.amdhsa_next_free_sgpr 42
		.amdhsa_named_barrier_count 0
		.amdhsa_reserve_vcc 1
		.amdhsa_float_round_mode_32 0
		.amdhsa_float_round_mode_16_64 0
		.amdhsa_float_denorm_mode_32 3
		.amdhsa_float_denorm_mode_16_64 3
		.amdhsa_fp16_overflow 0
		.amdhsa_memory_ordered 1
		.amdhsa_forward_progress 1
		.amdhsa_inst_pref_size 15
		.amdhsa_round_robin_scheduling 0
		.amdhsa_exception_fp_ieee_invalid_op 0
		.amdhsa_exception_fp_denorm_src 0
		.amdhsa_exception_fp_ieee_div_zero 0
		.amdhsa_exception_fp_ieee_overflow 0
		.amdhsa_exception_fp_ieee_underflow 0
		.amdhsa_exception_fp_ieee_inexact 0
		.amdhsa_exception_int_div_zero 0
	.end_amdhsa_kernel
	.section	.text._ZN12_GLOBAL__N_135rocblas_gemm_batched_general_kernelIfLi16ELi16ELi32ELi32ELi8ELi32ELi8ELi8ELi32ELc84ELc67EKPKDF16_KPKfKPfEEvlllT_PT11_llSB_llS9_PT12_llPT13_lli,"axG",@progbits,_ZN12_GLOBAL__N_135rocblas_gemm_batched_general_kernelIfLi16ELi16ELi32ELi32ELi8ELi32ELi8ELi8ELi32ELc84ELc67EKPKDF16_KPKfKPfEEvlllT_PT11_llSB_llS9_PT12_llPT13_lli,comdat
.Lfunc_end138:
	.size	_ZN12_GLOBAL__N_135rocblas_gemm_batched_general_kernelIfLi16ELi16ELi32ELi32ELi8ELi32ELi8ELi8ELi32ELc84ELc67EKPKDF16_KPKfKPfEEvlllT_PT11_llSB_llS9_PT12_llPT13_lli, .Lfunc_end138-_ZN12_GLOBAL__N_135rocblas_gemm_batched_general_kernelIfLi16ELi16ELi32ELi32ELi8ELi32ELi8ELi8ELi32ELc84ELc67EKPKDF16_KPKfKPfEEvlllT_PT11_llSB_llS9_PT12_llPT13_lli
                                        ; -- End function
	.set _ZN12_GLOBAL__N_135rocblas_gemm_batched_general_kernelIfLi16ELi16ELi32ELi32ELi8ELi32ELi8ELi8ELi32ELc84ELc67EKPKDF16_KPKfKPfEEvlllT_PT11_llSB_llS9_PT12_llPT13_lli.num_vgpr, 56
	.set _ZN12_GLOBAL__N_135rocblas_gemm_batched_general_kernelIfLi16ELi16ELi32ELi32ELi8ELi32ELi8ELi8ELi32ELc84ELc67EKPKDF16_KPKfKPfEEvlllT_PT11_llSB_llS9_PT12_llPT13_lli.num_agpr, 0
	.set _ZN12_GLOBAL__N_135rocblas_gemm_batched_general_kernelIfLi16ELi16ELi32ELi32ELi8ELi32ELi8ELi8ELi32ELc84ELc67EKPKDF16_KPKfKPfEEvlllT_PT11_llSB_llS9_PT12_llPT13_lli.numbered_sgpr, 42
	.set _ZN12_GLOBAL__N_135rocblas_gemm_batched_general_kernelIfLi16ELi16ELi32ELi32ELi8ELi32ELi8ELi8ELi32ELc84ELc67EKPKDF16_KPKfKPfEEvlllT_PT11_llSB_llS9_PT12_llPT13_lli.num_named_barrier, 0
	.set _ZN12_GLOBAL__N_135rocblas_gemm_batched_general_kernelIfLi16ELi16ELi32ELi32ELi8ELi32ELi8ELi8ELi32ELc84ELc67EKPKDF16_KPKfKPfEEvlllT_PT11_llSB_llS9_PT12_llPT13_lli.private_seg_size, 0
	.set _ZN12_GLOBAL__N_135rocblas_gemm_batched_general_kernelIfLi16ELi16ELi32ELi32ELi8ELi32ELi8ELi8ELi32ELc84ELc67EKPKDF16_KPKfKPfEEvlllT_PT11_llSB_llS9_PT12_llPT13_lli.uses_vcc, 1
	.set _ZN12_GLOBAL__N_135rocblas_gemm_batched_general_kernelIfLi16ELi16ELi32ELi32ELi8ELi32ELi8ELi8ELi32ELc84ELc67EKPKDF16_KPKfKPfEEvlllT_PT11_llSB_llS9_PT12_llPT13_lli.uses_flat_scratch, 0
	.set _ZN12_GLOBAL__N_135rocblas_gemm_batched_general_kernelIfLi16ELi16ELi32ELi32ELi8ELi32ELi8ELi8ELi32ELc84ELc67EKPKDF16_KPKfKPfEEvlllT_PT11_llSB_llS9_PT12_llPT13_lli.has_dyn_sized_stack, 0
	.set _ZN12_GLOBAL__N_135rocblas_gemm_batched_general_kernelIfLi16ELi16ELi32ELi32ELi8ELi32ELi8ELi8ELi32ELc84ELc67EKPKDF16_KPKfKPfEEvlllT_PT11_llSB_llS9_PT12_llPT13_lli.has_recursion, 0
	.set _ZN12_GLOBAL__N_135rocblas_gemm_batched_general_kernelIfLi16ELi16ELi32ELi32ELi8ELi32ELi8ELi8ELi32ELc84ELc67EKPKDF16_KPKfKPfEEvlllT_PT11_llSB_llS9_PT12_llPT13_lli.has_indirect_call, 0
	.section	.AMDGPU.csdata,"",@progbits
; Kernel info:
; codeLenInByte = 1848
; TotalNumSgprs: 44
; NumVgprs: 56
; ScratchSize: 0
; MemoryBound: 0
; FloatMode: 240
; IeeeMode: 1
; LDSByteSize: 2048 bytes/workgroup (compile time only)
; SGPRBlocks: 0
; VGPRBlocks: 3
; NumSGPRsForWavesPerEU: 44
; NumVGPRsForWavesPerEU: 56
; NamedBarCnt: 0
; Occupancy: 16
; WaveLimiterHint : 1
; COMPUTE_PGM_RSRC2:SCRATCH_EN: 0
; COMPUTE_PGM_RSRC2:USER_SGPR: 2
; COMPUTE_PGM_RSRC2:TRAP_HANDLER: 0
; COMPUTE_PGM_RSRC2:TGID_X_EN: 1
; COMPUTE_PGM_RSRC2:TGID_Y_EN: 1
; COMPUTE_PGM_RSRC2:TGID_Z_EN: 1
; COMPUTE_PGM_RSRC2:TIDIG_COMP_CNT: 1
	.section	.text._ZN12_GLOBAL__N_120gemm_ex_scale_kernelILi32ELi32EfPKPK16rocblas_bfloat16PKPS1_EEviiT1_T2_lllT3_llli,"axG",@progbits,_ZN12_GLOBAL__N_120gemm_ex_scale_kernelILi32ELi32EfPKPK16rocblas_bfloat16PKPS1_EEviiT1_T2_lllT3_llli,comdat
	.globl	_ZN12_GLOBAL__N_120gemm_ex_scale_kernelILi32ELi32EfPKPK16rocblas_bfloat16PKPS1_EEviiT1_T2_lllT3_llli ; -- Begin function _ZN12_GLOBAL__N_120gemm_ex_scale_kernelILi32ELi32EfPKPK16rocblas_bfloat16PKPS1_EEviiT1_T2_lllT3_llli
	.p2align	8
	.type	_ZN12_GLOBAL__N_120gemm_ex_scale_kernelILi32ELi32EfPKPK16rocblas_bfloat16PKPS1_EEviiT1_T2_lllT3_llli,@function
_ZN12_GLOBAL__N_120gemm_ex_scale_kernelILi32ELi32EfPKPK16rocblas_bfloat16PKPS1_EEviiT1_T2_lllT3_llli: ; @_ZN12_GLOBAL__N_120gemm_ex_scale_kernelILi32ELi32EfPKPK16rocblas_bfloat16PKPS1_EEviiT1_T2_lllT3_llli
; %bb.0:
	s_load_b32 s15, s[0:1], 0x50
	s_bfe_u32 s2, ttmp6, 0x40014
	s_lshr_b32 s3, ttmp7, 16
	s_add_co_i32 s2, s2, 1
	s_bfe_u32 s4, ttmp6, 0x40008
	s_mul_i32 s2, s3, s2
	s_getreg_b32 s8, hwreg(HW_REG_IB_STS2, 6, 4)
	s_add_co_i32 s4, s4, s2
	s_cmp_eq_u32 s8, 0
	s_cselect_b32 s2, s3, s4
	s_mov_b32 s3, 0
	s_wait_kmcnt 0x0
	s_cmp_ge_u32 s2, s15
	s_cbranch_scc1 .LBB139_14
; %bb.1:
	s_clause 0x3
	s_load_b96 s[12:14], s[0:1], 0x0
	s_load_b128 s[4:7], s[0:1], 0x10
	s_load_b64 s[18:19], s[0:1], 0x20
	s_load_b64 s[20:21], s[0:1], 0x40
	v_bfe_u32 v1, v0, 10, 10
	v_mov_b32_e32 v7, 0
	v_and_b32_e32 v0, 0x3ff, v0
	s_wait_kmcnt 0x0
	s_cmp_neq_f32 s14, 0
	s_cselect_b32 s16, -1, 0
	s_bfe_u32 s10, ttmp6, 0x40010
	s_bfe_u32 s22, ttmp6, 0x4000c
	s_and_b32 s9, ttmp7, 0xffff
	s_add_co_i32 s10, s10, 1
	s_add_co_i32 s22, s22, 1
	s_bfe_u32 s11, ttmp6, 0x40004
	s_and_b32 s17, ttmp6, 15
	s_mul_i32 s10, s9, s10
	s_mul_i32 s22, ttmp9, s22
	s_add_co_i32 s11, s11, s10
	s_add_co_i32 s17, s17, s22
	s_cmp_eq_u32 s8, 0
	s_cselect_b32 s8, s9, s11
	s_delay_alu instid0(SALU_CYCLE_1)
	v_lshl_add_u32 v6, s8, 5, v1
	s_load_b128 s[8:11], s[0:1], 0x30
	s_wait_xcnt 0x0
	s_cselect_b32 s0, ttmp9, s17
	v_mov_b32_e32 v1, v7
	v_lshl_add_u32 v0, s0, 5, v0
	v_mul_u64_e32 v[2:3], s[18:19], v[6:7]
	v_mul_u64_e32 v[4:5], s[20:21], v[6:7]
	v_cmp_gt_u32_e64 s0, s13, v6
	s_delay_alu instid0(VALU_DEP_4)
	v_cmp_gt_u32_e32 vcc_lo, s12, v0
	s_and_b32 s17, vcc_lo, s0
	s_lshl_b64 s[0:1], s[6:7], 1
	s_wait_kmcnt 0x0
	s_lshl_b64 s[6:7], s[10:11], 1
	s_branch .LBB139_5
.LBB139_2:                              ;   in Loop: Header=BB139_5 Depth=1
	s_or_b32 exec_lo, exec_lo, s12
	s_delay_alu instid0(VALU_DEP_1)
	v_lshrrev_b32_e32 v6, 16, v7
.LBB139_3:                              ;   in Loop: Header=BB139_5 Depth=1
	s_wait_kmcnt 0x0
	s_wait_xcnt 0x0
	s_add_nc_u64 s[10:11], s[10:11], s[6:7]
	s_delay_alu instid0(SALU_CYCLE_1) | instskip(NEXT) | instid1(VALU_DEP_1)
	v_lshl_add_u64 v[8:9], v[4:5], 1, s[10:11]
	v_lshl_add_u64 v[8:9], v[0:1], 1, v[8:9]
	flat_store_b16 v[8:9], v6
.LBB139_4:                              ;   in Loop: Header=BB139_5 Depth=1
	s_wait_xcnt 0x0
	s_or_b32 exec_lo, exec_lo, s18
	s_add_co_i32 s2, s2, 0x10000
	s_delay_alu instid0(SALU_CYCLE_1)
	s_cmp_lt_u32 s2, s15
	s_cbranch_scc0 .LBB139_14
.LBB139_5:                              ; =>This Inner Loop Header: Depth=1
	s_and_not1_b32 vcc_lo, exec_lo, s16
	s_cbranch_vccnz .LBB139_7
; %bb.6:                                ;   in Loop: Header=BB139_5 Depth=1
	s_lshl_b64 s[10:11], s[2:3], 3
	s_delay_alu instid0(SALU_CYCLE_1)
	s_add_nc_u64 s[10:11], s[4:5], s[10:11]
	s_load_b64 s[10:11], s[10:11], 0x0
	s_wait_kmcnt 0x0
	s_add_nc_u64 s[12:13], s[10:11], s[0:1]
	s_and_saveexec_b32 s18, s17
	s_cbranch_execz .LBB139_4
	s_branch .LBB139_8
.LBB139_7:                              ;   in Loop: Header=BB139_5 Depth=1
	s_mov_b64 s[12:13], 0
	s_and_saveexec_b32 s18, s17
	s_cbranch_execz .LBB139_4
.LBB139_8:                              ;   in Loop: Header=BB139_5 Depth=1
	s_wait_xcnt 0x0
	s_lshl_b64 s[10:11], s[2:3], 3
	s_and_not1_b32 vcc_lo, exec_lo, s16
	s_add_nc_u64 s[10:11], s[8:9], s[10:11]
	s_load_b64 s[10:11], s[10:11], 0x0
	s_cbranch_vccnz .LBB139_13
; %bb.9:                                ;   in Loop: Header=BB139_5 Depth=1
	v_lshl_add_u64 v[6:7], v[2:3], 1, s[12:13]
	s_delay_alu instid0(VALU_DEP_1) | instskip(SKIP_4) | instid1(VALU_DEP_1)
	v_lshl_add_u64 v[6:7], v[0:1], 1, v[6:7]
	flat_load_u16 v6, v[6:7]
	s_wait_loadcnt_dscnt 0x0
	s_wait_xcnt 0x0
	v_lshlrev_b32_e32 v6, 16, v6
	v_mul_f32_e32 v6, s14, v6
	s_delay_alu instid0(VALU_DEP_1) | instskip(NEXT) | instid1(VALU_DEP_1)
	v_and_b32_e32 v7, 0x7f800000, v6
	v_cmp_ne_u32_e32 vcc_lo, 0x7f800000, v7
                                        ; implicit-def: $vgpr7
	s_and_saveexec_b32 s12, vcc_lo
	s_delay_alu instid0(SALU_CYCLE_1)
	s_xor_b32 s12, exec_lo, s12
; %bb.10:                               ;   in Loop: Header=BB139_5 Depth=1
	v_bfe_u32 v7, v6, 16, 1
	s_delay_alu instid0(VALU_DEP_1)
	v_add3_u32 v7, v6, v7, 0x7fff
                                        ; implicit-def: $vgpr6
; %bb.11:                               ;   in Loop: Header=BB139_5 Depth=1
	s_and_not1_saveexec_b32 s12, s12
	s_cbranch_execz .LBB139_2
; %bb.12:                               ;   in Loop: Header=BB139_5 Depth=1
	v_and_b32_e32 v7, 0xffff, v6
	v_or_b32_e32 v8, 0x10000, v6
	s_delay_alu instid0(VALU_DEP_2) | instskip(NEXT) | instid1(VALU_DEP_2)
	v_cmp_eq_u32_e32 vcc_lo, 0, v7
	v_cndmask_b32_e32 v7, v8, v6, vcc_lo
	s_branch .LBB139_2
.LBB139_13:                             ;   in Loop: Header=BB139_5 Depth=1
	v_mov_b32_e32 v6, 0
	s_branch .LBB139_3
.LBB139_14:
	s_endpgm
	.section	.rodata,"a",@progbits
	.p2align	6, 0x0
	.amdhsa_kernel _ZN12_GLOBAL__N_120gemm_ex_scale_kernelILi32ELi32EfPKPK16rocblas_bfloat16PKPS1_EEviiT1_T2_lllT3_llli
		.amdhsa_group_segment_fixed_size 0
		.amdhsa_private_segment_fixed_size 0
		.amdhsa_kernarg_size 84
		.amdhsa_user_sgpr_count 2
		.amdhsa_user_sgpr_dispatch_ptr 0
		.amdhsa_user_sgpr_queue_ptr 0
		.amdhsa_user_sgpr_kernarg_segment_ptr 1
		.amdhsa_user_sgpr_dispatch_id 0
		.amdhsa_user_sgpr_kernarg_preload_length 0
		.amdhsa_user_sgpr_kernarg_preload_offset 0
		.amdhsa_user_sgpr_private_segment_size 0
		.amdhsa_wavefront_size32 1
		.amdhsa_uses_dynamic_stack 0
		.amdhsa_enable_private_segment 0
		.amdhsa_system_sgpr_workgroup_id_x 1
		.amdhsa_system_sgpr_workgroup_id_y 1
		.amdhsa_system_sgpr_workgroup_id_z 1
		.amdhsa_system_sgpr_workgroup_info 0
		.amdhsa_system_vgpr_workitem_id 1
		.amdhsa_next_free_vgpr 10
		.amdhsa_next_free_sgpr 23
		.amdhsa_named_barrier_count 0
		.amdhsa_reserve_vcc 1
		.amdhsa_float_round_mode_32 0
		.amdhsa_float_round_mode_16_64 0
		.amdhsa_float_denorm_mode_32 3
		.amdhsa_float_denorm_mode_16_64 3
		.amdhsa_fp16_overflow 0
		.amdhsa_memory_ordered 1
		.amdhsa_forward_progress 1
		.amdhsa_inst_pref_size 5
		.amdhsa_round_robin_scheduling 0
		.amdhsa_exception_fp_ieee_invalid_op 0
		.amdhsa_exception_fp_denorm_src 0
		.amdhsa_exception_fp_ieee_div_zero 0
		.amdhsa_exception_fp_ieee_overflow 0
		.amdhsa_exception_fp_ieee_underflow 0
		.amdhsa_exception_fp_ieee_inexact 0
		.amdhsa_exception_int_div_zero 0
	.end_amdhsa_kernel
	.section	.text._ZN12_GLOBAL__N_120gemm_ex_scale_kernelILi32ELi32EfPKPK16rocblas_bfloat16PKPS1_EEviiT1_T2_lllT3_llli,"axG",@progbits,_ZN12_GLOBAL__N_120gemm_ex_scale_kernelILi32ELi32EfPKPK16rocblas_bfloat16PKPS1_EEviiT1_T2_lllT3_llli,comdat
.Lfunc_end139:
	.size	_ZN12_GLOBAL__N_120gemm_ex_scale_kernelILi32ELi32EfPKPK16rocblas_bfloat16PKPS1_EEviiT1_T2_lllT3_llli, .Lfunc_end139-_ZN12_GLOBAL__N_120gemm_ex_scale_kernelILi32ELi32EfPKPK16rocblas_bfloat16PKPS1_EEviiT1_T2_lllT3_llli
                                        ; -- End function
	.set _ZN12_GLOBAL__N_120gemm_ex_scale_kernelILi32ELi32EfPKPK16rocblas_bfloat16PKPS1_EEviiT1_T2_lllT3_llli.num_vgpr, 10
	.set _ZN12_GLOBAL__N_120gemm_ex_scale_kernelILi32ELi32EfPKPK16rocblas_bfloat16PKPS1_EEviiT1_T2_lllT3_llli.num_agpr, 0
	.set _ZN12_GLOBAL__N_120gemm_ex_scale_kernelILi32ELi32EfPKPK16rocblas_bfloat16PKPS1_EEviiT1_T2_lllT3_llli.numbered_sgpr, 23
	.set _ZN12_GLOBAL__N_120gemm_ex_scale_kernelILi32ELi32EfPKPK16rocblas_bfloat16PKPS1_EEviiT1_T2_lllT3_llli.num_named_barrier, 0
	.set _ZN12_GLOBAL__N_120gemm_ex_scale_kernelILi32ELi32EfPKPK16rocblas_bfloat16PKPS1_EEviiT1_T2_lllT3_llli.private_seg_size, 0
	.set _ZN12_GLOBAL__N_120gemm_ex_scale_kernelILi32ELi32EfPKPK16rocblas_bfloat16PKPS1_EEviiT1_T2_lllT3_llli.uses_vcc, 1
	.set _ZN12_GLOBAL__N_120gemm_ex_scale_kernelILi32ELi32EfPKPK16rocblas_bfloat16PKPS1_EEviiT1_T2_lllT3_llli.uses_flat_scratch, 0
	.set _ZN12_GLOBAL__N_120gemm_ex_scale_kernelILi32ELi32EfPKPK16rocblas_bfloat16PKPS1_EEviiT1_T2_lllT3_llli.has_dyn_sized_stack, 0
	.set _ZN12_GLOBAL__N_120gemm_ex_scale_kernelILi32ELi32EfPKPK16rocblas_bfloat16PKPS1_EEviiT1_T2_lllT3_llli.has_recursion, 0
	.set _ZN12_GLOBAL__N_120gemm_ex_scale_kernelILi32ELi32EfPKPK16rocblas_bfloat16PKPS1_EEviiT1_T2_lllT3_llli.has_indirect_call, 0
	.section	.AMDGPU.csdata,"",@progbits
; Kernel info:
; codeLenInByte = 616
; TotalNumSgprs: 25
; NumVgprs: 10
; ScratchSize: 0
; MemoryBound: 0
; FloatMode: 240
; IeeeMode: 1
; LDSByteSize: 0 bytes/workgroup (compile time only)
; SGPRBlocks: 0
; VGPRBlocks: 0
; NumSGPRsForWavesPerEU: 25
; NumVGPRsForWavesPerEU: 10
; NamedBarCnt: 0
; Occupancy: 16
; WaveLimiterHint : 1
; COMPUTE_PGM_RSRC2:SCRATCH_EN: 0
; COMPUTE_PGM_RSRC2:USER_SGPR: 2
; COMPUTE_PGM_RSRC2:TRAP_HANDLER: 0
; COMPUTE_PGM_RSRC2:TGID_X_EN: 1
; COMPUTE_PGM_RSRC2:TGID_Y_EN: 1
; COMPUTE_PGM_RSRC2:TGID_Z_EN: 1
; COMPUTE_PGM_RSRC2:TIDIG_COMP_CNT: 1
	.section	.text._ZN12_GLOBAL__N_127rocblas_gemm_batched_kernelIfLi16ELi16ELi64ELi64ELi4ELi64ELi4ELi4ELi64ELc78ELc78EKPK16rocblas_bfloat16S4_KPS1_EEvlllT_PT11_llS9_llS7_PT12_llPT13_lli,"axG",@progbits,_ZN12_GLOBAL__N_127rocblas_gemm_batched_kernelIfLi16ELi16ELi64ELi64ELi4ELi64ELi4ELi4ELi64ELc78ELc78EKPK16rocblas_bfloat16S4_KPS1_EEvlllT_PT11_llS9_llS7_PT12_llPT13_lli,comdat
	.globl	_ZN12_GLOBAL__N_127rocblas_gemm_batched_kernelIfLi16ELi16ELi64ELi64ELi4ELi64ELi4ELi4ELi64ELc78ELc78EKPK16rocblas_bfloat16S4_KPS1_EEvlllT_PT11_llS9_llS7_PT12_llPT13_lli ; -- Begin function _ZN12_GLOBAL__N_127rocblas_gemm_batched_kernelIfLi16ELi16ELi64ELi64ELi4ELi64ELi4ELi4ELi64ELc78ELc78EKPK16rocblas_bfloat16S4_KPS1_EEvlllT_PT11_llS9_llS7_PT12_llPT13_lli
	.p2align	8
	.type	_ZN12_GLOBAL__N_127rocblas_gemm_batched_kernelIfLi16ELi16ELi64ELi64ELi4ELi64ELi4ELi4ELi64ELc78ELc78EKPK16rocblas_bfloat16S4_KPS1_EEvlllT_PT11_llS9_llS7_PT12_llPT13_lli,@function
_ZN12_GLOBAL__N_127rocblas_gemm_batched_kernelIfLi16ELi16ELi64ELi64ELi4ELi64ELi4ELi4ELi64ELc78ELc78EKPK16rocblas_bfloat16S4_KPS1_EEvlllT_PT11_llS9_llS7_PT12_llPT13_lli: ; @_ZN12_GLOBAL__N_127rocblas_gemm_batched_kernelIfLi16ELi16ELi64ELi64ELi4ELi64ELi4ELi4ELi64ELc78ELc78EKPK16rocblas_bfloat16S4_KPS1_EEvlllT_PT11_llS9_llS7_PT12_llPT13_lli
; %bb.0:
	s_load_b32 s3, s[0:1], 0x88
	s_bfe_u32 s2, ttmp6, 0x40014
	s_lshr_b32 s4, ttmp7, 16
	s_add_co_i32 s2, s2, 1
	s_bfe_u32 s6, ttmp6, 0x40008
	s_mul_i32 s5, s4, s2
	s_getreg_b32 s2, hwreg(HW_REG_IB_STS2, 6, 4)
	s_add_co_i32 s6, s6, s5
	s_cmp_eq_u32 s2, 0
	s_mov_b32 s29, 0
	s_cselect_b32 s28, s4, s6
	s_wait_kmcnt 0x0
	s_cmp_ge_i32 s28, s3
	s_cbranch_scc1 .LBB140_202
; %bb.1:
	v_bfe_u32 v2, v0, 10, 10
	v_and_b32_e32 v8, 0x3ff, v0
	s_bfe_u32 s13, ttmp6, 0x4000c
	s_bfe_u32 s15, ttmp6, 0x40010
	s_clause 0x2
	s_load_b256 s[4:11], s[0:1], 0x20
	s_load_b128 s[24:27], s[0:1], 0x40
	s_load_b128 s[20:23], s[0:1], 0x78
	v_dual_lshlrev_b32 v1, 4, v2 :: v_dual_mov_b32 v3, 0
	s_and_b32 s14, ttmp7, 0xffff
	s_add_co_i32 s13, s13, 1
	s_add_co_i32 s15, s15, 1
	s_delay_alu instid0(VALU_DEP_1)
	v_dual_mov_b32 v11, v3 :: v_dual_add_nc_u32 v16, v1, v8
	s_and_b32 s12, ttmp6, 15
	s_mul_i32 s13, ttmp9, s13
	s_mul_i32 s15, s14, s15
	s_bfe_u32 s16, ttmp6, 0x40004
	s_add_co_i32 s12, s12, s13
	s_add_co_i32 s16, s16, s15
	s_cmp_eq_u32 s2, 0
	v_dual_lshrrev_b32 v10, 2, v16 :: v_dual_lshrrev_b32 v18, 6, v16
	s_cselect_b32 s2, s14, s16
	s_cselect_b32 s34, ttmp9, s12
	s_lshl_b32 s36, s2, 6
	s_mov_b32 s37, s29
	s_load_b256 s[12:19], s[0:1], 0x58
	v_add_nc_u64_e32 v[4:5], s[36:37], v[10:11]
	s_ashr_i32 s35, s34, 31
	v_add_nc_u64_e32 v[6:7], s[36:37], v[2:3]
	s_lshl_b64 s[34:35], s[34:35], 6
	s_load_b32 s30, s[0:1], 0x50
	s_wait_kmcnt 0x0
	v_mad_nc_u64_u32 v[14:15], s6, v18, s[34:35]
	s_load_b96 s[0:2], s[0:1], 0x10
	v_mul_u64_e32 v[12:13], s[24:25], v[4:5]
	v_dual_mov_b32 v17, v3 :: v_dual_bitop2_b32 v16, 63, v16 bitop3:0x40
	v_mul_u64_e32 v[4:5], s[20:21], v[6:7]
	v_dual_mov_b32 v9, v3 :: v_dual_bitop2_b32 v0, 3, v0 bitop3:0x40
	v_lshlrev_b32_e32 v36, 2, v8
	v_add_nc_u32_e32 v37, 0x400, v1
	v_mad_u32 v15, s7, v18, v15
	s_delay_alu instid0(VALU_DEP_4)
	v_dual_lshlrev_b32 v11, 2, v0 :: v_dual_lshlrev_b32 v2, 1, v0
	v_mul_u64_e32 v[6:7], s[14:15], v[6:7]
	v_add_nc_u64_e32 v[0:1], s[34:35], v[8:9]
	s_cmp_eq_f32 s30, 0
	s_wait_kmcnt 0x0
	v_cmp_gt_i64_e64 s25, s[0:1], 0
	v_add_nc_u64_e32 v[14:15], v[14:15], v[16:17]
	s_cselect_b32 s24, -1, 0
	s_lshl_b64 s[26:27], s[26:27], 1
	v_lshl_or_b32 v17, v10, 4, v11
	v_lshlrev_b32_e32 v16, 2, v16
	s_lshl_b64 s[20:21], s[20:21], 4
	s_lshl_b64 s[14:15], s[14:15], 4
	v_lshlrev_b64_e32 v[10:11], 1, v[14:15]
	v_add_nc_u32_e32 v39, 0x400, v17
	v_lshl_or_b32 v38, v18, 8, v16
	s_lshl_b64 s[6:7], s[6:7], 3
	s_lshl_b64 s[16:17], s[16:17], 1
	v_lshl_add_u64 v[8:9], v[12:13], 1, s[26:27]
	s_delay_alu instid0(VALU_DEP_4) | instskip(SKIP_1) | instid1(VALU_DEP_2)
	v_lshl_add_u64 v[10:11], s[8:9], 1, v[10:11]
	s_lshl_b64 s[8:9], s[22:23], 1
	v_add_nc_u64_e32 v[8:9], v[8:9], v[2:3]
	s_branch .LBB140_4
.LBB140_2:                              ;   in Loop: Header=BB140_4 Depth=1
	s_or_b32 exec_lo, exec_lo, s22
	flat_store_d16_hi_b16 v[18:19], v12 offset:96
.LBB140_3:                              ;   in Loop: Header=BB140_4 Depth=1
	s_add_co_i32 s28, s28, 0x10000
	s_delay_alu instid0(SALU_CYCLE_1)
	s_cmp_lt_i32 s28, s3
	s_cbranch_scc0 .LBB140_202
.LBB140_4:                              ; =>This Loop Header: Depth=1
                                        ;     Child Loop BB140_6 Depth 2
	s_wait_xcnt 0x0
	v_dual_mov_b32 v2, s28 :: v_dual_mov_b32 v27, 0
	v_dual_mov_b32 v26, 0 :: v_dual_mov_b32 v25, 0
	;; [unrolled: 1-line block ×3, first 2 shown]
	s_clause 0x1
	global_load_b64 v[28:29], v2, s[12:13] scale_offset
	global_load_b64 v[30:31], v2, s[18:19] scale_offset
	v_dual_mov_b32 v22, 0 :: v_dual_mov_b32 v21, 0
	s_wait_xcnt 0x2
	v_dual_mov_b32 v20, 0 :: v_dual_mov_b32 v19, 0
	v_dual_mov_b32 v18, 0 :: v_dual_mov_b32 v17, 0
	;; [unrolled: 1-line block ×4, first 2 shown]
	v_mov_b32_e32 v12, 0
	s_and_not1_b32 vcc_lo, exec_lo, s25
	s_cbranch_vccnz .LBB140_7
; %bb.5:                                ;   in Loop: Header=BB140_4 Depth=1
	s_lshl_b64 s[22:23], s[28:29], 3
	v_mov_b32_e32 v12, 0
	s_add_nc_u64 s[26:27], s[10:11], s[22:23]
	s_add_nc_u64 s[22:23], s[4:5], s[22:23]
	s_clause 0x1
	global_load_b64 v[26:27], v3, s[26:27]
	global_load_b64 v[34:35], v3, s[22:23]
	s_wait_xcnt 0x0
	s_mov_b64 s[22:23], 0
	v_dual_mov_b32 v13, v12 :: v_dual_mov_b32 v14, v12
	v_dual_mov_b32 v15, v12 :: v_dual_mov_b32 v16, v12
	;; [unrolled: 1-line block ×6, first 2 shown]
	v_mov_b32_e32 v25, v12
	s_wait_loadcnt 0x1
	v_add_nc_u64_e32 v[32:33], v[26:27], v[8:9]
	s_wait_loadcnt 0x0
	v_add_nc_u64_e32 v[34:35], v[34:35], v[10:11]
	v_dual_mov_b32 v26, v12 :: v_dual_mov_b32 v27, v12
.LBB140_6:                              ;   Parent Loop BB140_4 Depth=1
                                        ; =>  This Inner Loop Header: Depth=2
	flat_load_u16 v2, v[34:35]
	flat_load_u16 v40, v[32:33]
	s_add_nc_u64 s[22:23], s[22:23], 4
	s_wait_xcnt 0x0
	v_add_nc_u64_e32 v[32:33], 8, v[32:33]
	v_cmp_lt_i64_e64 s26, s[22:23], s[0:1]
	v_add_nc_u64_e32 v[34:35], s[6:7], v[34:35]
	s_and_b32 vcc_lo, exec_lo, s26
	s_wait_loadcnt_dscnt 0x0
	v_dual_lshlrev_b32 v2, 16, v2 :: v_dual_lshlrev_b32 v40, 16, v40
	ds_store_b32 v38, v2
	ds_store_b32 v39, v40
	s_wait_dscnt 0x0
	s_barrier_signal -1
	s_barrier_wait -1
	ds_load_b128 v[40:43], v37
	ds_load_2addr_b32 v[56:57], v36 offset1:16
	ds_load_2addr_b32 v[58:59], v36 offset0:32 offset1:48
	ds_load_b128 v[44:47], v37 offset:256
	ds_load_b128 v[48:51], v37 offset:512
	ds_load_b128 v[52:55], v37 offset:768
	ds_load_2addr_b32 v[60:61], v36 offset0:64 offset1:80
	ds_load_2addr_b32 v[62:63], v36 offset0:96 offset1:112
	;; [unrolled: 1-line block ×6, first 2 shown]
	s_wait_dscnt 0x0
	s_barrier_signal -1
	s_barrier_wait -1
	v_mov_b32_e32 v2, v43
	v_pk_fma_f32 v[26:27], v[56:57], v[40:41], v[26:27] op_sel_hi:[1,0,1]
	v_pk_fma_f32 v[24:25], v[58:59], v[40:41], v[24:25] op_sel_hi:[1,0,1]
	;; [unrolled: 1-line block ×8, first 2 shown]
	v_pk_fma_f32 v[26:27], v[60:61], v[40:41], v[26:27] op_sel:[0,1,0]
	v_pk_fma_f32 v[24:25], v[62:63], v[40:41], v[24:25] op_sel:[0,1,0]
	;; [unrolled: 1-line block ×8, first 2 shown]
	v_dual_mov_b32 v56, v47 :: v_dual_mov_b32 v58, v51
	v_mov_b32_e32 v72, v55
	v_pk_fma_f32 v[26:27], v[64:65], v[42:43], v[26:27] op_sel_hi:[1,0,1]
	v_pk_fma_f32 v[24:25], v[66:67], v[42:43], v[24:25] op_sel_hi:[1,0,1]
	v_pk_fma_f32 v[22:23], v[64:65], v[46:47], v[22:23] op_sel_hi:[1,0,1]
	v_pk_fma_f32 v[20:21], v[66:67], v[46:47], v[20:21] op_sel_hi:[1,0,1]
	v_pk_fma_f32 v[18:19], v[64:65], v[50:51], v[18:19] op_sel_hi:[1,0,1]
	v_pk_fma_f32 v[16:17], v[66:67], v[50:51], v[16:17] op_sel_hi:[1,0,1]
	v_pk_fma_f32 v[14:15], v[64:65], v[54:55], v[14:15] op_sel_hi:[1,0,1]
	v_pk_fma_f32 v[12:13], v[66:67], v[54:55], v[12:13] op_sel_hi:[1,0,1]
	v_pk_fma_f32 v[26:27], v[68:69], v[2:3], v[26:27] op_sel_hi:[1,0,1]
	v_pk_fma_f32 v[24:25], v[70:71], v[2:3], v[24:25] op_sel_hi:[1,0,1]
	v_pk_fma_f32 v[22:23], v[68:69], v[56:57], v[22:23] op_sel_hi:[1,0,1]
	v_pk_fma_f32 v[20:21], v[70:71], v[56:57], v[20:21] op_sel_hi:[1,0,1]
	v_pk_fma_f32 v[18:19], v[68:69], v[58:59], v[18:19] op_sel_hi:[1,0,1]
	v_pk_fma_f32 v[16:17], v[70:71], v[58:59], v[16:17] op_sel_hi:[1,0,1]
	v_pk_fma_f32 v[14:15], v[68:69], v[72:73], v[14:15] op_sel_hi:[1,0,1]
	v_pk_fma_f32 v[12:13], v[70:71], v[72:73], v[12:13] op_sel_hi:[1,0,1]
	s_cbranch_vccnz .LBB140_6
.LBB140_7:                              ;   in Loop: Header=BB140_4 Depth=1
	s_wait_loadcnt 0x0
	v_add_nc_u64_e32 v[30:31], s[8:9], v[30:31]
	s_and_not1_b32 vcc_lo, exec_lo, s24
	s_cbranch_vccnz .LBB140_73
; %bb.8:                                ;   in Loop: Header=BB140_4 Depth=1
	v_mul_f32_e32 v32, s2, v26
	s_wait_xcnt 0x0
	s_delay_alu instid0(VALU_DEP_1) | instskip(NEXT) | instid1(VALU_DEP_1)
	v_and_b32_e32 v2, 0x7f800000, v32
	v_cmp_ne_u32_e32 vcc_lo, 0x7f800000, v2
                                        ; implicit-def: $vgpr2
	s_and_saveexec_b32 s22, vcc_lo
	s_delay_alu instid0(SALU_CYCLE_1)
	s_xor_b32 s22, exec_lo, s22
; %bb.9:                                ;   in Loop: Header=BB140_4 Depth=1
	v_bfe_u32 v2, v32, 16, 1
	s_delay_alu instid0(VALU_DEP_1)
	v_add3_u32 v2, v32, v2, 0x7fff
                                        ; implicit-def: $vgpr32
; %bb.10:                               ;   in Loop: Header=BB140_4 Depth=1
	s_and_not1_saveexec_b32 s22, s22
; %bb.11:                               ;   in Loop: Header=BB140_4 Depth=1
	v_and_b32_e32 v2, 0xffff, v32
	v_or_b32_e32 v33, 0x10000, v32
	s_delay_alu instid0(VALU_DEP_2) | instskip(NEXT) | instid1(VALU_DEP_2)
	v_cmp_eq_u32_e32 vcc_lo, 0, v2
	v_cndmask_b32_e32 v2, v33, v32, vcc_lo
; %bb.12:                               ;   in Loop: Header=BB140_4 Depth=1
	s_or_b32 exec_lo, exec_lo, s22
	v_mul_f32_e32 v40, s2, v27
	v_lshl_add_u64 v[32:33], v[4:5], 1, v[30:31]
	s_delay_alu instid0(VALU_DEP_2) | instskip(NEXT) | instid1(VALU_DEP_2)
	v_and_b32_e32 v41, 0x7f800000, v40
	v_lshl_add_u64 v[34:35], v[0:1], 1, v[32:33]
	s_delay_alu instid0(VALU_DEP_2) | instskip(SKIP_3) | instid1(SALU_CYCLE_1)
	v_cmp_ne_u32_e32 vcc_lo, 0x7f800000, v41
	flat_store_d16_hi_b16 v[34:35], v2
                                        ; implicit-def: $vgpr41
	s_wait_xcnt 0x0
	s_and_saveexec_b32 s22, vcc_lo
	s_xor_b32 s22, exec_lo, s22
; %bb.13:                               ;   in Loop: Header=BB140_4 Depth=1
	v_bfe_u32 v2, v40, 16, 1
	s_delay_alu instid0(VALU_DEP_1)
	v_add3_u32 v41, v40, v2, 0x7fff
                                        ; implicit-def: $vgpr40
; %bb.14:                               ;   in Loop: Header=BB140_4 Depth=1
	s_and_not1_saveexec_b32 s22, s22
; %bb.15:                               ;   in Loop: Header=BB140_4 Depth=1
	v_and_b32_e32 v2, 0xffff, v40
	v_or_b32_e32 v41, 0x10000, v40
	s_delay_alu instid0(VALU_DEP_2) | instskip(NEXT) | instid1(VALU_DEP_2)
	v_cmp_eq_u32_e32 vcc_lo, 0, v2
	v_cndmask_b32_e32 v41, v41, v40, vcc_lo
; %bb.16:                               ;   in Loop: Header=BB140_4 Depth=1
	s_or_b32 exec_lo, exec_lo, s22
	v_mul_f32_e32 v2, s2, v24
	flat_store_d16_hi_b16 v[34:35], v41 offset:32
	v_and_b32_e32 v40, 0x7f800000, v2
	s_delay_alu instid0(VALU_DEP_1) | instskip(SKIP_2) | instid1(SALU_CYCLE_1)
	v_cmp_ne_u32_e32 vcc_lo, 0x7f800000, v40
                                        ; implicit-def: $vgpr40
	s_wait_xcnt 0x0
	s_and_saveexec_b32 s22, vcc_lo
	s_xor_b32 s22, exec_lo, s22
; %bb.17:                               ;   in Loop: Header=BB140_4 Depth=1
	v_bfe_u32 v40, v2, 16, 1
	s_delay_alu instid0(VALU_DEP_1)
	v_add3_u32 v40, v2, v40, 0x7fff
                                        ; implicit-def: $vgpr2
; %bb.18:                               ;   in Loop: Header=BB140_4 Depth=1
	s_and_not1_saveexec_b32 s22, s22
; %bb.19:                               ;   in Loop: Header=BB140_4 Depth=1
	v_and_b32_e32 v40, 0xffff, v2
	v_or_b32_e32 v41, 0x10000, v2
	s_delay_alu instid0(VALU_DEP_2) | instskip(NEXT) | instid1(VALU_DEP_2)
	v_cmp_eq_u32_e32 vcc_lo, 0, v40
	v_cndmask_b32_e32 v40, v41, v2, vcc_lo
; %bb.20:                               ;   in Loop: Header=BB140_4 Depth=1
	s_or_b32 exec_lo, exec_lo, s22
	v_mul_f32_e32 v2, s2, v25
	flat_store_d16_hi_b16 v[34:35], v40 offset:64
	v_and_b32_e32 v41, 0x7f800000, v2
	s_delay_alu instid0(VALU_DEP_1) | instskip(SKIP_2) | instid1(SALU_CYCLE_1)
	v_cmp_ne_u32_e32 vcc_lo, 0x7f800000, v41
                                        ; implicit-def: $vgpr41
	s_wait_xcnt 0x0
	s_and_saveexec_b32 s22, vcc_lo
	s_xor_b32 s22, exec_lo, s22
; %bb.21:                               ;   in Loop: Header=BB140_4 Depth=1
	v_bfe_u32 v40, v2, 16, 1
	s_delay_alu instid0(VALU_DEP_1)
	v_add3_u32 v41, v2, v40, 0x7fff
                                        ; implicit-def: $vgpr2
; %bb.22:                               ;   in Loop: Header=BB140_4 Depth=1
	s_and_not1_saveexec_b32 s22, s22
; %bb.23:                               ;   in Loop: Header=BB140_4 Depth=1
	v_and_b32_e32 v40, 0xffff, v2
	v_or_b32_e32 v41, 0x10000, v2
	s_delay_alu instid0(VALU_DEP_2) | instskip(NEXT) | instid1(VALU_DEP_2)
	v_cmp_eq_u32_e32 vcc_lo, 0, v40
	v_cndmask_b32_e32 v41, v41, v2, vcc_lo
; %bb.24:                               ;   in Loop: Header=BB140_4 Depth=1
	s_or_b32 exec_lo, exec_lo, s22
	v_mul_f32_e32 v40, s2, v22
	flat_store_d16_hi_b16 v[34:35], v41 offset:96
	v_and_b32_e32 v2, 0x7f800000, v40
	s_delay_alu instid0(VALU_DEP_1) | instskip(SKIP_2) | instid1(SALU_CYCLE_1)
	v_cmp_ne_u32_e32 vcc_lo, 0x7f800000, v2
                                        ; implicit-def: $vgpr2
	s_wait_xcnt 0x0
	s_and_saveexec_b32 s22, vcc_lo
	s_xor_b32 s22, exec_lo, s22
; %bb.25:                               ;   in Loop: Header=BB140_4 Depth=1
	v_bfe_u32 v2, v40, 16, 1
	s_delay_alu instid0(VALU_DEP_1)
	v_add3_u32 v2, v40, v2, 0x7fff
                                        ; implicit-def: $vgpr40
; %bb.26:                               ;   in Loop: Header=BB140_4 Depth=1
	s_and_not1_saveexec_b32 s22, s22
; %bb.27:                               ;   in Loop: Header=BB140_4 Depth=1
	v_and_b32_e32 v2, 0xffff, v40
	v_or_b32_e32 v34, 0x10000, v40
	s_delay_alu instid0(VALU_DEP_2) | instskip(NEXT) | instid1(VALU_DEP_2)
	v_cmp_eq_u32_e32 vcc_lo, 0, v2
	v_cndmask_b32_e32 v2, v34, v40, vcc_lo
; %bb.28:                               ;   in Loop: Header=BB140_4 Depth=1
	s_or_b32 exec_lo, exec_lo, s22
	v_mul_f32_e32 v40, s2, v23
	v_lshl_add_u64 v[32:33], s[20:21], 1, v[32:33]
	s_delay_alu instid0(VALU_DEP_2) | instskip(NEXT) | instid1(VALU_DEP_2)
	v_and_b32_e32 v41, 0x7f800000, v40
	v_lshl_add_u64 v[34:35], v[0:1], 1, v[32:33]
	s_delay_alu instid0(VALU_DEP_2) | instskip(SKIP_3) | instid1(SALU_CYCLE_1)
	v_cmp_ne_u32_e32 vcc_lo, 0x7f800000, v41
	flat_store_d16_hi_b16 v[34:35], v2
                                        ; implicit-def: $vgpr41
	s_wait_xcnt 0x0
	s_and_saveexec_b32 s22, vcc_lo
	s_xor_b32 s22, exec_lo, s22
; %bb.29:                               ;   in Loop: Header=BB140_4 Depth=1
	v_bfe_u32 v2, v40, 16, 1
	s_delay_alu instid0(VALU_DEP_1)
	v_add3_u32 v41, v40, v2, 0x7fff
                                        ; implicit-def: $vgpr40
; %bb.30:                               ;   in Loop: Header=BB140_4 Depth=1
	s_and_not1_saveexec_b32 s22, s22
; %bb.31:                               ;   in Loop: Header=BB140_4 Depth=1
	v_and_b32_e32 v2, 0xffff, v40
	v_or_b32_e32 v41, 0x10000, v40
	s_delay_alu instid0(VALU_DEP_2) | instskip(NEXT) | instid1(VALU_DEP_2)
	v_cmp_eq_u32_e32 vcc_lo, 0, v2
	v_cndmask_b32_e32 v41, v41, v40, vcc_lo
; %bb.32:                               ;   in Loop: Header=BB140_4 Depth=1
	s_or_b32 exec_lo, exec_lo, s22
	v_mul_f32_e32 v2, s2, v20
	flat_store_d16_hi_b16 v[34:35], v41 offset:32
	v_and_b32_e32 v40, 0x7f800000, v2
	s_delay_alu instid0(VALU_DEP_1) | instskip(SKIP_2) | instid1(SALU_CYCLE_1)
	v_cmp_ne_u32_e32 vcc_lo, 0x7f800000, v40
                                        ; implicit-def: $vgpr40
	s_wait_xcnt 0x0
	s_and_saveexec_b32 s22, vcc_lo
	s_xor_b32 s22, exec_lo, s22
; %bb.33:                               ;   in Loop: Header=BB140_4 Depth=1
	v_bfe_u32 v40, v2, 16, 1
	s_delay_alu instid0(VALU_DEP_1)
	v_add3_u32 v40, v2, v40, 0x7fff
                                        ; implicit-def: $vgpr2
; %bb.34:                               ;   in Loop: Header=BB140_4 Depth=1
	s_and_not1_saveexec_b32 s22, s22
; %bb.35:                               ;   in Loop: Header=BB140_4 Depth=1
	v_and_b32_e32 v40, 0xffff, v2
	v_or_b32_e32 v41, 0x10000, v2
	s_delay_alu instid0(VALU_DEP_2) | instskip(NEXT) | instid1(VALU_DEP_2)
	v_cmp_eq_u32_e32 vcc_lo, 0, v40
	v_cndmask_b32_e32 v40, v41, v2, vcc_lo
; %bb.36:                               ;   in Loop: Header=BB140_4 Depth=1
	s_or_b32 exec_lo, exec_lo, s22
	v_mul_f32_e32 v2, s2, v21
	flat_store_d16_hi_b16 v[34:35], v40 offset:64
	v_and_b32_e32 v41, 0x7f800000, v2
	s_delay_alu instid0(VALU_DEP_1) | instskip(SKIP_2) | instid1(SALU_CYCLE_1)
	v_cmp_ne_u32_e32 vcc_lo, 0x7f800000, v41
                                        ; implicit-def: $vgpr41
	s_wait_xcnt 0x0
	s_and_saveexec_b32 s22, vcc_lo
	s_xor_b32 s22, exec_lo, s22
; %bb.37:                               ;   in Loop: Header=BB140_4 Depth=1
	v_bfe_u32 v40, v2, 16, 1
	s_delay_alu instid0(VALU_DEP_1)
	v_add3_u32 v41, v2, v40, 0x7fff
                                        ; implicit-def: $vgpr2
; %bb.38:                               ;   in Loop: Header=BB140_4 Depth=1
	s_and_not1_saveexec_b32 s22, s22
; %bb.39:                               ;   in Loop: Header=BB140_4 Depth=1
	v_and_b32_e32 v40, 0xffff, v2
	v_or_b32_e32 v41, 0x10000, v2
	s_delay_alu instid0(VALU_DEP_2) | instskip(NEXT) | instid1(VALU_DEP_2)
	v_cmp_eq_u32_e32 vcc_lo, 0, v40
	v_cndmask_b32_e32 v41, v41, v2, vcc_lo
; %bb.40:                               ;   in Loop: Header=BB140_4 Depth=1
	s_or_b32 exec_lo, exec_lo, s22
	v_mul_f32_e32 v40, s2, v18
	flat_store_d16_hi_b16 v[34:35], v41 offset:96
	v_and_b32_e32 v2, 0x7f800000, v40
	s_delay_alu instid0(VALU_DEP_1) | instskip(SKIP_2) | instid1(SALU_CYCLE_1)
	v_cmp_ne_u32_e32 vcc_lo, 0x7f800000, v2
                                        ; implicit-def: $vgpr2
	s_wait_xcnt 0x0
	s_and_saveexec_b32 s22, vcc_lo
	s_xor_b32 s22, exec_lo, s22
; %bb.41:                               ;   in Loop: Header=BB140_4 Depth=1
	v_bfe_u32 v2, v40, 16, 1
	s_delay_alu instid0(VALU_DEP_1)
	v_add3_u32 v2, v40, v2, 0x7fff
                                        ; implicit-def: $vgpr40
; %bb.42:                               ;   in Loop: Header=BB140_4 Depth=1
	s_and_not1_saveexec_b32 s22, s22
; %bb.43:                               ;   in Loop: Header=BB140_4 Depth=1
	v_and_b32_e32 v2, 0xffff, v40
	v_or_b32_e32 v34, 0x10000, v40
	s_delay_alu instid0(VALU_DEP_2) | instskip(NEXT) | instid1(VALU_DEP_2)
	v_cmp_eq_u32_e32 vcc_lo, 0, v2
	v_cndmask_b32_e32 v2, v34, v40, vcc_lo
; %bb.44:                               ;   in Loop: Header=BB140_4 Depth=1
	s_or_b32 exec_lo, exec_lo, s22
	v_mul_f32_e32 v40, s2, v19
	v_lshl_add_u64 v[32:33], s[20:21], 1, v[32:33]
	s_delay_alu instid0(VALU_DEP_2) | instskip(NEXT) | instid1(VALU_DEP_2)
	v_and_b32_e32 v41, 0x7f800000, v40
	v_lshl_add_u64 v[34:35], v[0:1], 1, v[32:33]
	s_delay_alu instid0(VALU_DEP_2) | instskip(SKIP_3) | instid1(SALU_CYCLE_1)
	v_cmp_ne_u32_e32 vcc_lo, 0x7f800000, v41
	flat_store_d16_hi_b16 v[34:35], v2
                                        ; implicit-def: $vgpr41
	s_wait_xcnt 0x0
	s_and_saveexec_b32 s22, vcc_lo
	s_xor_b32 s22, exec_lo, s22
; %bb.45:                               ;   in Loop: Header=BB140_4 Depth=1
	v_bfe_u32 v2, v40, 16, 1
	s_delay_alu instid0(VALU_DEP_1)
	v_add3_u32 v41, v40, v2, 0x7fff
                                        ; implicit-def: $vgpr40
; %bb.46:                               ;   in Loop: Header=BB140_4 Depth=1
	s_and_not1_saveexec_b32 s22, s22
; %bb.47:                               ;   in Loop: Header=BB140_4 Depth=1
	v_and_b32_e32 v2, 0xffff, v40
	v_or_b32_e32 v41, 0x10000, v40
	s_delay_alu instid0(VALU_DEP_2) | instskip(NEXT) | instid1(VALU_DEP_2)
	v_cmp_eq_u32_e32 vcc_lo, 0, v2
	v_cndmask_b32_e32 v41, v41, v40, vcc_lo
; %bb.48:                               ;   in Loop: Header=BB140_4 Depth=1
	s_or_b32 exec_lo, exec_lo, s22
	v_mul_f32_e32 v2, s2, v16
	flat_store_d16_hi_b16 v[34:35], v41 offset:32
	v_and_b32_e32 v40, 0x7f800000, v2
	s_delay_alu instid0(VALU_DEP_1) | instskip(SKIP_2) | instid1(SALU_CYCLE_1)
	v_cmp_ne_u32_e32 vcc_lo, 0x7f800000, v40
                                        ; implicit-def: $vgpr40
	s_wait_xcnt 0x0
	s_and_saveexec_b32 s22, vcc_lo
	s_xor_b32 s22, exec_lo, s22
; %bb.49:                               ;   in Loop: Header=BB140_4 Depth=1
	v_bfe_u32 v40, v2, 16, 1
	s_delay_alu instid0(VALU_DEP_1)
	v_add3_u32 v40, v2, v40, 0x7fff
                                        ; implicit-def: $vgpr2
; %bb.50:                               ;   in Loop: Header=BB140_4 Depth=1
	s_and_not1_saveexec_b32 s22, s22
; %bb.51:                               ;   in Loop: Header=BB140_4 Depth=1
	v_and_b32_e32 v40, 0xffff, v2
	v_or_b32_e32 v41, 0x10000, v2
	s_delay_alu instid0(VALU_DEP_2) | instskip(NEXT) | instid1(VALU_DEP_2)
	v_cmp_eq_u32_e32 vcc_lo, 0, v40
	v_cndmask_b32_e32 v40, v41, v2, vcc_lo
; %bb.52:                               ;   in Loop: Header=BB140_4 Depth=1
	s_or_b32 exec_lo, exec_lo, s22
	v_mul_f32_e32 v2, s2, v17
	flat_store_d16_hi_b16 v[34:35], v40 offset:64
	v_and_b32_e32 v41, 0x7f800000, v2
	s_delay_alu instid0(VALU_DEP_1) | instskip(SKIP_2) | instid1(SALU_CYCLE_1)
	v_cmp_ne_u32_e32 vcc_lo, 0x7f800000, v41
                                        ; implicit-def: $vgpr41
	s_wait_xcnt 0x0
	s_and_saveexec_b32 s22, vcc_lo
	s_xor_b32 s22, exec_lo, s22
; %bb.53:                               ;   in Loop: Header=BB140_4 Depth=1
	v_bfe_u32 v40, v2, 16, 1
	s_delay_alu instid0(VALU_DEP_1)
	v_add3_u32 v41, v2, v40, 0x7fff
                                        ; implicit-def: $vgpr2
; %bb.54:                               ;   in Loop: Header=BB140_4 Depth=1
	s_and_not1_saveexec_b32 s22, s22
; %bb.55:                               ;   in Loop: Header=BB140_4 Depth=1
	v_and_b32_e32 v40, 0xffff, v2
	v_or_b32_e32 v41, 0x10000, v2
	s_delay_alu instid0(VALU_DEP_2) | instskip(NEXT) | instid1(VALU_DEP_2)
	v_cmp_eq_u32_e32 vcc_lo, 0, v40
	v_cndmask_b32_e32 v41, v41, v2, vcc_lo
; %bb.56:                               ;   in Loop: Header=BB140_4 Depth=1
	s_or_b32 exec_lo, exec_lo, s22
	v_mul_f32_e32 v40, s2, v14
	flat_store_d16_hi_b16 v[34:35], v41 offset:96
	v_and_b32_e32 v2, 0x7f800000, v40
	s_delay_alu instid0(VALU_DEP_1) | instskip(SKIP_2) | instid1(SALU_CYCLE_1)
	v_cmp_ne_u32_e32 vcc_lo, 0x7f800000, v2
                                        ; implicit-def: $vgpr2
	s_wait_xcnt 0x0
	s_and_saveexec_b32 s22, vcc_lo
	s_xor_b32 s22, exec_lo, s22
; %bb.57:                               ;   in Loop: Header=BB140_4 Depth=1
	v_bfe_u32 v2, v40, 16, 1
	s_delay_alu instid0(VALU_DEP_1)
	v_add3_u32 v2, v40, v2, 0x7fff
                                        ; implicit-def: $vgpr40
; %bb.58:                               ;   in Loop: Header=BB140_4 Depth=1
	s_and_not1_saveexec_b32 s22, s22
; %bb.59:                               ;   in Loop: Header=BB140_4 Depth=1
	v_and_b32_e32 v2, 0xffff, v40
	v_or_b32_e32 v34, 0x10000, v40
	s_delay_alu instid0(VALU_DEP_2) | instskip(NEXT) | instid1(VALU_DEP_2)
	v_cmp_eq_u32_e32 vcc_lo, 0, v2
	v_cndmask_b32_e32 v2, v34, v40, vcc_lo
; %bb.60:                               ;   in Loop: Header=BB140_4 Depth=1
	s_or_b32 exec_lo, exec_lo, s22
	v_mul_f32_e32 v34, s2, v15
	v_lshl_add_u64 v[32:33], s[20:21], 1, v[32:33]
	s_delay_alu instid0(VALU_DEP_2) | instskip(NEXT) | instid1(VALU_DEP_2)
	v_and_b32_e32 v35, 0x7f800000, v34
	v_lshl_add_u64 v[32:33], v[0:1], 1, v[32:33]
	s_delay_alu instid0(VALU_DEP_2) | instskip(SKIP_3) | instid1(SALU_CYCLE_1)
	v_cmp_ne_u32_e32 vcc_lo, 0x7f800000, v35
	flat_store_d16_hi_b16 v[32:33], v2
                                        ; implicit-def: $vgpr35
	s_wait_xcnt 0x0
	s_and_saveexec_b32 s22, vcc_lo
	s_xor_b32 s22, exec_lo, s22
; %bb.61:                               ;   in Loop: Header=BB140_4 Depth=1
	v_bfe_u32 v2, v34, 16, 1
	s_delay_alu instid0(VALU_DEP_1)
	v_add3_u32 v35, v34, v2, 0x7fff
                                        ; implicit-def: $vgpr34
; %bb.62:                               ;   in Loop: Header=BB140_4 Depth=1
	s_and_not1_saveexec_b32 s22, s22
; %bb.63:                               ;   in Loop: Header=BB140_4 Depth=1
	v_and_b32_e32 v2, 0xffff, v34
	v_or_b32_e32 v35, 0x10000, v34
	s_delay_alu instid0(VALU_DEP_2) | instskip(NEXT) | instid1(VALU_DEP_2)
	v_cmp_eq_u32_e32 vcc_lo, 0, v2
	v_cndmask_b32_e32 v35, v35, v34, vcc_lo
; %bb.64:                               ;   in Loop: Header=BB140_4 Depth=1
	s_or_b32 exec_lo, exec_lo, s22
	v_mul_f32_e32 v2, s2, v12
	flat_store_d16_hi_b16 v[32:33], v35 offset:32
	v_and_b32_e32 v34, 0x7f800000, v2
	s_delay_alu instid0(VALU_DEP_1) | instskip(SKIP_2) | instid1(SALU_CYCLE_1)
	v_cmp_ne_u32_e32 vcc_lo, 0x7f800000, v34
                                        ; implicit-def: $vgpr34
	s_wait_xcnt 0x0
	s_and_saveexec_b32 s22, vcc_lo
	s_xor_b32 s22, exec_lo, s22
; %bb.65:                               ;   in Loop: Header=BB140_4 Depth=1
	v_bfe_u32 v34, v2, 16, 1
	s_delay_alu instid0(VALU_DEP_1)
	v_add3_u32 v34, v2, v34, 0x7fff
                                        ; implicit-def: $vgpr2
; %bb.66:                               ;   in Loop: Header=BB140_4 Depth=1
	s_and_not1_saveexec_b32 s22, s22
; %bb.67:                               ;   in Loop: Header=BB140_4 Depth=1
	v_and_b32_e32 v34, 0xffff, v2
	v_or_b32_e32 v35, 0x10000, v2
	s_delay_alu instid0(VALU_DEP_2) | instskip(NEXT) | instid1(VALU_DEP_2)
	v_cmp_eq_u32_e32 vcc_lo, 0, v34
	v_cndmask_b32_e32 v34, v35, v2, vcc_lo
; %bb.68:                               ;   in Loop: Header=BB140_4 Depth=1
	s_or_b32 exec_lo, exec_lo, s22
	v_mul_f32_e32 v2, s2, v13
	s_mov_b32 s22, exec_lo
	flat_store_d16_hi_b16 v[32:33], v34 offset:64
                                        ; implicit-def: $vgpr34
	v_and_b32_e32 v35, 0x7f800000, v2
	s_wait_xcnt 0x0
	s_delay_alu instid0(VALU_DEP_1)
	v_cmpx_ne_u32_e32 0x7f800000, v35
	s_xor_b32 s22, exec_lo, s22
; %bb.69:                               ;   in Loop: Header=BB140_4 Depth=1
	v_bfe_u32 v34, v2, 16, 1
	s_delay_alu instid0(VALU_DEP_1)
	v_add3_u32 v34, v2, v34, 0x7fff
                                        ; implicit-def: $vgpr2
; %bb.70:                               ;   in Loop: Header=BB140_4 Depth=1
	s_and_not1_saveexec_b32 s22, s22
; %bb.71:                               ;   in Loop: Header=BB140_4 Depth=1
	v_and_b32_e32 v34, 0xffff, v2
	v_or_b32_e32 v35, 0x10000, v2
	s_delay_alu instid0(VALU_DEP_2) | instskip(NEXT) | instid1(VALU_DEP_2)
	v_cmp_eq_u32_e32 vcc_lo, 0, v34
	v_cndmask_b32_e32 v34, v35, v2, vcc_lo
; %bb.72:                               ;   in Loop: Header=BB140_4 Depth=1
	s_or_b32 exec_lo, exec_lo, s22
	flat_store_d16_hi_b16 v[32:33], v34 offset:96
	s_branch .LBB140_3
.LBB140_73:                             ;   in Loop: Header=BB140_4 Depth=1
	s_cbranch_execz .LBB140_3
; %bb.74:                               ;   in Loop: Header=BB140_4 Depth=1
	v_add_nc_u64_e32 v[28:29], s[16:17], v[28:29]
	s_delay_alu instid0(VALU_DEP_1) | instskip(SKIP_1) | instid1(VALU_DEP_1)
	v_lshl_add_u64 v[28:29], v[6:7], 1, v[28:29]
	s_wait_xcnt 0x0
	v_lshl_add_u64 v[32:33], v[0:1], 1, v[28:29]
	flat_load_u16 v2, v[32:33]
	s_wait_loadcnt_dscnt 0x0
	v_lshlrev_b32_e32 v2, 16, v2
	s_delay_alu instid0(VALU_DEP_1) | instskip(NEXT) | instid1(VALU_DEP_1)
	v_mul_f32_e32 v2, s30, v2
	v_and_b32_e32 v34, 0x7f800000, v2
	s_delay_alu instid0(VALU_DEP_1) | instskip(SKIP_2) | instid1(SALU_CYCLE_1)
	v_cmp_ne_u32_e32 vcc_lo, 0x7f800000, v34
                                        ; implicit-def: $vgpr34
	s_wait_xcnt 0x0
	s_and_saveexec_b32 s22, vcc_lo
	s_xor_b32 s22, exec_lo, s22
; %bb.75:                               ;   in Loop: Header=BB140_4 Depth=1
	v_bfe_u32 v34, v2, 16, 1
	s_delay_alu instid0(VALU_DEP_1)
	v_add3_u32 v34, v2, v34, 0x7fff
                                        ; implicit-def: $vgpr2
; %bb.76:                               ;   in Loop: Header=BB140_4 Depth=1
	s_and_not1_saveexec_b32 s22, s22
; %bb.77:                               ;   in Loop: Header=BB140_4 Depth=1
	v_and_b32_e32 v34, 0xffff, v2
	v_or_b32_e32 v35, 0x10000, v2
	s_delay_alu instid0(VALU_DEP_2) | instskip(NEXT) | instid1(VALU_DEP_2)
	v_cmp_eq_u32_e32 vcc_lo, 0, v34
	v_cndmask_b32_e32 v34, v35, v2, vcc_lo
; %bb.78:                               ;   in Loop: Header=BB140_4 Depth=1
	s_or_b32 exec_lo, exec_lo, s22
	s_delay_alu instid0(VALU_DEP_1) | instskip(NEXT) | instid1(VALU_DEP_1)
	v_fma_mix_f32_bf16 v2, s2, v26, v34 op_sel:[0,0,1] op_sel_hi:[0,0,1]
	v_and_b32_e32 v26, 0x7f800000, v2
	s_delay_alu instid0(VALU_DEP_1) | instskip(SKIP_1) | instid1(SALU_CYCLE_1)
	v_cmp_ne_u32_e32 vcc_lo, 0x7f800000, v26
                                        ; implicit-def: $vgpr26
	s_and_saveexec_b32 s22, vcc_lo
	s_xor_b32 s22, exec_lo, s22
; %bb.79:                               ;   in Loop: Header=BB140_4 Depth=1
	v_bfe_u32 v26, v2, 16, 1
	s_delay_alu instid0(VALU_DEP_1)
	v_add3_u32 v26, v2, v26, 0x7fff
                                        ; implicit-def: $vgpr2
; %bb.80:                               ;   in Loop: Header=BB140_4 Depth=1
	s_and_not1_saveexec_b32 s22, s22
; %bb.81:                               ;   in Loop: Header=BB140_4 Depth=1
	v_and_b32_e32 v26, 0xffff, v2
	v_or_b32_e32 v34, 0x10000, v2
	s_delay_alu instid0(VALU_DEP_2) | instskip(NEXT) | instid1(VALU_DEP_2)
	v_cmp_eq_u32_e32 vcc_lo, 0, v26
	v_cndmask_b32_e32 v26, v34, v2, vcc_lo
; %bb.82:                               ;   in Loop: Header=BB140_4 Depth=1
	s_or_b32 exec_lo, exec_lo, s22
	v_lshl_add_u64 v[30:31], v[4:5], 1, v[30:31]
	s_delay_alu instid0(VALU_DEP_1) | instskip(SKIP_4) | instid1(VALU_DEP_1)
	v_lshl_add_u64 v[34:35], v[0:1], 1, v[30:31]
	flat_store_d16_hi_b16 v[34:35], v26
	flat_load_u16 v2, v[32:33] offset:32
	s_wait_loadcnt_dscnt 0x0
	v_lshlrev_b32_e32 v2, 16, v2
	v_mul_f32_e32 v2, s30, v2
	s_wait_xcnt 0x1
	s_delay_alu instid0(VALU_DEP_1) | instskip(NEXT) | instid1(VALU_DEP_1)
	v_and_b32_e32 v26, 0x7f800000, v2
	v_cmp_ne_u32_e32 vcc_lo, 0x7f800000, v26
                                        ; implicit-def: $vgpr26
	s_wait_xcnt 0x0
	s_and_saveexec_b32 s22, vcc_lo
	s_delay_alu instid0(SALU_CYCLE_1)
	s_xor_b32 s22, exec_lo, s22
; %bb.83:                               ;   in Loop: Header=BB140_4 Depth=1
	v_bfe_u32 v26, v2, 16, 1
	s_delay_alu instid0(VALU_DEP_1)
	v_add3_u32 v26, v2, v26, 0x7fff
                                        ; implicit-def: $vgpr2
; %bb.84:                               ;   in Loop: Header=BB140_4 Depth=1
	s_and_not1_saveexec_b32 s22, s22
; %bb.85:                               ;   in Loop: Header=BB140_4 Depth=1
	v_and_b32_e32 v26, 0xffff, v2
	v_or_b32_e32 v40, 0x10000, v2
	s_delay_alu instid0(VALU_DEP_2) | instskip(NEXT) | instid1(VALU_DEP_2)
	v_cmp_eq_u32_e32 vcc_lo, 0, v26
	v_cndmask_b32_e32 v26, v40, v2, vcc_lo
; %bb.86:                               ;   in Loop: Header=BB140_4 Depth=1
	s_or_b32 exec_lo, exec_lo, s22
	s_delay_alu instid0(VALU_DEP_1) | instskip(NEXT) | instid1(VALU_DEP_1)
	v_fma_mix_f32_bf16 v2, s2, v27, v26 op_sel:[0,0,1] op_sel_hi:[0,0,1]
	v_and_b32_e32 v26, 0x7f800000, v2
	s_delay_alu instid0(VALU_DEP_1) | instskip(SKIP_1) | instid1(SALU_CYCLE_1)
	v_cmp_ne_u32_e32 vcc_lo, 0x7f800000, v26
                                        ; implicit-def: $vgpr26
	s_and_saveexec_b32 s22, vcc_lo
	s_xor_b32 s22, exec_lo, s22
; %bb.87:                               ;   in Loop: Header=BB140_4 Depth=1
	v_bfe_u32 v26, v2, 16, 1
	s_delay_alu instid0(VALU_DEP_1)
	v_add3_u32 v26, v2, v26, 0x7fff
                                        ; implicit-def: $vgpr2
; %bb.88:                               ;   in Loop: Header=BB140_4 Depth=1
	s_and_not1_saveexec_b32 s22, s22
; %bb.89:                               ;   in Loop: Header=BB140_4 Depth=1
	v_and_b32_e32 v26, 0xffff, v2
	v_or_b32_e32 v27, 0x10000, v2
	s_delay_alu instid0(VALU_DEP_2) | instskip(NEXT) | instid1(VALU_DEP_2)
	v_cmp_eq_u32_e32 vcc_lo, 0, v26
	v_cndmask_b32_e32 v26, v27, v2, vcc_lo
; %bb.90:                               ;   in Loop: Header=BB140_4 Depth=1
	s_or_b32 exec_lo, exec_lo, s22
	flat_store_d16_hi_b16 v[34:35], v26 offset:32
	flat_load_u16 v2, v[32:33] offset:64
	s_wait_loadcnt_dscnt 0x0
	v_lshlrev_b32_e32 v2, 16, v2
	s_delay_alu instid0(VALU_DEP_1) | instskip(SKIP_1) | instid1(VALU_DEP_1)
	v_mul_f32_e32 v2, s30, v2
	s_wait_xcnt 0x1
	v_and_b32_e32 v26, 0x7f800000, v2
	s_delay_alu instid0(VALU_DEP_1) | instskip(SKIP_2) | instid1(SALU_CYCLE_1)
	v_cmp_ne_u32_e32 vcc_lo, 0x7f800000, v26
                                        ; implicit-def: $vgpr26
	s_wait_xcnt 0x0
	s_and_saveexec_b32 s22, vcc_lo
	s_xor_b32 s22, exec_lo, s22
; %bb.91:                               ;   in Loop: Header=BB140_4 Depth=1
	v_bfe_u32 v26, v2, 16, 1
	s_delay_alu instid0(VALU_DEP_1)
	v_add3_u32 v26, v2, v26, 0x7fff
                                        ; implicit-def: $vgpr2
; %bb.92:                               ;   in Loop: Header=BB140_4 Depth=1
	s_and_not1_saveexec_b32 s22, s22
; %bb.93:                               ;   in Loop: Header=BB140_4 Depth=1
	v_and_b32_e32 v26, 0xffff, v2
	v_or_b32_e32 v27, 0x10000, v2
	s_delay_alu instid0(VALU_DEP_2) | instskip(NEXT) | instid1(VALU_DEP_2)
	v_cmp_eq_u32_e32 vcc_lo, 0, v26
	v_cndmask_b32_e32 v26, v27, v2, vcc_lo
; %bb.94:                               ;   in Loop: Header=BB140_4 Depth=1
	s_or_b32 exec_lo, exec_lo, s22
	s_delay_alu instid0(VALU_DEP_1) | instskip(NEXT) | instid1(VALU_DEP_1)
	v_fma_mix_f32_bf16 v2, s2, v24, v26 op_sel:[0,0,1] op_sel_hi:[0,0,1]
	v_and_b32_e32 v24, 0x7f800000, v2
	s_delay_alu instid0(VALU_DEP_1) | instskip(SKIP_1) | instid1(SALU_CYCLE_1)
	v_cmp_ne_u32_e32 vcc_lo, 0x7f800000, v24
                                        ; implicit-def: $vgpr24
	s_and_saveexec_b32 s22, vcc_lo
	s_xor_b32 s22, exec_lo, s22
; %bb.95:                               ;   in Loop: Header=BB140_4 Depth=1
	v_bfe_u32 v24, v2, 16, 1
	s_delay_alu instid0(VALU_DEP_1)
	v_add3_u32 v24, v2, v24, 0x7fff
                                        ; implicit-def: $vgpr2
; %bb.96:                               ;   in Loop: Header=BB140_4 Depth=1
	s_and_not1_saveexec_b32 s22, s22
; %bb.97:                               ;   in Loop: Header=BB140_4 Depth=1
	v_and_b32_e32 v24, 0xffff, v2
	v_or_b32_e32 v26, 0x10000, v2
	s_delay_alu instid0(VALU_DEP_2) | instskip(NEXT) | instid1(VALU_DEP_2)
	v_cmp_eq_u32_e32 vcc_lo, 0, v24
	v_cndmask_b32_e32 v24, v26, v2, vcc_lo
; %bb.98:                               ;   in Loop: Header=BB140_4 Depth=1
	s_or_b32 exec_lo, exec_lo, s22
	flat_store_d16_hi_b16 v[34:35], v24 offset:64
	flat_load_u16 v2, v[32:33] offset:96
	s_wait_loadcnt_dscnt 0x0
	v_lshlrev_b32_e32 v2, 16, v2
	s_delay_alu instid0(VALU_DEP_1) | instskip(SKIP_1) | instid1(VALU_DEP_1)
	v_mul_f32_e32 v2, s30, v2
	s_wait_xcnt 0x1
	v_and_b32_e32 v24, 0x7f800000, v2
	s_delay_alu instid0(VALU_DEP_1) | instskip(SKIP_2) | instid1(SALU_CYCLE_1)
	v_cmp_ne_u32_e32 vcc_lo, 0x7f800000, v24
                                        ; implicit-def: $vgpr24
	s_wait_xcnt 0x0
	s_and_saveexec_b32 s22, vcc_lo
	s_xor_b32 s22, exec_lo, s22
; %bb.99:                               ;   in Loop: Header=BB140_4 Depth=1
	v_bfe_u32 v24, v2, 16, 1
	s_delay_alu instid0(VALU_DEP_1)
	v_add3_u32 v24, v2, v24, 0x7fff
                                        ; implicit-def: $vgpr2
; %bb.100:                              ;   in Loop: Header=BB140_4 Depth=1
	s_and_not1_saveexec_b32 s22, s22
; %bb.101:                              ;   in Loop: Header=BB140_4 Depth=1
	v_and_b32_e32 v24, 0xffff, v2
	v_or_b32_e32 v26, 0x10000, v2
	s_delay_alu instid0(VALU_DEP_2) | instskip(NEXT) | instid1(VALU_DEP_2)
	v_cmp_eq_u32_e32 vcc_lo, 0, v24
	v_cndmask_b32_e32 v24, v26, v2, vcc_lo
; %bb.102:                              ;   in Loop: Header=BB140_4 Depth=1
	s_or_b32 exec_lo, exec_lo, s22
	s_delay_alu instid0(VALU_DEP_1) | instskip(SKIP_1) | instid1(VALU_DEP_1)
	v_fma_mix_f32_bf16 v2, s2, v25, v24 op_sel:[0,0,1] op_sel_hi:[0,0,1]
	s_mov_b32 s22, exec_lo
                                        ; implicit-def: $vgpr26
	v_and_b32_e32 v24, 0x7f800000, v2
	s_delay_alu instid0(VALU_DEP_1)
	v_cmpx_ne_u32_e32 0x7f800000, v24
	s_xor_b32 s22, exec_lo, s22
; %bb.103:                              ;   in Loop: Header=BB140_4 Depth=1
	v_bfe_u32 v24, v2, 16, 1
	s_delay_alu instid0(VALU_DEP_1)
	v_add3_u32 v26, v2, v24, 0x7fff
                                        ; implicit-def: $vgpr2
; %bb.104:                              ;   in Loop: Header=BB140_4 Depth=1
	s_and_not1_saveexec_b32 s22, s22
; %bb.105:                              ;   in Loop: Header=BB140_4 Depth=1
	v_and_b32_e32 v24, 0xffff, v2
	v_or_b32_e32 v25, 0x10000, v2
	s_delay_alu instid0(VALU_DEP_2) | instskip(NEXT) | instid1(VALU_DEP_2)
	v_cmp_eq_u32_e32 vcc_lo, 0, v24
	v_cndmask_b32_e32 v26, v25, v2, vcc_lo
; %bb.106:                              ;   in Loop: Header=BB140_4 Depth=1
	s_or_b32 exec_lo, exec_lo, s22
	v_lshl_add_u64 v[24:25], s[14:15], 1, v[28:29]
	flat_store_d16_hi_b16 v[34:35], v26 offset:96
	v_lshl_add_u64 v[28:29], v[0:1], 1, v[24:25]
	flat_load_u16 v2, v[28:29]
	s_wait_loadcnt_dscnt 0x0
	v_lshlrev_b32_e32 v2, 16, v2
	s_delay_alu instid0(VALU_DEP_1) | instskip(SKIP_1) | instid1(VALU_DEP_1)
	v_mul_f32_e32 v2, s30, v2
	s_wait_xcnt 0x1
	v_and_b32_e32 v26, 0x7f800000, v2
	s_delay_alu instid0(VALU_DEP_1) | instskip(SKIP_2) | instid1(SALU_CYCLE_1)
	v_cmp_ne_u32_e32 vcc_lo, 0x7f800000, v26
                                        ; implicit-def: $vgpr26
	s_wait_xcnt 0x0
	s_and_saveexec_b32 s22, vcc_lo
	s_xor_b32 s22, exec_lo, s22
; %bb.107:                              ;   in Loop: Header=BB140_4 Depth=1
	v_bfe_u32 v26, v2, 16, 1
	s_delay_alu instid0(VALU_DEP_1)
	v_add3_u32 v26, v2, v26, 0x7fff
                                        ; implicit-def: $vgpr2
; %bb.108:                              ;   in Loop: Header=BB140_4 Depth=1
	s_and_not1_saveexec_b32 s22, s22
; %bb.109:                              ;   in Loop: Header=BB140_4 Depth=1
	v_and_b32_e32 v26, 0xffff, v2
	v_or_b32_e32 v27, 0x10000, v2
	s_delay_alu instid0(VALU_DEP_2) | instskip(NEXT) | instid1(VALU_DEP_2)
	v_cmp_eq_u32_e32 vcc_lo, 0, v26
	v_cndmask_b32_e32 v26, v27, v2, vcc_lo
; %bb.110:                              ;   in Loop: Header=BB140_4 Depth=1
	s_or_b32 exec_lo, exec_lo, s22
	s_delay_alu instid0(VALU_DEP_1) | instskip(NEXT) | instid1(VALU_DEP_1)
	v_fma_mix_f32_bf16 v2, s2, v22, v26 op_sel:[0,0,1] op_sel_hi:[0,0,1]
	v_and_b32_e32 v22, 0x7f800000, v2
	s_delay_alu instid0(VALU_DEP_1) | instskip(SKIP_1) | instid1(SALU_CYCLE_1)
	v_cmp_ne_u32_e32 vcc_lo, 0x7f800000, v22
                                        ; implicit-def: $vgpr22
	s_and_saveexec_b32 s22, vcc_lo
	s_xor_b32 s22, exec_lo, s22
; %bb.111:                              ;   in Loop: Header=BB140_4 Depth=1
	v_bfe_u32 v22, v2, 16, 1
	s_delay_alu instid0(VALU_DEP_1)
	v_add3_u32 v22, v2, v22, 0x7fff
                                        ; implicit-def: $vgpr2
; %bb.112:                              ;   in Loop: Header=BB140_4 Depth=1
	s_and_not1_saveexec_b32 s22, s22
; %bb.113:                              ;   in Loop: Header=BB140_4 Depth=1
	v_and_b32_e32 v22, 0xffff, v2
	v_or_b32_e32 v26, 0x10000, v2
	s_delay_alu instid0(VALU_DEP_2) | instskip(NEXT) | instid1(VALU_DEP_2)
	v_cmp_eq_u32_e32 vcc_lo, 0, v22
	v_cndmask_b32_e32 v22, v26, v2, vcc_lo
; %bb.114:                              ;   in Loop: Header=BB140_4 Depth=1
	s_or_b32 exec_lo, exec_lo, s22
	v_lshl_add_u64 v[26:27], s[20:21], 1, v[30:31]
	s_delay_alu instid0(VALU_DEP_1) | instskip(SKIP_4) | instid1(VALU_DEP_1)
	v_lshl_add_u64 v[30:31], v[0:1], 1, v[26:27]
	flat_store_d16_hi_b16 v[30:31], v22
	flat_load_u16 v2, v[28:29] offset:32
	s_wait_loadcnt_dscnt 0x0
	v_lshlrev_b32_e32 v2, 16, v2
	v_mul_f32_e32 v2, s30, v2
	s_wait_xcnt 0x1
	s_delay_alu instid0(VALU_DEP_1) | instskip(NEXT) | instid1(VALU_DEP_1)
	v_and_b32_e32 v22, 0x7f800000, v2
	v_cmp_ne_u32_e32 vcc_lo, 0x7f800000, v22
                                        ; implicit-def: $vgpr22
	s_wait_xcnt 0x0
	s_and_saveexec_b32 s22, vcc_lo
	s_delay_alu instid0(SALU_CYCLE_1)
	s_xor_b32 s22, exec_lo, s22
; %bb.115:                              ;   in Loop: Header=BB140_4 Depth=1
	v_bfe_u32 v22, v2, 16, 1
	s_delay_alu instid0(VALU_DEP_1)
	v_add3_u32 v22, v2, v22, 0x7fff
                                        ; implicit-def: $vgpr2
; %bb.116:                              ;   in Loop: Header=BB140_4 Depth=1
	s_and_not1_saveexec_b32 s22, s22
; %bb.117:                              ;   in Loop: Header=BB140_4 Depth=1
	v_and_b32_e32 v22, 0xffff, v2
	v_or_b32_e32 v32, 0x10000, v2
	s_delay_alu instid0(VALU_DEP_2) | instskip(NEXT) | instid1(VALU_DEP_2)
	v_cmp_eq_u32_e32 vcc_lo, 0, v22
	v_cndmask_b32_e32 v22, v32, v2, vcc_lo
; %bb.118:                              ;   in Loop: Header=BB140_4 Depth=1
	s_or_b32 exec_lo, exec_lo, s22
	s_delay_alu instid0(VALU_DEP_1) | instskip(NEXT) | instid1(VALU_DEP_1)
	v_fma_mix_f32_bf16 v2, s2, v23, v22 op_sel:[0,0,1] op_sel_hi:[0,0,1]
	v_and_b32_e32 v22, 0x7f800000, v2
	s_delay_alu instid0(VALU_DEP_1) | instskip(SKIP_1) | instid1(SALU_CYCLE_1)
	v_cmp_ne_u32_e32 vcc_lo, 0x7f800000, v22
                                        ; implicit-def: $vgpr22
	s_and_saveexec_b32 s22, vcc_lo
	s_xor_b32 s22, exec_lo, s22
; %bb.119:                              ;   in Loop: Header=BB140_4 Depth=1
	v_bfe_u32 v22, v2, 16, 1
	s_delay_alu instid0(VALU_DEP_1)
	v_add3_u32 v22, v2, v22, 0x7fff
                                        ; implicit-def: $vgpr2
; %bb.120:                              ;   in Loop: Header=BB140_4 Depth=1
	s_and_not1_saveexec_b32 s22, s22
; %bb.121:                              ;   in Loop: Header=BB140_4 Depth=1
	v_and_b32_e32 v22, 0xffff, v2
	v_or_b32_e32 v23, 0x10000, v2
	s_delay_alu instid0(VALU_DEP_2) | instskip(NEXT) | instid1(VALU_DEP_2)
	v_cmp_eq_u32_e32 vcc_lo, 0, v22
	v_cndmask_b32_e32 v22, v23, v2, vcc_lo
; %bb.122:                              ;   in Loop: Header=BB140_4 Depth=1
	s_or_b32 exec_lo, exec_lo, s22
	flat_store_d16_hi_b16 v[30:31], v22 offset:32
	flat_load_u16 v2, v[28:29] offset:64
	s_wait_loadcnt_dscnt 0x0
	v_lshlrev_b32_e32 v2, 16, v2
	s_delay_alu instid0(VALU_DEP_1) | instskip(SKIP_1) | instid1(VALU_DEP_1)
	v_mul_f32_e32 v2, s30, v2
	s_wait_xcnt 0x1
	v_and_b32_e32 v22, 0x7f800000, v2
	s_delay_alu instid0(VALU_DEP_1) | instskip(SKIP_2) | instid1(SALU_CYCLE_1)
	v_cmp_ne_u32_e32 vcc_lo, 0x7f800000, v22
                                        ; implicit-def: $vgpr22
	s_wait_xcnt 0x0
	s_and_saveexec_b32 s22, vcc_lo
	s_xor_b32 s22, exec_lo, s22
; %bb.123:                              ;   in Loop: Header=BB140_4 Depth=1
	v_bfe_u32 v22, v2, 16, 1
	s_delay_alu instid0(VALU_DEP_1)
	v_add3_u32 v22, v2, v22, 0x7fff
                                        ; implicit-def: $vgpr2
; %bb.124:                              ;   in Loop: Header=BB140_4 Depth=1
	s_and_not1_saveexec_b32 s22, s22
; %bb.125:                              ;   in Loop: Header=BB140_4 Depth=1
	v_and_b32_e32 v22, 0xffff, v2
	v_or_b32_e32 v23, 0x10000, v2
	s_delay_alu instid0(VALU_DEP_2) | instskip(NEXT) | instid1(VALU_DEP_2)
	v_cmp_eq_u32_e32 vcc_lo, 0, v22
	v_cndmask_b32_e32 v22, v23, v2, vcc_lo
; %bb.126:                              ;   in Loop: Header=BB140_4 Depth=1
	s_or_b32 exec_lo, exec_lo, s22
	s_delay_alu instid0(VALU_DEP_1) | instskip(NEXT) | instid1(VALU_DEP_1)
	v_fma_mix_f32_bf16 v2, s2, v20, v22 op_sel:[0,0,1] op_sel_hi:[0,0,1]
	v_and_b32_e32 v20, 0x7f800000, v2
	s_delay_alu instid0(VALU_DEP_1) | instskip(SKIP_1) | instid1(SALU_CYCLE_1)
	v_cmp_ne_u32_e32 vcc_lo, 0x7f800000, v20
                                        ; implicit-def: $vgpr20
	s_and_saveexec_b32 s22, vcc_lo
	s_xor_b32 s22, exec_lo, s22
; %bb.127:                              ;   in Loop: Header=BB140_4 Depth=1
	v_bfe_u32 v20, v2, 16, 1
	s_delay_alu instid0(VALU_DEP_1)
	v_add3_u32 v20, v2, v20, 0x7fff
                                        ; implicit-def: $vgpr2
; %bb.128:                              ;   in Loop: Header=BB140_4 Depth=1
	s_and_not1_saveexec_b32 s22, s22
; %bb.129:                              ;   in Loop: Header=BB140_4 Depth=1
	v_and_b32_e32 v20, 0xffff, v2
	v_or_b32_e32 v22, 0x10000, v2
	s_delay_alu instid0(VALU_DEP_2) | instskip(NEXT) | instid1(VALU_DEP_2)
	v_cmp_eq_u32_e32 vcc_lo, 0, v20
	v_cndmask_b32_e32 v20, v22, v2, vcc_lo
; %bb.130:                              ;   in Loop: Header=BB140_4 Depth=1
	s_or_b32 exec_lo, exec_lo, s22
	flat_store_d16_hi_b16 v[30:31], v20 offset:64
	flat_load_u16 v2, v[28:29] offset:96
	s_wait_loadcnt_dscnt 0x0
	v_lshlrev_b32_e32 v2, 16, v2
	s_delay_alu instid0(VALU_DEP_1) | instskip(SKIP_1) | instid1(VALU_DEP_1)
	v_mul_f32_e32 v2, s30, v2
	s_wait_xcnt 0x1
	v_and_b32_e32 v20, 0x7f800000, v2
	s_delay_alu instid0(VALU_DEP_1) | instskip(SKIP_2) | instid1(SALU_CYCLE_1)
	v_cmp_ne_u32_e32 vcc_lo, 0x7f800000, v20
                                        ; implicit-def: $vgpr20
	s_wait_xcnt 0x0
	s_and_saveexec_b32 s22, vcc_lo
	s_xor_b32 s22, exec_lo, s22
; %bb.131:                              ;   in Loop: Header=BB140_4 Depth=1
	v_bfe_u32 v20, v2, 16, 1
	s_delay_alu instid0(VALU_DEP_1)
	v_add3_u32 v20, v2, v20, 0x7fff
                                        ; implicit-def: $vgpr2
; %bb.132:                              ;   in Loop: Header=BB140_4 Depth=1
	s_and_not1_saveexec_b32 s22, s22
; %bb.133:                              ;   in Loop: Header=BB140_4 Depth=1
	v_and_b32_e32 v20, 0xffff, v2
	v_or_b32_e32 v22, 0x10000, v2
	s_delay_alu instid0(VALU_DEP_2) | instskip(NEXT) | instid1(VALU_DEP_2)
	v_cmp_eq_u32_e32 vcc_lo, 0, v20
	v_cndmask_b32_e32 v20, v22, v2, vcc_lo
; %bb.134:                              ;   in Loop: Header=BB140_4 Depth=1
	s_or_b32 exec_lo, exec_lo, s22
	s_delay_alu instid0(VALU_DEP_1) | instskip(SKIP_1) | instid1(VALU_DEP_1)
	v_fma_mix_f32_bf16 v2, s2, v21, v20 op_sel:[0,0,1] op_sel_hi:[0,0,1]
	s_mov_b32 s22, exec_lo
                                        ; implicit-def: $vgpr22
	v_and_b32_e32 v20, 0x7f800000, v2
	s_delay_alu instid0(VALU_DEP_1)
	v_cmpx_ne_u32_e32 0x7f800000, v20
	s_xor_b32 s22, exec_lo, s22
; %bb.135:                              ;   in Loop: Header=BB140_4 Depth=1
	v_bfe_u32 v20, v2, 16, 1
	s_delay_alu instid0(VALU_DEP_1)
	v_add3_u32 v22, v2, v20, 0x7fff
                                        ; implicit-def: $vgpr2
; %bb.136:                              ;   in Loop: Header=BB140_4 Depth=1
	s_and_not1_saveexec_b32 s22, s22
; %bb.137:                              ;   in Loop: Header=BB140_4 Depth=1
	v_and_b32_e32 v20, 0xffff, v2
	v_or_b32_e32 v21, 0x10000, v2
	s_delay_alu instid0(VALU_DEP_2) | instskip(NEXT) | instid1(VALU_DEP_2)
	v_cmp_eq_u32_e32 vcc_lo, 0, v20
	v_cndmask_b32_e32 v22, v21, v2, vcc_lo
; %bb.138:                              ;   in Loop: Header=BB140_4 Depth=1
	s_or_b32 exec_lo, exec_lo, s22
	v_lshl_add_u64 v[20:21], s[14:15], 1, v[24:25]
	flat_store_d16_hi_b16 v[30:31], v22 offset:96
	v_lshl_add_u64 v[24:25], v[0:1], 1, v[20:21]
	flat_load_u16 v2, v[24:25]
	s_wait_loadcnt_dscnt 0x0
	v_lshlrev_b32_e32 v2, 16, v2
	s_delay_alu instid0(VALU_DEP_1) | instskip(SKIP_1) | instid1(VALU_DEP_1)
	v_mul_f32_e32 v2, s30, v2
	s_wait_xcnt 0x1
	v_and_b32_e32 v22, 0x7f800000, v2
	s_delay_alu instid0(VALU_DEP_1) | instskip(SKIP_2) | instid1(SALU_CYCLE_1)
	v_cmp_ne_u32_e32 vcc_lo, 0x7f800000, v22
                                        ; implicit-def: $vgpr22
	s_wait_xcnt 0x0
	s_and_saveexec_b32 s22, vcc_lo
	s_xor_b32 s22, exec_lo, s22
; %bb.139:                              ;   in Loop: Header=BB140_4 Depth=1
	v_bfe_u32 v22, v2, 16, 1
	s_delay_alu instid0(VALU_DEP_1)
	v_add3_u32 v22, v2, v22, 0x7fff
                                        ; implicit-def: $vgpr2
; %bb.140:                              ;   in Loop: Header=BB140_4 Depth=1
	s_and_not1_saveexec_b32 s22, s22
; %bb.141:                              ;   in Loop: Header=BB140_4 Depth=1
	v_and_b32_e32 v22, 0xffff, v2
	v_or_b32_e32 v23, 0x10000, v2
	s_delay_alu instid0(VALU_DEP_2) | instskip(NEXT) | instid1(VALU_DEP_2)
	v_cmp_eq_u32_e32 vcc_lo, 0, v22
	v_cndmask_b32_e32 v22, v23, v2, vcc_lo
; %bb.142:                              ;   in Loop: Header=BB140_4 Depth=1
	s_or_b32 exec_lo, exec_lo, s22
	s_delay_alu instid0(VALU_DEP_1) | instskip(NEXT) | instid1(VALU_DEP_1)
	v_fma_mix_f32_bf16 v2, s2, v18, v22 op_sel:[0,0,1] op_sel_hi:[0,0,1]
	v_and_b32_e32 v18, 0x7f800000, v2
	s_delay_alu instid0(VALU_DEP_1) | instskip(SKIP_1) | instid1(SALU_CYCLE_1)
	v_cmp_ne_u32_e32 vcc_lo, 0x7f800000, v18
                                        ; implicit-def: $vgpr18
	s_and_saveexec_b32 s22, vcc_lo
	s_xor_b32 s22, exec_lo, s22
; %bb.143:                              ;   in Loop: Header=BB140_4 Depth=1
	v_bfe_u32 v18, v2, 16, 1
	s_delay_alu instid0(VALU_DEP_1)
	v_add3_u32 v18, v2, v18, 0x7fff
                                        ; implicit-def: $vgpr2
; %bb.144:                              ;   in Loop: Header=BB140_4 Depth=1
	s_and_not1_saveexec_b32 s22, s22
; %bb.145:                              ;   in Loop: Header=BB140_4 Depth=1
	v_and_b32_e32 v18, 0xffff, v2
	v_or_b32_e32 v22, 0x10000, v2
	s_delay_alu instid0(VALU_DEP_2) | instskip(NEXT) | instid1(VALU_DEP_2)
	v_cmp_eq_u32_e32 vcc_lo, 0, v18
	v_cndmask_b32_e32 v18, v22, v2, vcc_lo
; %bb.146:                              ;   in Loop: Header=BB140_4 Depth=1
	s_or_b32 exec_lo, exec_lo, s22
	v_lshl_add_u64 v[22:23], s[20:21], 1, v[26:27]
	s_delay_alu instid0(VALU_DEP_1) | instskip(SKIP_4) | instid1(VALU_DEP_1)
	v_lshl_add_u64 v[26:27], v[0:1], 1, v[22:23]
	flat_store_d16_hi_b16 v[26:27], v18
	flat_load_u16 v2, v[24:25] offset:32
	s_wait_loadcnt_dscnt 0x0
	v_lshlrev_b32_e32 v2, 16, v2
	v_mul_f32_e32 v2, s30, v2
	s_wait_xcnt 0x1
	s_delay_alu instid0(VALU_DEP_1) | instskip(NEXT) | instid1(VALU_DEP_1)
	v_and_b32_e32 v18, 0x7f800000, v2
	v_cmp_ne_u32_e32 vcc_lo, 0x7f800000, v18
                                        ; implicit-def: $vgpr18
	s_wait_xcnt 0x0
	s_and_saveexec_b32 s22, vcc_lo
	s_delay_alu instid0(SALU_CYCLE_1)
	s_xor_b32 s22, exec_lo, s22
; %bb.147:                              ;   in Loop: Header=BB140_4 Depth=1
	v_bfe_u32 v18, v2, 16, 1
	s_delay_alu instid0(VALU_DEP_1)
	v_add3_u32 v18, v2, v18, 0x7fff
                                        ; implicit-def: $vgpr2
; %bb.148:                              ;   in Loop: Header=BB140_4 Depth=1
	s_and_not1_saveexec_b32 s22, s22
; %bb.149:                              ;   in Loop: Header=BB140_4 Depth=1
	v_and_b32_e32 v18, 0xffff, v2
	v_or_b32_e32 v28, 0x10000, v2
	s_delay_alu instid0(VALU_DEP_2) | instskip(NEXT) | instid1(VALU_DEP_2)
	v_cmp_eq_u32_e32 vcc_lo, 0, v18
	v_cndmask_b32_e32 v18, v28, v2, vcc_lo
; %bb.150:                              ;   in Loop: Header=BB140_4 Depth=1
	s_or_b32 exec_lo, exec_lo, s22
	s_delay_alu instid0(VALU_DEP_1) | instskip(NEXT) | instid1(VALU_DEP_1)
	v_fma_mix_f32_bf16 v2, s2, v19, v18 op_sel:[0,0,1] op_sel_hi:[0,0,1]
	v_and_b32_e32 v18, 0x7f800000, v2
	s_delay_alu instid0(VALU_DEP_1) | instskip(SKIP_1) | instid1(SALU_CYCLE_1)
	v_cmp_ne_u32_e32 vcc_lo, 0x7f800000, v18
                                        ; implicit-def: $vgpr18
	s_and_saveexec_b32 s22, vcc_lo
	s_xor_b32 s22, exec_lo, s22
; %bb.151:                              ;   in Loop: Header=BB140_4 Depth=1
	v_bfe_u32 v18, v2, 16, 1
	s_delay_alu instid0(VALU_DEP_1)
	v_add3_u32 v18, v2, v18, 0x7fff
                                        ; implicit-def: $vgpr2
; %bb.152:                              ;   in Loop: Header=BB140_4 Depth=1
	s_and_not1_saveexec_b32 s22, s22
; %bb.153:                              ;   in Loop: Header=BB140_4 Depth=1
	v_and_b32_e32 v18, 0xffff, v2
	v_or_b32_e32 v19, 0x10000, v2
	s_delay_alu instid0(VALU_DEP_2) | instskip(NEXT) | instid1(VALU_DEP_2)
	v_cmp_eq_u32_e32 vcc_lo, 0, v18
	v_cndmask_b32_e32 v18, v19, v2, vcc_lo
; %bb.154:                              ;   in Loop: Header=BB140_4 Depth=1
	s_or_b32 exec_lo, exec_lo, s22
	flat_store_d16_hi_b16 v[26:27], v18 offset:32
	flat_load_u16 v2, v[24:25] offset:64
	s_wait_loadcnt_dscnt 0x0
	v_lshlrev_b32_e32 v2, 16, v2
	s_delay_alu instid0(VALU_DEP_1) | instskip(SKIP_1) | instid1(VALU_DEP_1)
	v_mul_f32_e32 v2, s30, v2
	s_wait_xcnt 0x1
	v_and_b32_e32 v18, 0x7f800000, v2
	s_delay_alu instid0(VALU_DEP_1) | instskip(SKIP_2) | instid1(SALU_CYCLE_1)
	v_cmp_ne_u32_e32 vcc_lo, 0x7f800000, v18
                                        ; implicit-def: $vgpr18
	s_wait_xcnt 0x0
	s_and_saveexec_b32 s22, vcc_lo
	s_xor_b32 s22, exec_lo, s22
; %bb.155:                              ;   in Loop: Header=BB140_4 Depth=1
	v_bfe_u32 v18, v2, 16, 1
	s_delay_alu instid0(VALU_DEP_1)
	v_add3_u32 v18, v2, v18, 0x7fff
                                        ; implicit-def: $vgpr2
; %bb.156:                              ;   in Loop: Header=BB140_4 Depth=1
	s_and_not1_saveexec_b32 s22, s22
; %bb.157:                              ;   in Loop: Header=BB140_4 Depth=1
	v_and_b32_e32 v18, 0xffff, v2
	v_or_b32_e32 v19, 0x10000, v2
	s_delay_alu instid0(VALU_DEP_2) | instskip(NEXT) | instid1(VALU_DEP_2)
	v_cmp_eq_u32_e32 vcc_lo, 0, v18
	v_cndmask_b32_e32 v18, v19, v2, vcc_lo
; %bb.158:                              ;   in Loop: Header=BB140_4 Depth=1
	s_or_b32 exec_lo, exec_lo, s22
	s_delay_alu instid0(VALU_DEP_1) | instskip(NEXT) | instid1(VALU_DEP_1)
	v_fma_mix_f32_bf16 v2, s2, v16, v18 op_sel:[0,0,1] op_sel_hi:[0,0,1]
	v_and_b32_e32 v16, 0x7f800000, v2
	s_delay_alu instid0(VALU_DEP_1) | instskip(SKIP_1) | instid1(SALU_CYCLE_1)
	v_cmp_ne_u32_e32 vcc_lo, 0x7f800000, v16
                                        ; implicit-def: $vgpr16
	s_and_saveexec_b32 s22, vcc_lo
	s_xor_b32 s22, exec_lo, s22
; %bb.159:                              ;   in Loop: Header=BB140_4 Depth=1
	v_bfe_u32 v16, v2, 16, 1
	s_delay_alu instid0(VALU_DEP_1)
	v_add3_u32 v16, v2, v16, 0x7fff
                                        ; implicit-def: $vgpr2
; %bb.160:                              ;   in Loop: Header=BB140_4 Depth=1
	s_and_not1_saveexec_b32 s22, s22
; %bb.161:                              ;   in Loop: Header=BB140_4 Depth=1
	v_and_b32_e32 v16, 0xffff, v2
	v_or_b32_e32 v18, 0x10000, v2
	s_delay_alu instid0(VALU_DEP_2) | instskip(NEXT) | instid1(VALU_DEP_2)
	v_cmp_eq_u32_e32 vcc_lo, 0, v16
	v_cndmask_b32_e32 v16, v18, v2, vcc_lo
; %bb.162:                              ;   in Loop: Header=BB140_4 Depth=1
	s_or_b32 exec_lo, exec_lo, s22
	flat_store_d16_hi_b16 v[26:27], v16 offset:64
	flat_load_u16 v2, v[24:25] offset:96
	s_wait_loadcnt_dscnt 0x0
	v_lshlrev_b32_e32 v2, 16, v2
	s_delay_alu instid0(VALU_DEP_1) | instskip(SKIP_1) | instid1(VALU_DEP_1)
	v_mul_f32_e32 v2, s30, v2
	s_wait_xcnt 0x1
	v_and_b32_e32 v16, 0x7f800000, v2
	s_delay_alu instid0(VALU_DEP_1) | instskip(SKIP_2) | instid1(SALU_CYCLE_1)
	v_cmp_ne_u32_e32 vcc_lo, 0x7f800000, v16
                                        ; implicit-def: $vgpr16
	s_wait_xcnt 0x0
	s_and_saveexec_b32 s22, vcc_lo
	s_xor_b32 s22, exec_lo, s22
; %bb.163:                              ;   in Loop: Header=BB140_4 Depth=1
	v_bfe_u32 v16, v2, 16, 1
	s_delay_alu instid0(VALU_DEP_1)
	v_add3_u32 v16, v2, v16, 0x7fff
                                        ; implicit-def: $vgpr2
; %bb.164:                              ;   in Loop: Header=BB140_4 Depth=1
	s_and_not1_saveexec_b32 s22, s22
; %bb.165:                              ;   in Loop: Header=BB140_4 Depth=1
	v_and_b32_e32 v16, 0xffff, v2
	v_or_b32_e32 v18, 0x10000, v2
	s_delay_alu instid0(VALU_DEP_2) | instskip(NEXT) | instid1(VALU_DEP_2)
	v_cmp_eq_u32_e32 vcc_lo, 0, v16
	v_cndmask_b32_e32 v16, v18, v2, vcc_lo
; %bb.166:                              ;   in Loop: Header=BB140_4 Depth=1
	s_or_b32 exec_lo, exec_lo, s22
	s_delay_alu instid0(VALU_DEP_1) | instskip(SKIP_1) | instid1(VALU_DEP_1)
	v_fma_mix_f32_bf16 v2, s2, v17, v16 op_sel:[0,0,1] op_sel_hi:[0,0,1]
	s_mov_b32 s22, exec_lo
                                        ; implicit-def: $vgpr18
	v_and_b32_e32 v16, 0x7f800000, v2
	s_delay_alu instid0(VALU_DEP_1)
	v_cmpx_ne_u32_e32 0x7f800000, v16
	s_xor_b32 s22, exec_lo, s22
; %bb.167:                              ;   in Loop: Header=BB140_4 Depth=1
	v_bfe_u32 v16, v2, 16, 1
	s_delay_alu instid0(VALU_DEP_1)
	v_add3_u32 v18, v2, v16, 0x7fff
                                        ; implicit-def: $vgpr2
; %bb.168:                              ;   in Loop: Header=BB140_4 Depth=1
	s_and_not1_saveexec_b32 s22, s22
; %bb.169:                              ;   in Loop: Header=BB140_4 Depth=1
	v_and_b32_e32 v16, 0xffff, v2
	v_or_b32_e32 v17, 0x10000, v2
	s_delay_alu instid0(VALU_DEP_2) | instskip(NEXT) | instid1(VALU_DEP_2)
	v_cmp_eq_u32_e32 vcc_lo, 0, v16
	v_cndmask_b32_e32 v18, v17, v2, vcc_lo
; %bb.170:                              ;   in Loop: Header=BB140_4 Depth=1
	s_or_b32 exec_lo, exec_lo, s22
	v_lshl_add_u64 v[16:17], s[14:15], 1, v[20:21]
	flat_store_d16_hi_b16 v[26:27], v18 offset:96
	v_lshl_add_u64 v[16:17], v[0:1], 1, v[16:17]
	flat_load_u16 v2, v[16:17]
	s_wait_loadcnt_dscnt 0x0
	v_lshlrev_b32_e32 v2, 16, v2
	s_delay_alu instid0(VALU_DEP_1) | instskip(SKIP_1) | instid1(VALU_DEP_1)
	v_mul_f32_e32 v2, s30, v2
	s_wait_xcnt 0x1
	v_and_b32_e32 v18, 0x7f800000, v2
	s_delay_alu instid0(VALU_DEP_1) | instskip(SKIP_2) | instid1(SALU_CYCLE_1)
	v_cmp_ne_u32_e32 vcc_lo, 0x7f800000, v18
                                        ; implicit-def: $vgpr18
	s_wait_xcnt 0x0
	s_and_saveexec_b32 s22, vcc_lo
	s_xor_b32 s22, exec_lo, s22
; %bb.171:                              ;   in Loop: Header=BB140_4 Depth=1
	v_bfe_u32 v18, v2, 16, 1
	s_delay_alu instid0(VALU_DEP_1)
	v_add3_u32 v18, v2, v18, 0x7fff
                                        ; implicit-def: $vgpr2
; %bb.172:                              ;   in Loop: Header=BB140_4 Depth=1
	s_and_not1_saveexec_b32 s22, s22
; %bb.173:                              ;   in Loop: Header=BB140_4 Depth=1
	v_and_b32_e32 v18, 0xffff, v2
	v_or_b32_e32 v19, 0x10000, v2
	s_delay_alu instid0(VALU_DEP_2) | instskip(NEXT) | instid1(VALU_DEP_2)
	v_cmp_eq_u32_e32 vcc_lo, 0, v18
	v_cndmask_b32_e32 v18, v19, v2, vcc_lo
; %bb.174:                              ;   in Loop: Header=BB140_4 Depth=1
	s_or_b32 exec_lo, exec_lo, s22
	s_delay_alu instid0(VALU_DEP_1) | instskip(NEXT) | instid1(VALU_DEP_1)
	v_fma_mix_f32_bf16 v2, s2, v14, v18 op_sel:[0,0,1] op_sel_hi:[0,0,1]
	v_and_b32_e32 v14, 0x7f800000, v2
	s_delay_alu instid0(VALU_DEP_1) | instskip(SKIP_1) | instid1(SALU_CYCLE_1)
	v_cmp_ne_u32_e32 vcc_lo, 0x7f800000, v14
                                        ; implicit-def: $vgpr14
	s_and_saveexec_b32 s22, vcc_lo
	s_xor_b32 s22, exec_lo, s22
; %bb.175:                              ;   in Loop: Header=BB140_4 Depth=1
	v_bfe_u32 v14, v2, 16, 1
	s_delay_alu instid0(VALU_DEP_1)
	v_add3_u32 v14, v2, v14, 0x7fff
                                        ; implicit-def: $vgpr2
; %bb.176:                              ;   in Loop: Header=BB140_4 Depth=1
	s_and_not1_saveexec_b32 s22, s22
; %bb.177:                              ;   in Loop: Header=BB140_4 Depth=1
	v_and_b32_e32 v14, 0xffff, v2
	v_or_b32_e32 v18, 0x10000, v2
	s_delay_alu instid0(VALU_DEP_2) | instskip(NEXT) | instid1(VALU_DEP_2)
	v_cmp_eq_u32_e32 vcc_lo, 0, v14
	v_cndmask_b32_e32 v14, v18, v2, vcc_lo
; %bb.178:                              ;   in Loop: Header=BB140_4 Depth=1
	s_or_b32 exec_lo, exec_lo, s22
	v_lshl_add_u64 v[18:19], s[20:21], 1, v[22:23]
	s_delay_alu instid0(VALU_DEP_1) | instskip(SKIP_4) | instid1(VALU_DEP_1)
	v_lshl_add_u64 v[18:19], v[0:1], 1, v[18:19]
	flat_store_d16_hi_b16 v[18:19], v14
	flat_load_u16 v2, v[16:17] offset:32
	s_wait_loadcnt_dscnt 0x0
	v_lshlrev_b32_e32 v2, 16, v2
	v_mul_f32_e32 v2, s30, v2
	s_wait_xcnt 0x1
	s_delay_alu instid0(VALU_DEP_1) | instskip(NEXT) | instid1(VALU_DEP_1)
	v_and_b32_e32 v14, 0x7f800000, v2
	v_cmp_ne_u32_e32 vcc_lo, 0x7f800000, v14
                                        ; implicit-def: $vgpr14
	s_wait_xcnt 0x0
	s_and_saveexec_b32 s22, vcc_lo
	s_delay_alu instid0(SALU_CYCLE_1)
	s_xor_b32 s22, exec_lo, s22
; %bb.179:                              ;   in Loop: Header=BB140_4 Depth=1
	v_bfe_u32 v14, v2, 16, 1
	s_delay_alu instid0(VALU_DEP_1)
	v_add3_u32 v14, v2, v14, 0x7fff
                                        ; implicit-def: $vgpr2
; %bb.180:                              ;   in Loop: Header=BB140_4 Depth=1
	s_and_not1_saveexec_b32 s22, s22
; %bb.181:                              ;   in Loop: Header=BB140_4 Depth=1
	v_and_b32_e32 v14, 0xffff, v2
	v_or_b32_e32 v20, 0x10000, v2
	s_delay_alu instid0(VALU_DEP_2) | instskip(NEXT) | instid1(VALU_DEP_2)
	v_cmp_eq_u32_e32 vcc_lo, 0, v14
	v_cndmask_b32_e32 v14, v20, v2, vcc_lo
; %bb.182:                              ;   in Loop: Header=BB140_4 Depth=1
	s_or_b32 exec_lo, exec_lo, s22
	s_delay_alu instid0(VALU_DEP_1) | instskip(NEXT) | instid1(VALU_DEP_1)
	v_fma_mix_f32_bf16 v2, s2, v15, v14 op_sel:[0,0,1] op_sel_hi:[0,0,1]
	v_and_b32_e32 v14, 0x7f800000, v2
	s_delay_alu instid0(VALU_DEP_1) | instskip(SKIP_1) | instid1(SALU_CYCLE_1)
	v_cmp_ne_u32_e32 vcc_lo, 0x7f800000, v14
                                        ; implicit-def: $vgpr14
	s_and_saveexec_b32 s22, vcc_lo
	s_xor_b32 s22, exec_lo, s22
; %bb.183:                              ;   in Loop: Header=BB140_4 Depth=1
	v_bfe_u32 v14, v2, 16, 1
	s_delay_alu instid0(VALU_DEP_1)
	v_add3_u32 v14, v2, v14, 0x7fff
                                        ; implicit-def: $vgpr2
; %bb.184:                              ;   in Loop: Header=BB140_4 Depth=1
	s_and_not1_saveexec_b32 s22, s22
; %bb.185:                              ;   in Loop: Header=BB140_4 Depth=1
	v_and_b32_e32 v14, 0xffff, v2
	v_or_b32_e32 v15, 0x10000, v2
	s_delay_alu instid0(VALU_DEP_2) | instskip(NEXT) | instid1(VALU_DEP_2)
	v_cmp_eq_u32_e32 vcc_lo, 0, v14
	v_cndmask_b32_e32 v14, v15, v2, vcc_lo
; %bb.186:                              ;   in Loop: Header=BB140_4 Depth=1
	s_or_b32 exec_lo, exec_lo, s22
	flat_store_d16_hi_b16 v[18:19], v14 offset:32
	flat_load_u16 v2, v[16:17] offset:64
	s_wait_loadcnt_dscnt 0x0
	v_lshlrev_b32_e32 v2, 16, v2
	s_delay_alu instid0(VALU_DEP_1) | instskip(SKIP_1) | instid1(VALU_DEP_1)
	v_mul_f32_e32 v2, s30, v2
	s_wait_xcnt 0x1
	v_and_b32_e32 v14, 0x7f800000, v2
	s_delay_alu instid0(VALU_DEP_1) | instskip(SKIP_2) | instid1(SALU_CYCLE_1)
	v_cmp_ne_u32_e32 vcc_lo, 0x7f800000, v14
                                        ; implicit-def: $vgpr14
	s_wait_xcnt 0x0
	s_and_saveexec_b32 s22, vcc_lo
	s_xor_b32 s22, exec_lo, s22
; %bb.187:                              ;   in Loop: Header=BB140_4 Depth=1
	v_bfe_u32 v14, v2, 16, 1
	s_delay_alu instid0(VALU_DEP_1)
	v_add3_u32 v14, v2, v14, 0x7fff
                                        ; implicit-def: $vgpr2
; %bb.188:                              ;   in Loop: Header=BB140_4 Depth=1
	s_and_not1_saveexec_b32 s22, s22
; %bb.189:                              ;   in Loop: Header=BB140_4 Depth=1
	v_and_b32_e32 v14, 0xffff, v2
	v_or_b32_e32 v15, 0x10000, v2
	s_delay_alu instid0(VALU_DEP_2) | instskip(NEXT) | instid1(VALU_DEP_2)
	v_cmp_eq_u32_e32 vcc_lo, 0, v14
	v_cndmask_b32_e32 v14, v15, v2, vcc_lo
; %bb.190:                              ;   in Loop: Header=BB140_4 Depth=1
	s_or_b32 exec_lo, exec_lo, s22
	s_delay_alu instid0(VALU_DEP_1) | instskip(NEXT) | instid1(VALU_DEP_1)
	v_fma_mix_f32_bf16 v2, s2, v12, v14 op_sel:[0,0,1] op_sel_hi:[0,0,1]
	v_and_b32_e32 v12, 0x7f800000, v2
	s_delay_alu instid0(VALU_DEP_1) | instskip(SKIP_1) | instid1(SALU_CYCLE_1)
	v_cmp_ne_u32_e32 vcc_lo, 0x7f800000, v12
                                        ; implicit-def: $vgpr12
	s_and_saveexec_b32 s22, vcc_lo
	s_xor_b32 s22, exec_lo, s22
; %bb.191:                              ;   in Loop: Header=BB140_4 Depth=1
	v_bfe_u32 v12, v2, 16, 1
	s_delay_alu instid0(VALU_DEP_1)
	v_add3_u32 v12, v2, v12, 0x7fff
                                        ; implicit-def: $vgpr2
; %bb.192:                              ;   in Loop: Header=BB140_4 Depth=1
	s_and_not1_saveexec_b32 s22, s22
; %bb.193:                              ;   in Loop: Header=BB140_4 Depth=1
	v_and_b32_e32 v12, 0xffff, v2
	v_or_b32_e32 v14, 0x10000, v2
	s_delay_alu instid0(VALU_DEP_2) | instskip(NEXT) | instid1(VALU_DEP_2)
	v_cmp_eq_u32_e32 vcc_lo, 0, v12
	v_cndmask_b32_e32 v12, v14, v2, vcc_lo
; %bb.194:                              ;   in Loop: Header=BB140_4 Depth=1
	s_or_b32 exec_lo, exec_lo, s22
	flat_store_d16_hi_b16 v[18:19], v12 offset:64
	flat_load_u16 v2, v[16:17] offset:96
	s_wait_loadcnt_dscnt 0x0
	v_lshlrev_b32_e32 v2, 16, v2
	s_delay_alu instid0(VALU_DEP_1) | instskip(SKIP_1) | instid1(VALU_DEP_1)
	v_mul_f32_e32 v2, s30, v2
	s_wait_xcnt 0x1
	v_and_b32_e32 v12, 0x7f800000, v2
	s_delay_alu instid0(VALU_DEP_1) | instskip(SKIP_2) | instid1(SALU_CYCLE_1)
	v_cmp_ne_u32_e32 vcc_lo, 0x7f800000, v12
                                        ; implicit-def: $vgpr12
	s_wait_xcnt 0x0
	s_and_saveexec_b32 s22, vcc_lo
	s_xor_b32 s22, exec_lo, s22
; %bb.195:                              ;   in Loop: Header=BB140_4 Depth=1
	v_bfe_u32 v12, v2, 16, 1
	s_delay_alu instid0(VALU_DEP_1)
	v_add3_u32 v12, v2, v12, 0x7fff
                                        ; implicit-def: $vgpr2
; %bb.196:                              ;   in Loop: Header=BB140_4 Depth=1
	s_and_not1_saveexec_b32 s22, s22
; %bb.197:                              ;   in Loop: Header=BB140_4 Depth=1
	v_and_b32_e32 v12, 0xffff, v2
	v_or_b32_e32 v14, 0x10000, v2
	s_delay_alu instid0(VALU_DEP_2) | instskip(NEXT) | instid1(VALU_DEP_2)
	v_cmp_eq_u32_e32 vcc_lo, 0, v12
	v_cndmask_b32_e32 v12, v14, v2, vcc_lo
; %bb.198:                              ;   in Loop: Header=BB140_4 Depth=1
	s_or_b32 exec_lo, exec_lo, s22
	s_delay_alu instid0(VALU_DEP_1) | instskip(NEXT) | instid1(VALU_DEP_1)
	v_fma_mix_f32_bf16 v2, s2, v13, v12 op_sel:[0,0,1] op_sel_hi:[0,0,1]
	v_and_b32_e32 v12, 0x7f800000, v2
	s_delay_alu instid0(VALU_DEP_1) | instskip(SKIP_1) | instid1(SALU_CYCLE_1)
	v_cmp_ne_u32_e32 vcc_lo, 0x7f800000, v12
                                        ; implicit-def: $vgpr12
	s_and_saveexec_b32 s22, vcc_lo
	s_xor_b32 s22, exec_lo, s22
; %bb.199:                              ;   in Loop: Header=BB140_4 Depth=1
	v_bfe_u32 v12, v2, 16, 1
	s_delay_alu instid0(VALU_DEP_1)
	v_add3_u32 v12, v2, v12, 0x7fff
                                        ; implicit-def: $vgpr2
; %bb.200:                              ;   in Loop: Header=BB140_4 Depth=1
	s_and_not1_saveexec_b32 s22, s22
	s_cbranch_execz .LBB140_2
; %bb.201:                              ;   in Loop: Header=BB140_4 Depth=1
	v_and_b32_e32 v12, 0xffff, v2
	v_or_b32_e32 v13, 0x10000, v2
	s_delay_alu instid0(VALU_DEP_2) | instskip(NEXT) | instid1(VALU_DEP_2)
	v_cmp_eq_u32_e32 vcc_lo, 0, v12
	v_cndmask_b32_e32 v12, v13, v2, vcc_lo
	s_branch .LBB140_2
.LBB140_202:
	s_sendmsg sendmsg(MSG_DEALLOC_VGPRS)
	s_endpgm
	.section	.rodata,"a",@progbits
	.p2align	6, 0x0
	.amdhsa_kernel _ZN12_GLOBAL__N_127rocblas_gemm_batched_kernelIfLi16ELi16ELi64ELi64ELi4ELi64ELi4ELi4ELi64ELc78ELc78EKPK16rocblas_bfloat16S4_KPS1_EEvlllT_PT11_llS9_llS7_PT12_llPT13_lli
		.amdhsa_group_segment_fixed_size 2048
		.amdhsa_private_segment_fixed_size 0
		.amdhsa_kernarg_size 140
		.amdhsa_user_sgpr_count 2
		.amdhsa_user_sgpr_dispatch_ptr 0
		.amdhsa_user_sgpr_queue_ptr 0
		.amdhsa_user_sgpr_kernarg_segment_ptr 1
		.amdhsa_user_sgpr_dispatch_id 0
		.amdhsa_user_sgpr_kernarg_preload_length 0
		.amdhsa_user_sgpr_kernarg_preload_offset 0
		.amdhsa_user_sgpr_private_segment_size 0
		.amdhsa_wavefront_size32 1
		.amdhsa_uses_dynamic_stack 0
		.amdhsa_enable_private_segment 0
		.amdhsa_system_sgpr_workgroup_id_x 1
		.amdhsa_system_sgpr_workgroup_id_y 1
		.amdhsa_system_sgpr_workgroup_id_z 1
		.amdhsa_system_sgpr_workgroup_info 0
		.amdhsa_system_vgpr_workitem_id 1
		.amdhsa_next_free_vgpr 74
		.amdhsa_next_free_sgpr 38
		.amdhsa_named_barrier_count 0
		.amdhsa_reserve_vcc 1
		.amdhsa_float_round_mode_32 0
		.amdhsa_float_round_mode_16_64 0
		.amdhsa_float_denorm_mode_32 3
		.amdhsa_float_denorm_mode_16_64 3
		.amdhsa_fp16_overflow 0
		.amdhsa_memory_ordered 1
		.amdhsa_forward_progress 1
		.amdhsa_inst_pref_size 55
		.amdhsa_round_robin_scheduling 0
		.amdhsa_exception_fp_ieee_invalid_op 0
		.amdhsa_exception_fp_denorm_src 0
		.amdhsa_exception_fp_ieee_div_zero 0
		.amdhsa_exception_fp_ieee_overflow 0
		.amdhsa_exception_fp_ieee_underflow 0
		.amdhsa_exception_fp_ieee_inexact 0
		.amdhsa_exception_int_div_zero 0
	.end_amdhsa_kernel
	.section	.text._ZN12_GLOBAL__N_127rocblas_gemm_batched_kernelIfLi16ELi16ELi64ELi64ELi4ELi64ELi4ELi4ELi64ELc78ELc78EKPK16rocblas_bfloat16S4_KPS1_EEvlllT_PT11_llS9_llS7_PT12_llPT13_lli,"axG",@progbits,_ZN12_GLOBAL__N_127rocblas_gemm_batched_kernelIfLi16ELi16ELi64ELi64ELi4ELi64ELi4ELi4ELi64ELc78ELc78EKPK16rocblas_bfloat16S4_KPS1_EEvlllT_PT11_llS9_llS7_PT12_llPT13_lli,comdat
.Lfunc_end140:
	.size	_ZN12_GLOBAL__N_127rocblas_gemm_batched_kernelIfLi16ELi16ELi64ELi64ELi4ELi64ELi4ELi4ELi64ELc78ELc78EKPK16rocblas_bfloat16S4_KPS1_EEvlllT_PT11_llS9_llS7_PT12_llPT13_lli, .Lfunc_end140-_ZN12_GLOBAL__N_127rocblas_gemm_batched_kernelIfLi16ELi16ELi64ELi64ELi4ELi64ELi4ELi4ELi64ELc78ELc78EKPK16rocblas_bfloat16S4_KPS1_EEvlllT_PT11_llS9_llS7_PT12_llPT13_lli
                                        ; -- End function
	.set _ZN12_GLOBAL__N_127rocblas_gemm_batched_kernelIfLi16ELi16ELi64ELi64ELi4ELi64ELi4ELi4ELi64ELc78ELc78EKPK16rocblas_bfloat16S4_KPS1_EEvlllT_PT11_llS9_llS7_PT12_llPT13_lli.num_vgpr, 74
	.set _ZN12_GLOBAL__N_127rocblas_gemm_batched_kernelIfLi16ELi16ELi64ELi64ELi4ELi64ELi4ELi4ELi64ELc78ELc78EKPK16rocblas_bfloat16S4_KPS1_EEvlllT_PT11_llS9_llS7_PT12_llPT13_lli.num_agpr, 0
	.set _ZN12_GLOBAL__N_127rocblas_gemm_batched_kernelIfLi16ELi16ELi64ELi64ELi4ELi64ELi4ELi4ELi64ELc78ELc78EKPK16rocblas_bfloat16S4_KPS1_EEvlllT_PT11_llS9_llS7_PT12_llPT13_lli.numbered_sgpr, 38
	.set _ZN12_GLOBAL__N_127rocblas_gemm_batched_kernelIfLi16ELi16ELi64ELi64ELi4ELi64ELi4ELi4ELi64ELc78ELc78EKPK16rocblas_bfloat16S4_KPS1_EEvlllT_PT11_llS9_llS7_PT12_llPT13_lli.num_named_barrier, 0
	.set _ZN12_GLOBAL__N_127rocblas_gemm_batched_kernelIfLi16ELi16ELi64ELi64ELi4ELi64ELi4ELi4ELi64ELc78ELc78EKPK16rocblas_bfloat16S4_KPS1_EEvlllT_PT11_llS9_llS7_PT12_llPT13_lli.private_seg_size, 0
	.set _ZN12_GLOBAL__N_127rocblas_gemm_batched_kernelIfLi16ELi16ELi64ELi64ELi4ELi64ELi4ELi4ELi64ELc78ELc78EKPK16rocblas_bfloat16S4_KPS1_EEvlllT_PT11_llS9_llS7_PT12_llPT13_lli.uses_vcc, 1
	.set _ZN12_GLOBAL__N_127rocblas_gemm_batched_kernelIfLi16ELi16ELi64ELi64ELi4ELi64ELi4ELi4ELi64ELc78ELc78EKPK16rocblas_bfloat16S4_KPS1_EEvlllT_PT11_llS9_llS7_PT12_llPT13_lli.uses_flat_scratch, 0
	.set _ZN12_GLOBAL__N_127rocblas_gemm_batched_kernelIfLi16ELi16ELi64ELi64ELi4ELi64ELi4ELi4ELi64ELc78ELc78EKPK16rocblas_bfloat16S4_KPS1_EEvlllT_PT11_llS9_llS7_PT12_llPT13_lli.has_dyn_sized_stack, 0
	.set _ZN12_GLOBAL__N_127rocblas_gemm_batched_kernelIfLi16ELi16ELi64ELi64ELi4ELi64ELi4ELi4ELi64ELc78ELc78EKPK16rocblas_bfloat16S4_KPS1_EEvlllT_PT11_llS9_llS7_PT12_llPT13_lli.has_recursion, 0
	.set _ZN12_GLOBAL__N_127rocblas_gemm_batched_kernelIfLi16ELi16ELi64ELi64ELi4ELi64ELi4ELi4ELi64ELc78ELc78EKPK16rocblas_bfloat16S4_KPS1_EEvlllT_PT11_llS9_llS7_PT12_llPT13_lli.has_indirect_call, 0
	.section	.AMDGPU.csdata,"",@progbits
; Kernel info:
; codeLenInByte = 6988
; TotalNumSgprs: 40
; NumVgprs: 74
; ScratchSize: 0
; MemoryBound: 0
; FloatMode: 240
; IeeeMode: 1
; LDSByteSize: 2048 bytes/workgroup (compile time only)
; SGPRBlocks: 0
; VGPRBlocks: 4
; NumSGPRsForWavesPerEU: 40
; NumVGPRsForWavesPerEU: 74
; NamedBarCnt: 0
; Occupancy: 12
; WaveLimiterHint : 1
; COMPUTE_PGM_RSRC2:SCRATCH_EN: 0
; COMPUTE_PGM_RSRC2:USER_SGPR: 2
; COMPUTE_PGM_RSRC2:TRAP_HANDLER: 0
; COMPUTE_PGM_RSRC2:TGID_X_EN: 1
; COMPUTE_PGM_RSRC2:TGID_Y_EN: 1
; COMPUTE_PGM_RSRC2:TGID_Z_EN: 1
; COMPUTE_PGM_RSRC2:TIDIG_COMP_CNT: 1
	.section	.text._ZN12_GLOBAL__N_127rocblas_gemm_batched_kernelIfLi16ELi16ELi64ELi64ELi4ELi64ELi4ELi4ELi64ELc84ELc78EKPK16rocblas_bfloat16S4_KPS1_EEvlllT_PT11_llS9_llS7_PT12_llPT13_lli,"axG",@progbits,_ZN12_GLOBAL__N_127rocblas_gemm_batched_kernelIfLi16ELi16ELi64ELi64ELi4ELi64ELi4ELi4ELi64ELc84ELc78EKPK16rocblas_bfloat16S4_KPS1_EEvlllT_PT11_llS9_llS7_PT12_llPT13_lli,comdat
	.globl	_ZN12_GLOBAL__N_127rocblas_gemm_batched_kernelIfLi16ELi16ELi64ELi64ELi4ELi64ELi4ELi4ELi64ELc84ELc78EKPK16rocblas_bfloat16S4_KPS1_EEvlllT_PT11_llS9_llS7_PT12_llPT13_lli ; -- Begin function _ZN12_GLOBAL__N_127rocblas_gemm_batched_kernelIfLi16ELi16ELi64ELi64ELi4ELi64ELi4ELi4ELi64ELc84ELc78EKPK16rocblas_bfloat16S4_KPS1_EEvlllT_PT11_llS9_llS7_PT12_llPT13_lli
	.p2align	8
	.type	_ZN12_GLOBAL__N_127rocblas_gemm_batched_kernelIfLi16ELi16ELi64ELi64ELi4ELi64ELi4ELi4ELi64ELc84ELc78EKPK16rocblas_bfloat16S4_KPS1_EEvlllT_PT11_llS9_llS7_PT12_llPT13_lli,@function
_ZN12_GLOBAL__N_127rocblas_gemm_batched_kernelIfLi16ELi16ELi64ELi64ELi4ELi64ELi4ELi4ELi64ELc84ELc78EKPK16rocblas_bfloat16S4_KPS1_EEvlllT_PT11_llS9_llS7_PT12_llPT13_lli: ; @_ZN12_GLOBAL__N_127rocblas_gemm_batched_kernelIfLi16ELi16ELi64ELi64ELi4ELi64ELi4ELi4ELi64ELc84ELc78EKPK16rocblas_bfloat16S4_KPS1_EEvlllT_PT11_llS9_llS7_PT12_llPT13_lli
; %bb.0:
	s_load_b32 s3, s[0:1], 0x88
	s_bfe_u32 s2, ttmp6, 0x40014
	s_lshr_b32 s4, ttmp7, 16
	s_add_co_i32 s2, s2, 1
	s_bfe_u32 s6, ttmp6, 0x40008
	s_mul_i32 s5, s4, s2
	s_getreg_b32 s2, hwreg(HW_REG_IB_STS2, 6, 4)
	s_add_co_i32 s6, s6, s5
	s_cmp_eq_u32 s2, 0
	s_mov_b32 s29, 0
	s_cselect_b32 s28, s4, s6
	s_wait_kmcnt 0x0
	s_cmp_ge_i32 s28, s3
	s_cbranch_scc1 .LBB141_202
; %bb.1:
	v_bfe_u32 v2, v0, 10, 10
	v_and_b32_e32 v8, 0x3ff, v0
	s_bfe_u32 s13, ttmp6, 0x4000c
	s_bfe_u32 s15, ttmp6, 0x40010
	s_clause 0x2
	s_load_b256 s[4:11], s[0:1], 0x20
	s_load_b128 s[20:23], s[0:1], 0x40
	s_load_b32 s30, s[0:1], 0x50
	v_dual_mov_b32 v3, 0 :: v_dual_lshlrev_b32 v16, 4, v2
	s_and_b32 s14, ttmp7, 0xffff
	s_add_co_i32 s13, s13, 1
	s_add_co_i32 s15, s15, 1
	s_delay_alu instid0(VALU_DEP_1)
	v_dual_add_nc_u32 v1, v16, v8 :: v_dual_mov_b32 v11, v3
	s_and_b32 s12, ttmp6, 15
	s_mul_i32 s13, ttmp9, s13
	s_mul_i32 s15, s14, s15
	s_bfe_u32 s16, ttmp6, 0x40004
	s_add_co_i32 s12, s12, s13
	s_add_co_i32 s16, s16, s15
	s_cmp_eq_u32 s2, 0
	v_dual_lshrrev_b32 v10, 2, v1 :: v_dual_bitop2_b32 v17, 63, v1 bitop3:0x40
	s_cselect_b32 s2, s14, s16
	s_cselect_b32 s12, ttmp9, s12
	s_lshl_b32 s34, s2, 6
	s_mov_b32 s35, s29
	s_ashr_i32 s13, s12, 31
	v_add_nc_u64_e32 v[4:5], s[34:35], v[10:11]
	s_load_b128 s[24:27], s[0:1], 0x78
	s_lshl_b64 s[36:37], s[12:13], 6
	s_load_b256 s[12:19], s[0:1], 0x58
	v_dual_mov_b32 v7, s37 :: v_dual_bitop2_b32 v6, s36, v17 bitop3:0x54
	v_dual_mov_b32 v9, v3 :: v_dual_bitop2_b32 v0, 3, v0 bitop3:0x40
	s_wait_kmcnt 0x0
	v_mul_u64_e32 v[12:13], s[20:21], v[4:5]
	s_load_b96 s[0:2], s[0:1], 0x10
	v_mul_u64_e32 v[14:15], s[6:7], v[6:7]
	v_add_nc_u64_e32 v[6:7], s[34:35], v[2:3]
	s_cmp_eq_f32 s30, 0
	v_dual_lshlrev_b32 v2, 2, v0 :: v_dual_lshrrev_b32 v18, 6, v1
	v_lshlrev_b32_e32 v11, 2, v17
	s_cselect_b32 s31, -1, 0
	s_lshl_b64 s[6:7], s[22:23], 1
	s_delay_alu instid0(VALU_DEP_2)
	v_lshl_or_b32 v10, v10, 4, v2
	v_lshlrev_b32_e32 v2, 1, v0
	v_lshl_or_b32 v36, v18, 8, v11
	v_mul_u64_e32 v[4:5], s[24:25], v[6:7]
	v_add_nc_u32_e32 v39, 0x400, v16
	v_mul_u64_e32 v[6:7], s[14:15], v[6:7]
	v_add_nc_u32_e32 v37, 0x400, v10
	s_lshl_b64 s[16:17], s[16:17], 1
	v_lshlrev_b32_e32 v38, 2, v8
	v_add_nc_u64_e32 v[8:9], s[36:37], v[8:9]
	s_wait_kmcnt 0x0
	v_cmp_gt_i64_e64 s22, s[0:1], 0
	v_lshl_add_u64 v[0:1], v[12:13], 1, s[6:7]
	s_lshl_b64 s[6:7], s[8:9], 1
	s_lshl_b64 s[8:9], s[14:15], 4
	v_lshl_add_u64 v[10:11], v[14:15], 1, s[6:7]
	s_lshl_b64 s[6:7], s[24:25], 4
	v_add_nc_u64_e32 v[0:1], v[0:1], v[2:3]
	v_lshlrev_b32_e32 v2, 1, v18
	s_lshl_b64 s[14:15], s[26:27], 1
	s_delay_alu instid0(VALU_DEP_1)
	v_add_nc_u64_e32 v[10:11], v[10:11], v[2:3]
	s_branch .LBB141_4
.LBB141_2:                              ;   in Loop: Header=BB141_4 Depth=1
	s_or_b32 exec_lo, exec_lo, s20
	flat_store_d16_hi_b16 v[18:19], v12 offset:96
.LBB141_3:                              ;   in Loop: Header=BB141_4 Depth=1
	s_add_co_i32 s28, s28, 0x10000
	s_delay_alu instid0(SALU_CYCLE_1)
	s_cmp_lt_i32 s28, s3
	s_cbranch_scc0 .LBB141_202
.LBB141_4:                              ; =>This Loop Header: Depth=1
                                        ;     Child Loop BB141_6 Depth 2
	s_wait_xcnt 0x0
	v_dual_mov_b32 v2, s28 :: v_dual_mov_b32 v27, 0
	v_dual_mov_b32 v26, 0 :: v_dual_mov_b32 v25, 0
	;; [unrolled: 1-line block ×3, first 2 shown]
	s_clause 0x1
	global_load_b64 v[28:29], v2, s[12:13] scale_offset
	global_load_b64 v[30:31], v2, s[18:19] scale_offset
	v_dual_mov_b32 v22, 0 :: v_dual_mov_b32 v21, 0
	s_wait_xcnt 0x2
	v_dual_mov_b32 v20, 0 :: v_dual_mov_b32 v19, 0
	v_dual_mov_b32 v18, 0 :: v_dual_mov_b32 v17, 0
	;; [unrolled: 1-line block ×4, first 2 shown]
	v_mov_b32_e32 v12, 0
	s_and_not1_b32 vcc_lo, exec_lo, s22
	s_cbranch_vccnz .LBB141_7
; %bb.5:                                ;   in Loop: Header=BB141_4 Depth=1
	s_lshl_b64 s[20:21], s[28:29], 3
	v_mov_b32_e32 v12, 0
	s_add_nc_u64 s[24:25], s[10:11], s[20:21]
	s_add_nc_u64 s[20:21], s[4:5], s[20:21]
	s_clause 0x1
	global_load_b64 v[26:27], v3, s[24:25]
	global_load_b64 v[34:35], v3, s[20:21]
	s_wait_xcnt 0x0
	s_mov_b64 s[20:21], 0
	v_dual_mov_b32 v13, v12 :: v_dual_mov_b32 v14, v12
	v_dual_mov_b32 v15, v12 :: v_dual_mov_b32 v16, v12
	v_dual_mov_b32 v17, v12 :: v_dual_mov_b32 v18, v12
	v_dual_mov_b32 v19, v12 :: v_dual_mov_b32 v20, v12
	v_dual_mov_b32 v21, v12 :: v_dual_mov_b32 v22, v12
	v_dual_mov_b32 v23, v12 :: v_dual_mov_b32 v24, v12
	v_mov_b32_e32 v25, v12
	s_wait_loadcnt 0x1
	v_add_nc_u64_e32 v[32:33], v[26:27], v[0:1]
	s_wait_loadcnt 0x0
	v_add_nc_u64_e32 v[34:35], v[34:35], v[10:11]
	v_dual_mov_b32 v26, v12 :: v_dual_mov_b32 v27, v12
.LBB141_6:                              ;   Parent Loop BB141_4 Depth=1
                                        ; =>  This Inner Loop Header: Depth=2
	flat_load_u16 v2, v[34:35]
	flat_load_u16 v40, v[32:33]
	s_add_nc_u64 s[20:21], s[20:21], 4
	s_wait_xcnt 0x0
	v_add_nc_u64_e32 v[32:33], 8, v[32:33]
	v_cmp_lt_i64_e64 s23, s[20:21], s[0:1]
	v_add_nc_u64_e32 v[34:35], 8, v[34:35]
	s_and_b32 vcc_lo, exec_lo, s23
	s_wait_loadcnt_dscnt 0x0
	v_dual_lshlrev_b32 v2, 16, v2 :: v_dual_lshlrev_b32 v40, 16, v40
	ds_store_b32 v36, v2
	ds_store_b32 v37, v40
	s_wait_dscnt 0x0
	s_barrier_signal -1
	s_barrier_wait -1
	ds_load_b128 v[40:43], v39
	ds_load_2addr_b32 v[56:57], v38 offset1:16
	ds_load_2addr_b32 v[58:59], v38 offset0:32 offset1:48
	ds_load_b128 v[44:47], v39 offset:256
	ds_load_b128 v[48:51], v39 offset:512
	;; [unrolled: 1-line block ×3, first 2 shown]
	ds_load_2addr_b32 v[60:61], v38 offset0:64 offset1:80
	ds_load_2addr_b32 v[62:63], v38 offset0:96 offset1:112
	;; [unrolled: 1-line block ×6, first 2 shown]
	s_wait_dscnt 0x0
	s_barrier_signal -1
	s_barrier_wait -1
	v_mov_b32_e32 v2, v43
	v_pk_fma_f32 v[26:27], v[56:57], v[40:41], v[26:27] op_sel_hi:[1,0,1]
	v_pk_fma_f32 v[24:25], v[58:59], v[40:41], v[24:25] op_sel_hi:[1,0,1]
	;; [unrolled: 1-line block ×8, first 2 shown]
	v_pk_fma_f32 v[26:27], v[60:61], v[40:41], v[26:27] op_sel:[0,1,0]
	v_pk_fma_f32 v[24:25], v[62:63], v[40:41], v[24:25] op_sel:[0,1,0]
	;; [unrolled: 1-line block ×8, first 2 shown]
	v_dual_mov_b32 v56, v47 :: v_dual_mov_b32 v58, v51
	v_mov_b32_e32 v72, v55
	v_pk_fma_f32 v[26:27], v[64:65], v[42:43], v[26:27] op_sel_hi:[1,0,1]
	v_pk_fma_f32 v[24:25], v[66:67], v[42:43], v[24:25] op_sel_hi:[1,0,1]
	;; [unrolled: 1-line block ×16, first 2 shown]
	s_cbranch_vccnz .LBB141_6
.LBB141_7:                              ;   in Loop: Header=BB141_4 Depth=1
	s_wait_loadcnt 0x0
	v_add_nc_u64_e32 v[30:31], s[14:15], v[30:31]
	s_and_not1_b32 vcc_lo, exec_lo, s31
	s_cbranch_vccnz .LBB141_73
; %bb.8:                                ;   in Loop: Header=BB141_4 Depth=1
	v_mul_f32_e32 v32, s2, v26
	s_wait_xcnt 0x0
	s_delay_alu instid0(VALU_DEP_1) | instskip(NEXT) | instid1(VALU_DEP_1)
	v_and_b32_e32 v2, 0x7f800000, v32
	v_cmp_ne_u32_e32 vcc_lo, 0x7f800000, v2
                                        ; implicit-def: $vgpr2
	s_and_saveexec_b32 s20, vcc_lo
	s_delay_alu instid0(SALU_CYCLE_1)
	s_xor_b32 s20, exec_lo, s20
; %bb.9:                                ;   in Loop: Header=BB141_4 Depth=1
	v_bfe_u32 v2, v32, 16, 1
	s_delay_alu instid0(VALU_DEP_1)
	v_add3_u32 v2, v32, v2, 0x7fff
                                        ; implicit-def: $vgpr32
; %bb.10:                               ;   in Loop: Header=BB141_4 Depth=1
	s_and_not1_saveexec_b32 s20, s20
; %bb.11:                               ;   in Loop: Header=BB141_4 Depth=1
	v_and_b32_e32 v2, 0xffff, v32
	v_or_b32_e32 v33, 0x10000, v32
	s_delay_alu instid0(VALU_DEP_2) | instskip(NEXT) | instid1(VALU_DEP_2)
	v_cmp_eq_u32_e32 vcc_lo, 0, v2
	v_cndmask_b32_e32 v2, v33, v32, vcc_lo
; %bb.12:                               ;   in Loop: Header=BB141_4 Depth=1
	s_or_b32 exec_lo, exec_lo, s20
	v_mul_f32_e32 v40, s2, v27
	v_lshl_add_u64 v[32:33], v[4:5], 1, v[30:31]
	s_delay_alu instid0(VALU_DEP_2) | instskip(NEXT) | instid1(VALU_DEP_2)
	v_and_b32_e32 v41, 0x7f800000, v40
	v_lshl_add_u64 v[34:35], v[8:9], 1, v[32:33]
	s_delay_alu instid0(VALU_DEP_2) | instskip(SKIP_3) | instid1(SALU_CYCLE_1)
	v_cmp_ne_u32_e32 vcc_lo, 0x7f800000, v41
	flat_store_d16_hi_b16 v[34:35], v2
                                        ; implicit-def: $vgpr41
	s_wait_xcnt 0x0
	s_and_saveexec_b32 s20, vcc_lo
	s_xor_b32 s20, exec_lo, s20
; %bb.13:                               ;   in Loop: Header=BB141_4 Depth=1
	v_bfe_u32 v2, v40, 16, 1
	s_delay_alu instid0(VALU_DEP_1)
	v_add3_u32 v41, v40, v2, 0x7fff
                                        ; implicit-def: $vgpr40
; %bb.14:                               ;   in Loop: Header=BB141_4 Depth=1
	s_and_not1_saveexec_b32 s20, s20
; %bb.15:                               ;   in Loop: Header=BB141_4 Depth=1
	v_and_b32_e32 v2, 0xffff, v40
	v_or_b32_e32 v41, 0x10000, v40
	s_delay_alu instid0(VALU_DEP_2) | instskip(NEXT) | instid1(VALU_DEP_2)
	v_cmp_eq_u32_e32 vcc_lo, 0, v2
	v_cndmask_b32_e32 v41, v41, v40, vcc_lo
; %bb.16:                               ;   in Loop: Header=BB141_4 Depth=1
	s_or_b32 exec_lo, exec_lo, s20
	v_mul_f32_e32 v2, s2, v24
	flat_store_d16_hi_b16 v[34:35], v41 offset:32
	v_and_b32_e32 v40, 0x7f800000, v2
	s_delay_alu instid0(VALU_DEP_1) | instskip(SKIP_2) | instid1(SALU_CYCLE_1)
	v_cmp_ne_u32_e32 vcc_lo, 0x7f800000, v40
                                        ; implicit-def: $vgpr40
	s_wait_xcnt 0x0
	s_and_saveexec_b32 s20, vcc_lo
	s_xor_b32 s20, exec_lo, s20
; %bb.17:                               ;   in Loop: Header=BB141_4 Depth=1
	v_bfe_u32 v40, v2, 16, 1
	s_delay_alu instid0(VALU_DEP_1)
	v_add3_u32 v40, v2, v40, 0x7fff
                                        ; implicit-def: $vgpr2
; %bb.18:                               ;   in Loop: Header=BB141_4 Depth=1
	s_and_not1_saveexec_b32 s20, s20
; %bb.19:                               ;   in Loop: Header=BB141_4 Depth=1
	v_and_b32_e32 v40, 0xffff, v2
	v_or_b32_e32 v41, 0x10000, v2
	s_delay_alu instid0(VALU_DEP_2) | instskip(NEXT) | instid1(VALU_DEP_2)
	v_cmp_eq_u32_e32 vcc_lo, 0, v40
	v_cndmask_b32_e32 v40, v41, v2, vcc_lo
; %bb.20:                               ;   in Loop: Header=BB141_4 Depth=1
	s_or_b32 exec_lo, exec_lo, s20
	v_mul_f32_e32 v2, s2, v25
	flat_store_d16_hi_b16 v[34:35], v40 offset:64
	v_and_b32_e32 v41, 0x7f800000, v2
	s_delay_alu instid0(VALU_DEP_1) | instskip(SKIP_2) | instid1(SALU_CYCLE_1)
	v_cmp_ne_u32_e32 vcc_lo, 0x7f800000, v41
                                        ; implicit-def: $vgpr41
	s_wait_xcnt 0x0
	s_and_saveexec_b32 s20, vcc_lo
	s_xor_b32 s20, exec_lo, s20
; %bb.21:                               ;   in Loop: Header=BB141_4 Depth=1
	v_bfe_u32 v40, v2, 16, 1
	s_delay_alu instid0(VALU_DEP_1)
	v_add3_u32 v41, v2, v40, 0x7fff
                                        ; implicit-def: $vgpr2
; %bb.22:                               ;   in Loop: Header=BB141_4 Depth=1
	s_and_not1_saveexec_b32 s20, s20
; %bb.23:                               ;   in Loop: Header=BB141_4 Depth=1
	v_and_b32_e32 v40, 0xffff, v2
	v_or_b32_e32 v41, 0x10000, v2
	s_delay_alu instid0(VALU_DEP_2) | instskip(NEXT) | instid1(VALU_DEP_2)
	v_cmp_eq_u32_e32 vcc_lo, 0, v40
	v_cndmask_b32_e32 v41, v41, v2, vcc_lo
; %bb.24:                               ;   in Loop: Header=BB141_4 Depth=1
	s_or_b32 exec_lo, exec_lo, s20
	v_mul_f32_e32 v40, s2, v22
	flat_store_d16_hi_b16 v[34:35], v41 offset:96
	v_and_b32_e32 v2, 0x7f800000, v40
	s_delay_alu instid0(VALU_DEP_1) | instskip(SKIP_2) | instid1(SALU_CYCLE_1)
	v_cmp_ne_u32_e32 vcc_lo, 0x7f800000, v2
                                        ; implicit-def: $vgpr2
	s_wait_xcnt 0x0
	s_and_saveexec_b32 s20, vcc_lo
	s_xor_b32 s20, exec_lo, s20
; %bb.25:                               ;   in Loop: Header=BB141_4 Depth=1
	v_bfe_u32 v2, v40, 16, 1
	s_delay_alu instid0(VALU_DEP_1)
	v_add3_u32 v2, v40, v2, 0x7fff
                                        ; implicit-def: $vgpr40
; %bb.26:                               ;   in Loop: Header=BB141_4 Depth=1
	s_and_not1_saveexec_b32 s20, s20
; %bb.27:                               ;   in Loop: Header=BB141_4 Depth=1
	v_and_b32_e32 v2, 0xffff, v40
	v_or_b32_e32 v34, 0x10000, v40
	s_delay_alu instid0(VALU_DEP_2) | instskip(NEXT) | instid1(VALU_DEP_2)
	v_cmp_eq_u32_e32 vcc_lo, 0, v2
	v_cndmask_b32_e32 v2, v34, v40, vcc_lo
; %bb.28:                               ;   in Loop: Header=BB141_4 Depth=1
	s_or_b32 exec_lo, exec_lo, s20
	v_mul_f32_e32 v40, s2, v23
	v_lshl_add_u64 v[32:33], s[6:7], 1, v[32:33]
	s_delay_alu instid0(VALU_DEP_2) | instskip(NEXT) | instid1(VALU_DEP_2)
	v_and_b32_e32 v41, 0x7f800000, v40
	v_lshl_add_u64 v[34:35], v[8:9], 1, v[32:33]
	s_delay_alu instid0(VALU_DEP_2) | instskip(SKIP_3) | instid1(SALU_CYCLE_1)
	v_cmp_ne_u32_e32 vcc_lo, 0x7f800000, v41
	flat_store_d16_hi_b16 v[34:35], v2
                                        ; implicit-def: $vgpr41
	s_wait_xcnt 0x0
	s_and_saveexec_b32 s20, vcc_lo
	s_xor_b32 s20, exec_lo, s20
; %bb.29:                               ;   in Loop: Header=BB141_4 Depth=1
	v_bfe_u32 v2, v40, 16, 1
	s_delay_alu instid0(VALU_DEP_1)
	v_add3_u32 v41, v40, v2, 0x7fff
                                        ; implicit-def: $vgpr40
; %bb.30:                               ;   in Loop: Header=BB141_4 Depth=1
	s_and_not1_saveexec_b32 s20, s20
; %bb.31:                               ;   in Loop: Header=BB141_4 Depth=1
	v_and_b32_e32 v2, 0xffff, v40
	v_or_b32_e32 v41, 0x10000, v40
	s_delay_alu instid0(VALU_DEP_2) | instskip(NEXT) | instid1(VALU_DEP_2)
	v_cmp_eq_u32_e32 vcc_lo, 0, v2
	v_cndmask_b32_e32 v41, v41, v40, vcc_lo
; %bb.32:                               ;   in Loop: Header=BB141_4 Depth=1
	s_or_b32 exec_lo, exec_lo, s20
	v_mul_f32_e32 v2, s2, v20
	flat_store_d16_hi_b16 v[34:35], v41 offset:32
	v_and_b32_e32 v40, 0x7f800000, v2
	s_delay_alu instid0(VALU_DEP_1) | instskip(SKIP_2) | instid1(SALU_CYCLE_1)
	v_cmp_ne_u32_e32 vcc_lo, 0x7f800000, v40
                                        ; implicit-def: $vgpr40
	s_wait_xcnt 0x0
	s_and_saveexec_b32 s20, vcc_lo
	s_xor_b32 s20, exec_lo, s20
; %bb.33:                               ;   in Loop: Header=BB141_4 Depth=1
	v_bfe_u32 v40, v2, 16, 1
	s_delay_alu instid0(VALU_DEP_1)
	v_add3_u32 v40, v2, v40, 0x7fff
                                        ; implicit-def: $vgpr2
; %bb.34:                               ;   in Loop: Header=BB141_4 Depth=1
	s_and_not1_saveexec_b32 s20, s20
; %bb.35:                               ;   in Loop: Header=BB141_4 Depth=1
	v_and_b32_e32 v40, 0xffff, v2
	v_or_b32_e32 v41, 0x10000, v2
	s_delay_alu instid0(VALU_DEP_2) | instskip(NEXT) | instid1(VALU_DEP_2)
	v_cmp_eq_u32_e32 vcc_lo, 0, v40
	v_cndmask_b32_e32 v40, v41, v2, vcc_lo
; %bb.36:                               ;   in Loop: Header=BB141_4 Depth=1
	s_or_b32 exec_lo, exec_lo, s20
	v_mul_f32_e32 v2, s2, v21
	flat_store_d16_hi_b16 v[34:35], v40 offset:64
	v_and_b32_e32 v41, 0x7f800000, v2
	s_delay_alu instid0(VALU_DEP_1) | instskip(SKIP_2) | instid1(SALU_CYCLE_1)
	v_cmp_ne_u32_e32 vcc_lo, 0x7f800000, v41
                                        ; implicit-def: $vgpr41
	s_wait_xcnt 0x0
	s_and_saveexec_b32 s20, vcc_lo
	s_xor_b32 s20, exec_lo, s20
; %bb.37:                               ;   in Loop: Header=BB141_4 Depth=1
	v_bfe_u32 v40, v2, 16, 1
	s_delay_alu instid0(VALU_DEP_1)
	v_add3_u32 v41, v2, v40, 0x7fff
                                        ; implicit-def: $vgpr2
; %bb.38:                               ;   in Loop: Header=BB141_4 Depth=1
	s_and_not1_saveexec_b32 s20, s20
; %bb.39:                               ;   in Loop: Header=BB141_4 Depth=1
	v_and_b32_e32 v40, 0xffff, v2
	v_or_b32_e32 v41, 0x10000, v2
	s_delay_alu instid0(VALU_DEP_2) | instskip(NEXT) | instid1(VALU_DEP_2)
	v_cmp_eq_u32_e32 vcc_lo, 0, v40
	v_cndmask_b32_e32 v41, v41, v2, vcc_lo
; %bb.40:                               ;   in Loop: Header=BB141_4 Depth=1
	s_or_b32 exec_lo, exec_lo, s20
	v_mul_f32_e32 v40, s2, v18
	flat_store_d16_hi_b16 v[34:35], v41 offset:96
	v_and_b32_e32 v2, 0x7f800000, v40
	s_delay_alu instid0(VALU_DEP_1) | instskip(SKIP_2) | instid1(SALU_CYCLE_1)
	v_cmp_ne_u32_e32 vcc_lo, 0x7f800000, v2
                                        ; implicit-def: $vgpr2
	s_wait_xcnt 0x0
	s_and_saveexec_b32 s20, vcc_lo
	s_xor_b32 s20, exec_lo, s20
; %bb.41:                               ;   in Loop: Header=BB141_4 Depth=1
	v_bfe_u32 v2, v40, 16, 1
	s_delay_alu instid0(VALU_DEP_1)
	v_add3_u32 v2, v40, v2, 0x7fff
                                        ; implicit-def: $vgpr40
; %bb.42:                               ;   in Loop: Header=BB141_4 Depth=1
	s_and_not1_saveexec_b32 s20, s20
; %bb.43:                               ;   in Loop: Header=BB141_4 Depth=1
	v_and_b32_e32 v2, 0xffff, v40
	v_or_b32_e32 v34, 0x10000, v40
	s_delay_alu instid0(VALU_DEP_2) | instskip(NEXT) | instid1(VALU_DEP_2)
	v_cmp_eq_u32_e32 vcc_lo, 0, v2
	v_cndmask_b32_e32 v2, v34, v40, vcc_lo
; %bb.44:                               ;   in Loop: Header=BB141_4 Depth=1
	s_or_b32 exec_lo, exec_lo, s20
	v_mul_f32_e32 v40, s2, v19
	v_lshl_add_u64 v[32:33], s[6:7], 1, v[32:33]
	s_delay_alu instid0(VALU_DEP_2) | instskip(NEXT) | instid1(VALU_DEP_2)
	v_and_b32_e32 v41, 0x7f800000, v40
	v_lshl_add_u64 v[34:35], v[8:9], 1, v[32:33]
	s_delay_alu instid0(VALU_DEP_2) | instskip(SKIP_3) | instid1(SALU_CYCLE_1)
	v_cmp_ne_u32_e32 vcc_lo, 0x7f800000, v41
	flat_store_d16_hi_b16 v[34:35], v2
                                        ; implicit-def: $vgpr41
	s_wait_xcnt 0x0
	s_and_saveexec_b32 s20, vcc_lo
	s_xor_b32 s20, exec_lo, s20
; %bb.45:                               ;   in Loop: Header=BB141_4 Depth=1
	v_bfe_u32 v2, v40, 16, 1
	s_delay_alu instid0(VALU_DEP_1)
	v_add3_u32 v41, v40, v2, 0x7fff
                                        ; implicit-def: $vgpr40
; %bb.46:                               ;   in Loop: Header=BB141_4 Depth=1
	s_and_not1_saveexec_b32 s20, s20
; %bb.47:                               ;   in Loop: Header=BB141_4 Depth=1
	v_and_b32_e32 v2, 0xffff, v40
	v_or_b32_e32 v41, 0x10000, v40
	s_delay_alu instid0(VALU_DEP_2) | instskip(NEXT) | instid1(VALU_DEP_2)
	v_cmp_eq_u32_e32 vcc_lo, 0, v2
	v_cndmask_b32_e32 v41, v41, v40, vcc_lo
; %bb.48:                               ;   in Loop: Header=BB141_4 Depth=1
	s_or_b32 exec_lo, exec_lo, s20
	v_mul_f32_e32 v2, s2, v16
	flat_store_d16_hi_b16 v[34:35], v41 offset:32
	v_and_b32_e32 v40, 0x7f800000, v2
	s_delay_alu instid0(VALU_DEP_1) | instskip(SKIP_2) | instid1(SALU_CYCLE_1)
	v_cmp_ne_u32_e32 vcc_lo, 0x7f800000, v40
                                        ; implicit-def: $vgpr40
	s_wait_xcnt 0x0
	s_and_saveexec_b32 s20, vcc_lo
	s_xor_b32 s20, exec_lo, s20
; %bb.49:                               ;   in Loop: Header=BB141_4 Depth=1
	v_bfe_u32 v40, v2, 16, 1
	s_delay_alu instid0(VALU_DEP_1)
	v_add3_u32 v40, v2, v40, 0x7fff
                                        ; implicit-def: $vgpr2
; %bb.50:                               ;   in Loop: Header=BB141_4 Depth=1
	s_and_not1_saveexec_b32 s20, s20
; %bb.51:                               ;   in Loop: Header=BB141_4 Depth=1
	v_and_b32_e32 v40, 0xffff, v2
	v_or_b32_e32 v41, 0x10000, v2
	s_delay_alu instid0(VALU_DEP_2) | instskip(NEXT) | instid1(VALU_DEP_2)
	v_cmp_eq_u32_e32 vcc_lo, 0, v40
	v_cndmask_b32_e32 v40, v41, v2, vcc_lo
; %bb.52:                               ;   in Loop: Header=BB141_4 Depth=1
	s_or_b32 exec_lo, exec_lo, s20
	v_mul_f32_e32 v2, s2, v17
	flat_store_d16_hi_b16 v[34:35], v40 offset:64
	v_and_b32_e32 v41, 0x7f800000, v2
	s_delay_alu instid0(VALU_DEP_1) | instskip(SKIP_2) | instid1(SALU_CYCLE_1)
	v_cmp_ne_u32_e32 vcc_lo, 0x7f800000, v41
                                        ; implicit-def: $vgpr41
	s_wait_xcnt 0x0
	s_and_saveexec_b32 s20, vcc_lo
	s_xor_b32 s20, exec_lo, s20
; %bb.53:                               ;   in Loop: Header=BB141_4 Depth=1
	v_bfe_u32 v40, v2, 16, 1
	s_delay_alu instid0(VALU_DEP_1)
	v_add3_u32 v41, v2, v40, 0x7fff
                                        ; implicit-def: $vgpr2
; %bb.54:                               ;   in Loop: Header=BB141_4 Depth=1
	s_and_not1_saveexec_b32 s20, s20
; %bb.55:                               ;   in Loop: Header=BB141_4 Depth=1
	v_and_b32_e32 v40, 0xffff, v2
	v_or_b32_e32 v41, 0x10000, v2
	s_delay_alu instid0(VALU_DEP_2) | instskip(NEXT) | instid1(VALU_DEP_2)
	v_cmp_eq_u32_e32 vcc_lo, 0, v40
	v_cndmask_b32_e32 v41, v41, v2, vcc_lo
; %bb.56:                               ;   in Loop: Header=BB141_4 Depth=1
	s_or_b32 exec_lo, exec_lo, s20
	v_mul_f32_e32 v40, s2, v14
	flat_store_d16_hi_b16 v[34:35], v41 offset:96
	v_and_b32_e32 v2, 0x7f800000, v40
	s_delay_alu instid0(VALU_DEP_1) | instskip(SKIP_2) | instid1(SALU_CYCLE_1)
	v_cmp_ne_u32_e32 vcc_lo, 0x7f800000, v2
                                        ; implicit-def: $vgpr2
	s_wait_xcnt 0x0
	s_and_saveexec_b32 s20, vcc_lo
	s_xor_b32 s20, exec_lo, s20
; %bb.57:                               ;   in Loop: Header=BB141_4 Depth=1
	v_bfe_u32 v2, v40, 16, 1
	s_delay_alu instid0(VALU_DEP_1)
	v_add3_u32 v2, v40, v2, 0x7fff
                                        ; implicit-def: $vgpr40
; %bb.58:                               ;   in Loop: Header=BB141_4 Depth=1
	s_and_not1_saveexec_b32 s20, s20
; %bb.59:                               ;   in Loop: Header=BB141_4 Depth=1
	v_and_b32_e32 v2, 0xffff, v40
	v_or_b32_e32 v34, 0x10000, v40
	s_delay_alu instid0(VALU_DEP_2) | instskip(NEXT) | instid1(VALU_DEP_2)
	v_cmp_eq_u32_e32 vcc_lo, 0, v2
	v_cndmask_b32_e32 v2, v34, v40, vcc_lo
; %bb.60:                               ;   in Loop: Header=BB141_4 Depth=1
	s_or_b32 exec_lo, exec_lo, s20
	v_mul_f32_e32 v34, s2, v15
	v_lshl_add_u64 v[32:33], s[6:7], 1, v[32:33]
	s_delay_alu instid0(VALU_DEP_2) | instskip(NEXT) | instid1(VALU_DEP_2)
	v_and_b32_e32 v35, 0x7f800000, v34
	v_lshl_add_u64 v[32:33], v[8:9], 1, v[32:33]
	s_delay_alu instid0(VALU_DEP_2) | instskip(SKIP_3) | instid1(SALU_CYCLE_1)
	v_cmp_ne_u32_e32 vcc_lo, 0x7f800000, v35
	flat_store_d16_hi_b16 v[32:33], v2
                                        ; implicit-def: $vgpr35
	s_wait_xcnt 0x0
	s_and_saveexec_b32 s20, vcc_lo
	s_xor_b32 s20, exec_lo, s20
; %bb.61:                               ;   in Loop: Header=BB141_4 Depth=1
	v_bfe_u32 v2, v34, 16, 1
	s_delay_alu instid0(VALU_DEP_1)
	v_add3_u32 v35, v34, v2, 0x7fff
                                        ; implicit-def: $vgpr34
; %bb.62:                               ;   in Loop: Header=BB141_4 Depth=1
	s_and_not1_saveexec_b32 s20, s20
; %bb.63:                               ;   in Loop: Header=BB141_4 Depth=1
	v_and_b32_e32 v2, 0xffff, v34
	v_or_b32_e32 v35, 0x10000, v34
	s_delay_alu instid0(VALU_DEP_2) | instskip(NEXT) | instid1(VALU_DEP_2)
	v_cmp_eq_u32_e32 vcc_lo, 0, v2
	v_cndmask_b32_e32 v35, v35, v34, vcc_lo
; %bb.64:                               ;   in Loop: Header=BB141_4 Depth=1
	s_or_b32 exec_lo, exec_lo, s20
	v_mul_f32_e32 v2, s2, v12
	flat_store_d16_hi_b16 v[32:33], v35 offset:32
	v_and_b32_e32 v34, 0x7f800000, v2
	s_delay_alu instid0(VALU_DEP_1) | instskip(SKIP_2) | instid1(SALU_CYCLE_1)
	v_cmp_ne_u32_e32 vcc_lo, 0x7f800000, v34
                                        ; implicit-def: $vgpr34
	s_wait_xcnt 0x0
	s_and_saveexec_b32 s20, vcc_lo
	s_xor_b32 s20, exec_lo, s20
; %bb.65:                               ;   in Loop: Header=BB141_4 Depth=1
	v_bfe_u32 v34, v2, 16, 1
	s_delay_alu instid0(VALU_DEP_1)
	v_add3_u32 v34, v2, v34, 0x7fff
                                        ; implicit-def: $vgpr2
; %bb.66:                               ;   in Loop: Header=BB141_4 Depth=1
	s_and_not1_saveexec_b32 s20, s20
; %bb.67:                               ;   in Loop: Header=BB141_4 Depth=1
	v_and_b32_e32 v34, 0xffff, v2
	v_or_b32_e32 v35, 0x10000, v2
	s_delay_alu instid0(VALU_DEP_2) | instskip(NEXT) | instid1(VALU_DEP_2)
	v_cmp_eq_u32_e32 vcc_lo, 0, v34
	v_cndmask_b32_e32 v34, v35, v2, vcc_lo
; %bb.68:                               ;   in Loop: Header=BB141_4 Depth=1
	s_or_b32 exec_lo, exec_lo, s20
	v_mul_f32_e32 v2, s2, v13
	s_mov_b32 s20, exec_lo
	flat_store_d16_hi_b16 v[32:33], v34 offset:64
                                        ; implicit-def: $vgpr34
	v_and_b32_e32 v35, 0x7f800000, v2
	s_wait_xcnt 0x0
	s_delay_alu instid0(VALU_DEP_1)
	v_cmpx_ne_u32_e32 0x7f800000, v35
	s_xor_b32 s20, exec_lo, s20
; %bb.69:                               ;   in Loop: Header=BB141_4 Depth=1
	v_bfe_u32 v34, v2, 16, 1
	s_delay_alu instid0(VALU_DEP_1)
	v_add3_u32 v34, v2, v34, 0x7fff
                                        ; implicit-def: $vgpr2
; %bb.70:                               ;   in Loop: Header=BB141_4 Depth=1
	s_and_not1_saveexec_b32 s20, s20
; %bb.71:                               ;   in Loop: Header=BB141_4 Depth=1
	v_and_b32_e32 v34, 0xffff, v2
	v_or_b32_e32 v35, 0x10000, v2
	s_delay_alu instid0(VALU_DEP_2) | instskip(NEXT) | instid1(VALU_DEP_2)
	v_cmp_eq_u32_e32 vcc_lo, 0, v34
	v_cndmask_b32_e32 v34, v35, v2, vcc_lo
; %bb.72:                               ;   in Loop: Header=BB141_4 Depth=1
	s_or_b32 exec_lo, exec_lo, s20
	flat_store_d16_hi_b16 v[32:33], v34 offset:96
	s_branch .LBB141_3
.LBB141_73:                             ;   in Loop: Header=BB141_4 Depth=1
	s_cbranch_execz .LBB141_3
; %bb.74:                               ;   in Loop: Header=BB141_4 Depth=1
	v_add_nc_u64_e32 v[28:29], s[16:17], v[28:29]
	s_delay_alu instid0(VALU_DEP_1) | instskip(SKIP_1) | instid1(VALU_DEP_1)
	v_lshl_add_u64 v[28:29], v[6:7], 1, v[28:29]
	s_wait_xcnt 0x0
	v_lshl_add_u64 v[32:33], v[8:9], 1, v[28:29]
	flat_load_u16 v2, v[32:33]
	s_wait_loadcnt_dscnt 0x0
	v_lshlrev_b32_e32 v2, 16, v2
	s_delay_alu instid0(VALU_DEP_1) | instskip(NEXT) | instid1(VALU_DEP_1)
	v_mul_f32_e32 v2, s30, v2
	v_and_b32_e32 v34, 0x7f800000, v2
	s_delay_alu instid0(VALU_DEP_1) | instskip(SKIP_2) | instid1(SALU_CYCLE_1)
	v_cmp_ne_u32_e32 vcc_lo, 0x7f800000, v34
                                        ; implicit-def: $vgpr34
	s_wait_xcnt 0x0
	s_and_saveexec_b32 s20, vcc_lo
	s_xor_b32 s20, exec_lo, s20
; %bb.75:                               ;   in Loop: Header=BB141_4 Depth=1
	v_bfe_u32 v34, v2, 16, 1
	s_delay_alu instid0(VALU_DEP_1)
	v_add3_u32 v34, v2, v34, 0x7fff
                                        ; implicit-def: $vgpr2
; %bb.76:                               ;   in Loop: Header=BB141_4 Depth=1
	s_and_not1_saveexec_b32 s20, s20
; %bb.77:                               ;   in Loop: Header=BB141_4 Depth=1
	v_and_b32_e32 v34, 0xffff, v2
	v_or_b32_e32 v35, 0x10000, v2
	s_delay_alu instid0(VALU_DEP_2) | instskip(NEXT) | instid1(VALU_DEP_2)
	v_cmp_eq_u32_e32 vcc_lo, 0, v34
	v_cndmask_b32_e32 v34, v35, v2, vcc_lo
; %bb.78:                               ;   in Loop: Header=BB141_4 Depth=1
	s_or_b32 exec_lo, exec_lo, s20
	s_delay_alu instid0(VALU_DEP_1) | instskip(NEXT) | instid1(VALU_DEP_1)
	v_fma_mix_f32_bf16 v2, s2, v26, v34 op_sel:[0,0,1] op_sel_hi:[0,0,1]
	v_and_b32_e32 v26, 0x7f800000, v2
	s_delay_alu instid0(VALU_DEP_1) | instskip(SKIP_1) | instid1(SALU_CYCLE_1)
	v_cmp_ne_u32_e32 vcc_lo, 0x7f800000, v26
                                        ; implicit-def: $vgpr26
	s_and_saveexec_b32 s20, vcc_lo
	s_xor_b32 s20, exec_lo, s20
; %bb.79:                               ;   in Loop: Header=BB141_4 Depth=1
	v_bfe_u32 v26, v2, 16, 1
	s_delay_alu instid0(VALU_DEP_1)
	v_add3_u32 v26, v2, v26, 0x7fff
                                        ; implicit-def: $vgpr2
; %bb.80:                               ;   in Loop: Header=BB141_4 Depth=1
	s_and_not1_saveexec_b32 s20, s20
; %bb.81:                               ;   in Loop: Header=BB141_4 Depth=1
	v_and_b32_e32 v26, 0xffff, v2
	v_or_b32_e32 v34, 0x10000, v2
	s_delay_alu instid0(VALU_DEP_2) | instskip(NEXT) | instid1(VALU_DEP_2)
	v_cmp_eq_u32_e32 vcc_lo, 0, v26
	v_cndmask_b32_e32 v26, v34, v2, vcc_lo
; %bb.82:                               ;   in Loop: Header=BB141_4 Depth=1
	s_or_b32 exec_lo, exec_lo, s20
	v_lshl_add_u64 v[30:31], v[4:5], 1, v[30:31]
	s_delay_alu instid0(VALU_DEP_1) | instskip(SKIP_4) | instid1(VALU_DEP_1)
	v_lshl_add_u64 v[34:35], v[8:9], 1, v[30:31]
	flat_store_d16_hi_b16 v[34:35], v26
	flat_load_u16 v2, v[32:33] offset:32
	s_wait_loadcnt_dscnt 0x0
	v_lshlrev_b32_e32 v2, 16, v2
	v_mul_f32_e32 v2, s30, v2
	s_wait_xcnt 0x1
	s_delay_alu instid0(VALU_DEP_1) | instskip(NEXT) | instid1(VALU_DEP_1)
	v_and_b32_e32 v26, 0x7f800000, v2
	v_cmp_ne_u32_e32 vcc_lo, 0x7f800000, v26
                                        ; implicit-def: $vgpr26
	s_wait_xcnt 0x0
	s_and_saveexec_b32 s20, vcc_lo
	s_delay_alu instid0(SALU_CYCLE_1)
	s_xor_b32 s20, exec_lo, s20
; %bb.83:                               ;   in Loop: Header=BB141_4 Depth=1
	v_bfe_u32 v26, v2, 16, 1
	s_delay_alu instid0(VALU_DEP_1)
	v_add3_u32 v26, v2, v26, 0x7fff
                                        ; implicit-def: $vgpr2
; %bb.84:                               ;   in Loop: Header=BB141_4 Depth=1
	s_and_not1_saveexec_b32 s20, s20
; %bb.85:                               ;   in Loop: Header=BB141_4 Depth=1
	v_and_b32_e32 v26, 0xffff, v2
	v_or_b32_e32 v40, 0x10000, v2
	s_delay_alu instid0(VALU_DEP_2) | instskip(NEXT) | instid1(VALU_DEP_2)
	v_cmp_eq_u32_e32 vcc_lo, 0, v26
	v_cndmask_b32_e32 v26, v40, v2, vcc_lo
; %bb.86:                               ;   in Loop: Header=BB141_4 Depth=1
	s_or_b32 exec_lo, exec_lo, s20
	s_delay_alu instid0(VALU_DEP_1) | instskip(NEXT) | instid1(VALU_DEP_1)
	v_fma_mix_f32_bf16 v2, s2, v27, v26 op_sel:[0,0,1] op_sel_hi:[0,0,1]
	v_and_b32_e32 v26, 0x7f800000, v2
	s_delay_alu instid0(VALU_DEP_1) | instskip(SKIP_1) | instid1(SALU_CYCLE_1)
	v_cmp_ne_u32_e32 vcc_lo, 0x7f800000, v26
                                        ; implicit-def: $vgpr26
	s_and_saveexec_b32 s20, vcc_lo
	s_xor_b32 s20, exec_lo, s20
; %bb.87:                               ;   in Loop: Header=BB141_4 Depth=1
	v_bfe_u32 v26, v2, 16, 1
	s_delay_alu instid0(VALU_DEP_1)
	v_add3_u32 v26, v2, v26, 0x7fff
                                        ; implicit-def: $vgpr2
; %bb.88:                               ;   in Loop: Header=BB141_4 Depth=1
	s_and_not1_saveexec_b32 s20, s20
; %bb.89:                               ;   in Loop: Header=BB141_4 Depth=1
	v_and_b32_e32 v26, 0xffff, v2
	v_or_b32_e32 v27, 0x10000, v2
	s_delay_alu instid0(VALU_DEP_2) | instskip(NEXT) | instid1(VALU_DEP_2)
	v_cmp_eq_u32_e32 vcc_lo, 0, v26
	v_cndmask_b32_e32 v26, v27, v2, vcc_lo
; %bb.90:                               ;   in Loop: Header=BB141_4 Depth=1
	s_or_b32 exec_lo, exec_lo, s20
	flat_store_d16_hi_b16 v[34:35], v26 offset:32
	flat_load_u16 v2, v[32:33] offset:64
	s_wait_loadcnt_dscnt 0x0
	v_lshlrev_b32_e32 v2, 16, v2
	s_delay_alu instid0(VALU_DEP_1) | instskip(SKIP_1) | instid1(VALU_DEP_1)
	v_mul_f32_e32 v2, s30, v2
	s_wait_xcnt 0x1
	v_and_b32_e32 v26, 0x7f800000, v2
	s_delay_alu instid0(VALU_DEP_1) | instskip(SKIP_2) | instid1(SALU_CYCLE_1)
	v_cmp_ne_u32_e32 vcc_lo, 0x7f800000, v26
                                        ; implicit-def: $vgpr26
	s_wait_xcnt 0x0
	s_and_saveexec_b32 s20, vcc_lo
	s_xor_b32 s20, exec_lo, s20
; %bb.91:                               ;   in Loop: Header=BB141_4 Depth=1
	v_bfe_u32 v26, v2, 16, 1
	s_delay_alu instid0(VALU_DEP_1)
	v_add3_u32 v26, v2, v26, 0x7fff
                                        ; implicit-def: $vgpr2
; %bb.92:                               ;   in Loop: Header=BB141_4 Depth=1
	s_and_not1_saveexec_b32 s20, s20
; %bb.93:                               ;   in Loop: Header=BB141_4 Depth=1
	v_and_b32_e32 v26, 0xffff, v2
	v_or_b32_e32 v27, 0x10000, v2
	s_delay_alu instid0(VALU_DEP_2) | instskip(NEXT) | instid1(VALU_DEP_2)
	v_cmp_eq_u32_e32 vcc_lo, 0, v26
	v_cndmask_b32_e32 v26, v27, v2, vcc_lo
; %bb.94:                               ;   in Loop: Header=BB141_4 Depth=1
	s_or_b32 exec_lo, exec_lo, s20
	s_delay_alu instid0(VALU_DEP_1) | instskip(NEXT) | instid1(VALU_DEP_1)
	v_fma_mix_f32_bf16 v2, s2, v24, v26 op_sel:[0,0,1] op_sel_hi:[0,0,1]
	v_and_b32_e32 v24, 0x7f800000, v2
	s_delay_alu instid0(VALU_DEP_1) | instskip(SKIP_1) | instid1(SALU_CYCLE_1)
	v_cmp_ne_u32_e32 vcc_lo, 0x7f800000, v24
                                        ; implicit-def: $vgpr24
	s_and_saveexec_b32 s20, vcc_lo
	s_xor_b32 s20, exec_lo, s20
; %bb.95:                               ;   in Loop: Header=BB141_4 Depth=1
	v_bfe_u32 v24, v2, 16, 1
	s_delay_alu instid0(VALU_DEP_1)
	v_add3_u32 v24, v2, v24, 0x7fff
                                        ; implicit-def: $vgpr2
; %bb.96:                               ;   in Loop: Header=BB141_4 Depth=1
	s_and_not1_saveexec_b32 s20, s20
; %bb.97:                               ;   in Loop: Header=BB141_4 Depth=1
	v_and_b32_e32 v24, 0xffff, v2
	v_or_b32_e32 v26, 0x10000, v2
	s_delay_alu instid0(VALU_DEP_2) | instskip(NEXT) | instid1(VALU_DEP_2)
	v_cmp_eq_u32_e32 vcc_lo, 0, v24
	v_cndmask_b32_e32 v24, v26, v2, vcc_lo
; %bb.98:                               ;   in Loop: Header=BB141_4 Depth=1
	s_or_b32 exec_lo, exec_lo, s20
	flat_store_d16_hi_b16 v[34:35], v24 offset:64
	flat_load_u16 v2, v[32:33] offset:96
	s_wait_loadcnt_dscnt 0x0
	v_lshlrev_b32_e32 v2, 16, v2
	s_delay_alu instid0(VALU_DEP_1) | instskip(SKIP_1) | instid1(VALU_DEP_1)
	v_mul_f32_e32 v2, s30, v2
	s_wait_xcnt 0x1
	v_and_b32_e32 v24, 0x7f800000, v2
	s_delay_alu instid0(VALU_DEP_1) | instskip(SKIP_2) | instid1(SALU_CYCLE_1)
	v_cmp_ne_u32_e32 vcc_lo, 0x7f800000, v24
                                        ; implicit-def: $vgpr24
	s_wait_xcnt 0x0
	s_and_saveexec_b32 s20, vcc_lo
	s_xor_b32 s20, exec_lo, s20
; %bb.99:                               ;   in Loop: Header=BB141_4 Depth=1
	v_bfe_u32 v24, v2, 16, 1
	s_delay_alu instid0(VALU_DEP_1)
	v_add3_u32 v24, v2, v24, 0x7fff
                                        ; implicit-def: $vgpr2
; %bb.100:                              ;   in Loop: Header=BB141_4 Depth=1
	s_and_not1_saveexec_b32 s20, s20
; %bb.101:                              ;   in Loop: Header=BB141_4 Depth=1
	v_and_b32_e32 v24, 0xffff, v2
	v_or_b32_e32 v26, 0x10000, v2
	s_delay_alu instid0(VALU_DEP_2) | instskip(NEXT) | instid1(VALU_DEP_2)
	v_cmp_eq_u32_e32 vcc_lo, 0, v24
	v_cndmask_b32_e32 v24, v26, v2, vcc_lo
; %bb.102:                              ;   in Loop: Header=BB141_4 Depth=1
	s_or_b32 exec_lo, exec_lo, s20
	s_delay_alu instid0(VALU_DEP_1) | instskip(SKIP_1) | instid1(VALU_DEP_1)
	v_fma_mix_f32_bf16 v2, s2, v25, v24 op_sel:[0,0,1] op_sel_hi:[0,0,1]
	s_mov_b32 s20, exec_lo
                                        ; implicit-def: $vgpr26
	v_and_b32_e32 v24, 0x7f800000, v2
	s_delay_alu instid0(VALU_DEP_1)
	v_cmpx_ne_u32_e32 0x7f800000, v24
	s_xor_b32 s20, exec_lo, s20
; %bb.103:                              ;   in Loop: Header=BB141_4 Depth=1
	v_bfe_u32 v24, v2, 16, 1
	s_delay_alu instid0(VALU_DEP_1)
	v_add3_u32 v26, v2, v24, 0x7fff
                                        ; implicit-def: $vgpr2
; %bb.104:                              ;   in Loop: Header=BB141_4 Depth=1
	s_and_not1_saveexec_b32 s20, s20
; %bb.105:                              ;   in Loop: Header=BB141_4 Depth=1
	v_and_b32_e32 v24, 0xffff, v2
	v_or_b32_e32 v25, 0x10000, v2
	s_delay_alu instid0(VALU_DEP_2) | instskip(NEXT) | instid1(VALU_DEP_2)
	v_cmp_eq_u32_e32 vcc_lo, 0, v24
	v_cndmask_b32_e32 v26, v25, v2, vcc_lo
; %bb.106:                              ;   in Loop: Header=BB141_4 Depth=1
	s_or_b32 exec_lo, exec_lo, s20
	v_lshl_add_u64 v[24:25], s[8:9], 1, v[28:29]
	flat_store_d16_hi_b16 v[34:35], v26 offset:96
	v_lshl_add_u64 v[28:29], v[8:9], 1, v[24:25]
	flat_load_u16 v2, v[28:29]
	s_wait_loadcnt_dscnt 0x0
	v_lshlrev_b32_e32 v2, 16, v2
	s_delay_alu instid0(VALU_DEP_1) | instskip(SKIP_1) | instid1(VALU_DEP_1)
	v_mul_f32_e32 v2, s30, v2
	s_wait_xcnt 0x1
	v_and_b32_e32 v26, 0x7f800000, v2
	s_delay_alu instid0(VALU_DEP_1) | instskip(SKIP_2) | instid1(SALU_CYCLE_1)
	v_cmp_ne_u32_e32 vcc_lo, 0x7f800000, v26
                                        ; implicit-def: $vgpr26
	s_wait_xcnt 0x0
	s_and_saveexec_b32 s20, vcc_lo
	s_xor_b32 s20, exec_lo, s20
; %bb.107:                              ;   in Loop: Header=BB141_4 Depth=1
	v_bfe_u32 v26, v2, 16, 1
	s_delay_alu instid0(VALU_DEP_1)
	v_add3_u32 v26, v2, v26, 0x7fff
                                        ; implicit-def: $vgpr2
; %bb.108:                              ;   in Loop: Header=BB141_4 Depth=1
	s_and_not1_saveexec_b32 s20, s20
; %bb.109:                              ;   in Loop: Header=BB141_4 Depth=1
	v_and_b32_e32 v26, 0xffff, v2
	v_or_b32_e32 v27, 0x10000, v2
	s_delay_alu instid0(VALU_DEP_2) | instskip(NEXT) | instid1(VALU_DEP_2)
	v_cmp_eq_u32_e32 vcc_lo, 0, v26
	v_cndmask_b32_e32 v26, v27, v2, vcc_lo
; %bb.110:                              ;   in Loop: Header=BB141_4 Depth=1
	s_or_b32 exec_lo, exec_lo, s20
	s_delay_alu instid0(VALU_DEP_1) | instskip(NEXT) | instid1(VALU_DEP_1)
	v_fma_mix_f32_bf16 v2, s2, v22, v26 op_sel:[0,0,1] op_sel_hi:[0,0,1]
	v_and_b32_e32 v22, 0x7f800000, v2
	s_delay_alu instid0(VALU_DEP_1) | instskip(SKIP_1) | instid1(SALU_CYCLE_1)
	v_cmp_ne_u32_e32 vcc_lo, 0x7f800000, v22
                                        ; implicit-def: $vgpr22
	s_and_saveexec_b32 s20, vcc_lo
	s_xor_b32 s20, exec_lo, s20
; %bb.111:                              ;   in Loop: Header=BB141_4 Depth=1
	v_bfe_u32 v22, v2, 16, 1
	s_delay_alu instid0(VALU_DEP_1)
	v_add3_u32 v22, v2, v22, 0x7fff
                                        ; implicit-def: $vgpr2
; %bb.112:                              ;   in Loop: Header=BB141_4 Depth=1
	s_and_not1_saveexec_b32 s20, s20
; %bb.113:                              ;   in Loop: Header=BB141_4 Depth=1
	v_and_b32_e32 v22, 0xffff, v2
	v_or_b32_e32 v26, 0x10000, v2
	s_delay_alu instid0(VALU_DEP_2) | instskip(NEXT) | instid1(VALU_DEP_2)
	v_cmp_eq_u32_e32 vcc_lo, 0, v22
	v_cndmask_b32_e32 v22, v26, v2, vcc_lo
; %bb.114:                              ;   in Loop: Header=BB141_4 Depth=1
	s_or_b32 exec_lo, exec_lo, s20
	v_lshl_add_u64 v[26:27], s[6:7], 1, v[30:31]
	s_delay_alu instid0(VALU_DEP_1) | instskip(SKIP_4) | instid1(VALU_DEP_1)
	v_lshl_add_u64 v[30:31], v[8:9], 1, v[26:27]
	flat_store_d16_hi_b16 v[30:31], v22
	flat_load_u16 v2, v[28:29] offset:32
	s_wait_loadcnt_dscnt 0x0
	v_lshlrev_b32_e32 v2, 16, v2
	v_mul_f32_e32 v2, s30, v2
	s_wait_xcnt 0x1
	s_delay_alu instid0(VALU_DEP_1) | instskip(NEXT) | instid1(VALU_DEP_1)
	v_and_b32_e32 v22, 0x7f800000, v2
	v_cmp_ne_u32_e32 vcc_lo, 0x7f800000, v22
                                        ; implicit-def: $vgpr22
	s_wait_xcnt 0x0
	s_and_saveexec_b32 s20, vcc_lo
	s_delay_alu instid0(SALU_CYCLE_1)
	s_xor_b32 s20, exec_lo, s20
; %bb.115:                              ;   in Loop: Header=BB141_4 Depth=1
	v_bfe_u32 v22, v2, 16, 1
	s_delay_alu instid0(VALU_DEP_1)
	v_add3_u32 v22, v2, v22, 0x7fff
                                        ; implicit-def: $vgpr2
; %bb.116:                              ;   in Loop: Header=BB141_4 Depth=1
	s_and_not1_saveexec_b32 s20, s20
; %bb.117:                              ;   in Loop: Header=BB141_4 Depth=1
	v_and_b32_e32 v22, 0xffff, v2
	v_or_b32_e32 v32, 0x10000, v2
	s_delay_alu instid0(VALU_DEP_2) | instskip(NEXT) | instid1(VALU_DEP_2)
	v_cmp_eq_u32_e32 vcc_lo, 0, v22
	v_cndmask_b32_e32 v22, v32, v2, vcc_lo
; %bb.118:                              ;   in Loop: Header=BB141_4 Depth=1
	s_or_b32 exec_lo, exec_lo, s20
	s_delay_alu instid0(VALU_DEP_1) | instskip(NEXT) | instid1(VALU_DEP_1)
	v_fma_mix_f32_bf16 v2, s2, v23, v22 op_sel:[0,0,1] op_sel_hi:[0,0,1]
	v_and_b32_e32 v22, 0x7f800000, v2
	s_delay_alu instid0(VALU_DEP_1) | instskip(SKIP_1) | instid1(SALU_CYCLE_1)
	v_cmp_ne_u32_e32 vcc_lo, 0x7f800000, v22
                                        ; implicit-def: $vgpr22
	s_and_saveexec_b32 s20, vcc_lo
	s_xor_b32 s20, exec_lo, s20
; %bb.119:                              ;   in Loop: Header=BB141_4 Depth=1
	v_bfe_u32 v22, v2, 16, 1
	s_delay_alu instid0(VALU_DEP_1)
	v_add3_u32 v22, v2, v22, 0x7fff
                                        ; implicit-def: $vgpr2
; %bb.120:                              ;   in Loop: Header=BB141_4 Depth=1
	s_and_not1_saveexec_b32 s20, s20
; %bb.121:                              ;   in Loop: Header=BB141_4 Depth=1
	v_and_b32_e32 v22, 0xffff, v2
	v_or_b32_e32 v23, 0x10000, v2
	s_delay_alu instid0(VALU_DEP_2) | instskip(NEXT) | instid1(VALU_DEP_2)
	v_cmp_eq_u32_e32 vcc_lo, 0, v22
	v_cndmask_b32_e32 v22, v23, v2, vcc_lo
; %bb.122:                              ;   in Loop: Header=BB141_4 Depth=1
	s_or_b32 exec_lo, exec_lo, s20
	flat_store_d16_hi_b16 v[30:31], v22 offset:32
	flat_load_u16 v2, v[28:29] offset:64
	s_wait_loadcnt_dscnt 0x0
	v_lshlrev_b32_e32 v2, 16, v2
	s_delay_alu instid0(VALU_DEP_1) | instskip(SKIP_1) | instid1(VALU_DEP_1)
	v_mul_f32_e32 v2, s30, v2
	s_wait_xcnt 0x1
	v_and_b32_e32 v22, 0x7f800000, v2
	s_delay_alu instid0(VALU_DEP_1) | instskip(SKIP_2) | instid1(SALU_CYCLE_1)
	v_cmp_ne_u32_e32 vcc_lo, 0x7f800000, v22
                                        ; implicit-def: $vgpr22
	s_wait_xcnt 0x0
	s_and_saveexec_b32 s20, vcc_lo
	s_xor_b32 s20, exec_lo, s20
; %bb.123:                              ;   in Loop: Header=BB141_4 Depth=1
	v_bfe_u32 v22, v2, 16, 1
	s_delay_alu instid0(VALU_DEP_1)
	v_add3_u32 v22, v2, v22, 0x7fff
                                        ; implicit-def: $vgpr2
; %bb.124:                              ;   in Loop: Header=BB141_4 Depth=1
	s_and_not1_saveexec_b32 s20, s20
; %bb.125:                              ;   in Loop: Header=BB141_4 Depth=1
	v_and_b32_e32 v22, 0xffff, v2
	v_or_b32_e32 v23, 0x10000, v2
	s_delay_alu instid0(VALU_DEP_2) | instskip(NEXT) | instid1(VALU_DEP_2)
	v_cmp_eq_u32_e32 vcc_lo, 0, v22
	v_cndmask_b32_e32 v22, v23, v2, vcc_lo
; %bb.126:                              ;   in Loop: Header=BB141_4 Depth=1
	s_or_b32 exec_lo, exec_lo, s20
	s_delay_alu instid0(VALU_DEP_1) | instskip(NEXT) | instid1(VALU_DEP_1)
	v_fma_mix_f32_bf16 v2, s2, v20, v22 op_sel:[0,0,1] op_sel_hi:[0,0,1]
	v_and_b32_e32 v20, 0x7f800000, v2
	s_delay_alu instid0(VALU_DEP_1) | instskip(SKIP_1) | instid1(SALU_CYCLE_1)
	v_cmp_ne_u32_e32 vcc_lo, 0x7f800000, v20
                                        ; implicit-def: $vgpr20
	s_and_saveexec_b32 s20, vcc_lo
	s_xor_b32 s20, exec_lo, s20
; %bb.127:                              ;   in Loop: Header=BB141_4 Depth=1
	v_bfe_u32 v20, v2, 16, 1
	s_delay_alu instid0(VALU_DEP_1)
	v_add3_u32 v20, v2, v20, 0x7fff
                                        ; implicit-def: $vgpr2
; %bb.128:                              ;   in Loop: Header=BB141_4 Depth=1
	s_and_not1_saveexec_b32 s20, s20
; %bb.129:                              ;   in Loop: Header=BB141_4 Depth=1
	v_and_b32_e32 v20, 0xffff, v2
	v_or_b32_e32 v22, 0x10000, v2
	s_delay_alu instid0(VALU_DEP_2) | instskip(NEXT) | instid1(VALU_DEP_2)
	v_cmp_eq_u32_e32 vcc_lo, 0, v20
	v_cndmask_b32_e32 v20, v22, v2, vcc_lo
; %bb.130:                              ;   in Loop: Header=BB141_4 Depth=1
	s_or_b32 exec_lo, exec_lo, s20
	flat_store_d16_hi_b16 v[30:31], v20 offset:64
	flat_load_u16 v2, v[28:29] offset:96
	s_wait_loadcnt_dscnt 0x0
	v_lshlrev_b32_e32 v2, 16, v2
	s_delay_alu instid0(VALU_DEP_1) | instskip(SKIP_1) | instid1(VALU_DEP_1)
	v_mul_f32_e32 v2, s30, v2
	s_wait_xcnt 0x1
	v_and_b32_e32 v20, 0x7f800000, v2
	s_delay_alu instid0(VALU_DEP_1) | instskip(SKIP_2) | instid1(SALU_CYCLE_1)
	v_cmp_ne_u32_e32 vcc_lo, 0x7f800000, v20
                                        ; implicit-def: $vgpr20
	s_wait_xcnt 0x0
	s_and_saveexec_b32 s20, vcc_lo
	s_xor_b32 s20, exec_lo, s20
; %bb.131:                              ;   in Loop: Header=BB141_4 Depth=1
	v_bfe_u32 v20, v2, 16, 1
	s_delay_alu instid0(VALU_DEP_1)
	v_add3_u32 v20, v2, v20, 0x7fff
                                        ; implicit-def: $vgpr2
; %bb.132:                              ;   in Loop: Header=BB141_4 Depth=1
	s_and_not1_saveexec_b32 s20, s20
; %bb.133:                              ;   in Loop: Header=BB141_4 Depth=1
	v_and_b32_e32 v20, 0xffff, v2
	v_or_b32_e32 v22, 0x10000, v2
	s_delay_alu instid0(VALU_DEP_2) | instskip(NEXT) | instid1(VALU_DEP_2)
	v_cmp_eq_u32_e32 vcc_lo, 0, v20
	v_cndmask_b32_e32 v20, v22, v2, vcc_lo
; %bb.134:                              ;   in Loop: Header=BB141_4 Depth=1
	s_or_b32 exec_lo, exec_lo, s20
	s_delay_alu instid0(VALU_DEP_1) | instskip(SKIP_1) | instid1(VALU_DEP_1)
	v_fma_mix_f32_bf16 v2, s2, v21, v20 op_sel:[0,0,1] op_sel_hi:[0,0,1]
	s_mov_b32 s20, exec_lo
                                        ; implicit-def: $vgpr22
	v_and_b32_e32 v20, 0x7f800000, v2
	s_delay_alu instid0(VALU_DEP_1)
	v_cmpx_ne_u32_e32 0x7f800000, v20
	s_xor_b32 s20, exec_lo, s20
; %bb.135:                              ;   in Loop: Header=BB141_4 Depth=1
	v_bfe_u32 v20, v2, 16, 1
	s_delay_alu instid0(VALU_DEP_1)
	v_add3_u32 v22, v2, v20, 0x7fff
                                        ; implicit-def: $vgpr2
; %bb.136:                              ;   in Loop: Header=BB141_4 Depth=1
	s_and_not1_saveexec_b32 s20, s20
; %bb.137:                              ;   in Loop: Header=BB141_4 Depth=1
	v_and_b32_e32 v20, 0xffff, v2
	v_or_b32_e32 v21, 0x10000, v2
	s_delay_alu instid0(VALU_DEP_2) | instskip(NEXT) | instid1(VALU_DEP_2)
	v_cmp_eq_u32_e32 vcc_lo, 0, v20
	v_cndmask_b32_e32 v22, v21, v2, vcc_lo
; %bb.138:                              ;   in Loop: Header=BB141_4 Depth=1
	s_or_b32 exec_lo, exec_lo, s20
	v_lshl_add_u64 v[20:21], s[8:9], 1, v[24:25]
	flat_store_d16_hi_b16 v[30:31], v22 offset:96
	v_lshl_add_u64 v[24:25], v[8:9], 1, v[20:21]
	flat_load_u16 v2, v[24:25]
	s_wait_loadcnt_dscnt 0x0
	v_lshlrev_b32_e32 v2, 16, v2
	s_delay_alu instid0(VALU_DEP_1) | instskip(SKIP_1) | instid1(VALU_DEP_1)
	v_mul_f32_e32 v2, s30, v2
	s_wait_xcnt 0x1
	v_and_b32_e32 v22, 0x7f800000, v2
	s_delay_alu instid0(VALU_DEP_1) | instskip(SKIP_2) | instid1(SALU_CYCLE_1)
	v_cmp_ne_u32_e32 vcc_lo, 0x7f800000, v22
                                        ; implicit-def: $vgpr22
	s_wait_xcnt 0x0
	s_and_saveexec_b32 s20, vcc_lo
	s_xor_b32 s20, exec_lo, s20
; %bb.139:                              ;   in Loop: Header=BB141_4 Depth=1
	v_bfe_u32 v22, v2, 16, 1
	s_delay_alu instid0(VALU_DEP_1)
	v_add3_u32 v22, v2, v22, 0x7fff
                                        ; implicit-def: $vgpr2
; %bb.140:                              ;   in Loop: Header=BB141_4 Depth=1
	s_and_not1_saveexec_b32 s20, s20
; %bb.141:                              ;   in Loop: Header=BB141_4 Depth=1
	v_and_b32_e32 v22, 0xffff, v2
	v_or_b32_e32 v23, 0x10000, v2
	s_delay_alu instid0(VALU_DEP_2) | instskip(NEXT) | instid1(VALU_DEP_2)
	v_cmp_eq_u32_e32 vcc_lo, 0, v22
	v_cndmask_b32_e32 v22, v23, v2, vcc_lo
; %bb.142:                              ;   in Loop: Header=BB141_4 Depth=1
	s_or_b32 exec_lo, exec_lo, s20
	s_delay_alu instid0(VALU_DEP_1) | instskip(NEXT) | instid1(VALU_DEP_1)
	v_fma_mix_f32_bf16 v2, s2, v18, v22 op_sel:[0,0,1] op_sel_hi:[0,0,1]
	v_and_b32_e32 v18, 0x7f800000, v2
	s_delay_alu instid0(VALU_DEP_1) | instskip(SKIP_1) | instid1(SALU_CYCLE_1)
	v_cmp_ne_u32_e32 vcc_lo, 0x7f800000, v18
                                        ; implicit-def: $vgpr18
	s_and_saveexec_b32 s20, vcc_lo
	s_xor_b32 s20, exec_lo, s20
; %bb.143:                              ;   in Loop: Header=BB141_4 Depth=1
	v_bfe_u32 v18, v2, 16, 1
	s_delay_alu instid0(VALU_DEP_1)
	v_add3_u32 v18, v2, v18, 0x7fff
                                        ; implicit-def: $vgpr2
; %bb.144:                              ;   in Loop: Header=BB141_4 Depth=1
	s_and_not1_saveexec_b32 s20, s20
; %bb.145:                              ;   in Loop: Header=BB141_4 Depth=1
	v_and_b32_e32 v18, 0xffff, v2
	v_or_b32_e32 v22, 0x10000, v2
	s_delay_alu instid0(VALU_DEP_2) | instskip(NEXT) | instid1(VALU_DEP_2)
	v_cmp_eq_u32_e32 vcc_lo, 0, v18
	v_cndmask_b32_e32 v18, v22, v2, vcc_lo
; %bb.146:                              ;   in Loop: Header=BB141_4 Depth=1
	s_or_b32 exec_lo, exec_lo, s20
	v_lshl_add_u64 v[22:23], s[6:7], 1, v[26:27]
	s_delay_alu instid0(VALU_DEP_1) | instskip(SKIP_4) | instid1(VALU_DEP_1)
	v_lshl_add_u64 v[26:27], v[8:9], 1, v[22:23]
	flat_store_d16_hi_b16 v[26:27], v18
	flat_load_u16 v2, v[24:25] offset:32
	s_wait_loadcnt_dscnt 0x0
	v_lshlrev_b32_e32 v2, 16, v2
	v_mul_f32_e32 v2, s30, v2
	s_wait_xcnt 0x1
	s_delay_alu instid0(VALU_DEP_1) | instskip(NEXT) | instid1(VALU_DEP_1)
	v_and_b32_e32 v18, 0x7f800000, v2
	v_cmp_ne_u32_e32 vcc_lo, 0x7f800000, v18
                                        ; implicit-def: $vgpr18
	s_wait_xcnt 0x0
	s_and_saveexec_b32 s20, vcc_lo
	s_delay_alu instid0(SALU_CYCLE_1)
	s_xor_b32 s20, exec_lo, s20
; %bb.147:                              ;   in Loop: Header=BB141_4 Depth=1
	v_bfe_u32 v18, v2, 16, 1
	s_delay_alu instid0(VALU_DEP_1)
	v_add3_u32 v18, v2, v18, 0x7fff
                                        ; implicit-def: $vgpr2
; %bb.148:                              ;   in Loop: Header=BB141_4 Depth=1
	s_and_not1_saveexec_b32 s20, s20
; %bb.149:                              ;   in Loop: Header=BB141_4 Depth=1
	v_and_b32_e32 v18, 0xffff, v2
	v_or_b32_e32 v28, 0x10000, v2
	s_delay_alu instid0(VALU_DEP_2) | instskip(NEXT) | instid1(VALU_DEP_2)
	v_cmp_eq_u32_e32 vcc_lo, 0, v18
	v_cndmask_b32_e32 v18, v28, v2, vcc_lo
; %bb.150:                              ;   in Loop: Header=BB141_4 Depth=1
	s_or_b32 exec_lo, exec_lo, s20
	s_delay_alu instid0(VALU_DEP_1) | instskip(NEXT) | instid1(VALU_DEP_1)
	v_fma_mix_f32_bf16 v2, s2, v19, v18 op_sel:[0,0,1] op_sel_hi:[0,0,1]
	v_and_b32_e32 v18, 0x7f800000, v2
	s_delay_alu instid0(VALU_DEP_1) | instskip(SKIP_1) | instid1(SALU_CYCLE_1)
	v_cmp_ne_u32_e32 vcc_lo, 0x7f800000, v18
                                        ; implicit-def: $vgpr18
	s_and_saveexec_b32 s20, vcc_lo
	s_xor_b32 s20, exec_lo, s20
; %bb.151:                              ;   in Loop: Header=BB141_4 Depth=1
	v_bfe_u32 v18, v2, 16, 1
	s_delay_alu instid0(VALU_DEP_1)
	v_add3_u32 v18, v2, v18, 0x7fff
                                        ; implicit-def: $vgpr2
; %bb.152:                              ;   in Loop: Header=BB141_4 Depth=1
	s_and_not1_saveexec_b32 s20, s20
; %bb.153:                              ;   in Loop: Header=BB141_4 Depth=1
	v_and_b32_e32 v18, 0xffff, v2
	v_or_b32_e32 v19, 0x10000, v2
	s_delay_alu instid0(VALU_DEP_2) | instskip(NEXT) | instid1(VALU_DEP_2)
	v_cmp_eq_u32_e32 vcc_lo, 0, v18
	v_cndmask_b32_e32 v18, v19, v2, vcc_lo
; %bb.154:                              ;   in Loop: Header=BB141_4 Depth=1
	s_or_b32 exec_lo, exec_lo, s20
	flat_store_d16_hi_b16 v[26:27], v18 offset:32
	flat_load_u16 v2, v[24:25] offset:64
	s_wait_loadcnt_dscnt 0x0
	v_lshlrev_b32_e32 v2, 16, v2
	s_delay_alu instid0(VALU_DEP_1) | instskip(SKIP_1) | instid1(VALU_DEP_1)
	v_mul_f32_e32 v2, s30, v2
	s_wait_xcnt 0x1
	v_and_b32_e32 v18, 0x7f800000, v2
	s_delay_alu instid0(VALU_DEP_1) | instskip(SKIP_2) | instid1(SALU_CYCLE_1)
	v_cmp_ne_u32_e32 vcc_lo, 0x7f800000, v18
                                        ; implicit-def: $vgpr18
	s_wait_xcnt 0x0
	s_and_saveexec_b32 s20, vcc_lo
	s_xor_b32 s20, exec_lo, s20
; %bb.155:                              ;   in Loop: Header=BB141_4 Depth=1
	v_bfe_u32 v18, v2, 16, 1
	s_delay_alu instid0(VALU_DEP_1)
	v_add3_u32 v18, v2, v18, 0x7fff
                                        ; implicit-def: $vgpr2
; %bb.156:                              ;   in Loop: Header=BB141_4 Depth=1
	s_and_not1_saveexec_b32 s20, s20
; %bb.157:                              ;   in Loop: Header=BB141_4 Depth=1
	v_and_b32_e32 v18, 0xffff, v2
	v_or_b32_e32 v19, 0x10000, v2
	s_delay_alu instid0(VALU_DEP_2) | instskip(NEXT) | instid1(VALU_DEP_2)
	v_cmp_eq_u32_e32 vcc_lo, 0, v18
	v_cndmask_b32_e32 v18, v19, v2, vcc_lo
; %bb.158:                              ;   in Loop: Header=BB141_4 Depth=1
	s_or_b32 exec_lo, exec_lo, s20
	s_delay_alu instid0(VALU_DEP_1) | instskip(NEXT) | instid1(VALU_DEP_1)
	v_fma_mix_f32_bf16 v2, s2, v16, v18 op_sel:[0,0,1] op_sel_hi:[0,0,1]
	v_and_b32_e32 v16, 0x7f800000, v2
	s_delay_alu instid0(VALU_DEP_1) | instskip(SKIP_1) | instid1(SALU_CYCLE_1)
	v_cmp_ne_u32_e32 vcc_lo, 0x7f800000, v16
                                        ; implicit-def: $vgpr16
	s_and_saveexec_b32 s20, vcc_lo
	s_xor_b32 s20, exec_lo, s20
; %bb.159:                              ;   in Loop: Header=BB141_4 Depth=1
	v_bfe_u32 v16, v2, 16, 1
	s_delay_alu instid0(VALU_DEP_1)
	v_add3_u32 v16, v2, v16, 0x7fff
                                        ; implicit-def: $vgpr2
; %bb.160:                              ;   in Loop: Header=BB141_4 Depth=1
	s_and_not1_saveexec_b32 s20, s20
; %bb.161:                              ;   in Loop: Header=BB141_4 Depth=1
	v_and_b32_e32 v16, 0xffff, v2
	v_or_b32_e32 v18, 0x10000, v2
	s_delay_alu instid0(VALU_DEP_2) | instskip(NEXT) | instid1(VALU_DEP_2)
	v_cmp_eq_u32_e32 vcc_lo, 0, v16
	v_cndmask_b32_e32 v16, v18, v2, vcc_lo
; %bb.162:                              ;   in Loop: Header=BB141_4 Depth=1
	s_or_b32 exec_lo, exec_lo, s20
	flat_store_d16_hi_b16 v[26:27], v16 offset:64
	flat_load_u16 v2, v[24:25] offset:96
	s_wait_loadcnt_dscnt 0x0
	v_lshlrev_b32_e32 v2, 16, v2
	s_delay_alu instid0(VALU_DEP_1) | instskip(SKIP_1) | instid1(VALU_DEP_1)
	v_mul_f32_e32 v2, s30, v2
	s_wait_xcnt 0x1
	v_and_b32_e32 v16, 0x7f800000, v2
	s_delay_alu instid0(VALU_DEP_1) | instskip(SKIP_2) | instid1(SALU_CYCLE_1)
	v_cmp_ne_u32_e32 vcc_lo, 0x7f800000, v16
                                        ; implicit-def: $vgpr16
	s_wait_xcnt 0x0
	s_and_saveexec_b32 s20, vcc_lo
	s_xor_b32 s20, exec_lo, s20
; %bb.163:                              ;   in Loop: Header=BB141_4 Depth=1
	v_bfe_u32 v16, v2, 16, 1
	s_delay_alu instid0(VALU_DEP_1)
	v_add3_u32 v16, v2, v16, 0x7fff
                                        ; implicit-def: $vgpr2
; %bb.164:                              ;   in Loop: Header=BB141_4 Depth=1
	s_and_not1_saveexec_b32 s20, s20
; %bb.165:                              ;   in Loop: Header=BB141_4 Depth=1
	v_and_b32_e32 v16, 0xffff, v2
	v_or_b32_e32 v18, 0x10000, v2
	s_delay_alu instid0(VALU_DEP_2) | instskip(NEXT) | instid1(VALU_DEP_2)
	v_cmp_eq_u32_e32 vcc_lo, 0, v16
	v_cndmask_b32_e32 v16, v18, v2, vcc_lo
; %bb.166:                              ;   in Loop: Header=BB141_4 Depth=1
	s_or_b32 exec_lo, exec_lo, s20
	s_delay_alu instid0(VALU_DEP_1) | instskip(SKIP_1) | instid1(VALU_DEP_1)
	v_fma_mix_f32_bf16 v2, s2, v17, v16 op_sel:[0,0,1] op_sel_hi:[0,0,1]
	s_mov_b32 s20, exec_lo
                                        ; implicit-def: $vgpr18
	v_and_b32_e32 v16, 0x7f800000, v2
	s_delay_alu instid0(VALU_DEP_1)
	v_cmpx_ne_u32_e32 0x7f800000, v16
	s_xor_b32 s20, exec_lo, s20
; %bb.167:                              ;   in Loop: Header=BB141_4 Depth=1
	v_bfe_u32 v16, v2, 16, 1
	s_delay_alu instid0(VALU_DEP_1)
	v_add3_u32 v18, v2, v16, 0x7fff
                                        ; implicit-def: $vgpr2
; %bb.168:                              ;   in Loop: Header=BB141_4 Depth=1
	s_and_not1_saveexec_b32 s20, s20
; %bb.169:                              ;   in Loop: Header=BB141_4 Depth=1
	v_and_b32_e32 v16, 0xffff, v2
	v_or_b32_e32 v17, 0x10000, v2
	s_delay_alu instid0(VALU_DEP_2) | instskip(NEXT) | instid1(VALU_DEP_2)
	v_cmp_eq_u32_e32 vcc_lo, 0, v16
	v_cndmask_b32_e32 v18, v17, v2, vcc_lo
; %bb.170:                              ;   in Loop: Header=BB141_4 Depth=1
	s_or_b32 exec_lo, exec_lo, s20
	v_lshl_add_u64 v[16:17], s[8:9], 1, v[20:21]
	flat_store_d16_hi_b16 v[26:27], v18 offset:96
	v_lshl_add_u64 v[16:17], v[8:9], 1, v[16:17]
	flat_load_u16 v2, v[16:17]
	s_wait_loadcnt_dscnt 0x0
	v_lshlrev_b32_e32 v2, 16, v2
	s_delay_alu instid0(VALU_DEP_1) | instskip(SKIP_1) | instid1(VALU_DEP_1)
	v_mul_f32_e32 v2, s30, v2
	s_wait_xcnt 0x1
	v_and_b32_e32 v18, 0x7f800000, v2
	s_delay_alu instid0(VALU_DEP_1) | instskip(SKIP_2) | instid1(SALU_CYCLE_1)
	v_cmp_ne_u32_e32 vcc_lo, 0x7f800000, v18
                                        ; implicit-def: $vgpr18
	s_wait_xcnt 0x0
	s_and_saveexec_b32 s20, vcc_lo
	s_xor_b32 s20, exec_lo, s20
; %bb.171:                              ;   in Loop: Header=BB141_4 Depth=1
	v_bfe_u32 v18, v2, 16, 1
	s_delay_alu instid0(VALU_DEP_1)
	v_add3_u32 v18, v2, v18, 0x7fff
                                        ; implicit-def: $vgpr2
; %bb.172:                              ;   in Loop: Header=BB141_4 Depth=1
	s_and_not1_saveexec_b32 s20, s20
; %bb.173:                              ;   in Loop: Header=BB141_4 Depth=1
	v_and_b32_e32 v18, 0xffff, v2
	v_or_b32_e32 v19, 0x10000, v2
	s_delay_alu instid0(VALU_DEP_2) | instskip(NEXT) | instid1(VALU_DEP_2)
	v_cmp_eq_u32_e32 vcc_lo, 0, v18
	v_cndmask_b32_e32 v18, v19, v2, vcc_lo
; %bb.174:                              ;   in Loop: Header=BB141_4 Depth=1
	s_or_b32 exec_lo, exec_lo, s20
	s_delay_alu instid0(VALU_DEP_1) | instskip(NEXT) | instid1(VALU_DEP_1)
	v_fma_mix_f32_bf16 v2, s2, v14, v18 op_sel:[0,0,1] op_sel_hi:[0,0,1]
	v_and_b32_e32 v14, 0x7f800000, v2
	s_delay_alu instid0(VALU_DEP_1) | instskip(SKIP_1) | instid1(SALU_CYCLE_1)
	v_cmp_ne_u32_e32 vcc_lo, 0x7f800000, v14
                                        ; implicit-def: $vgpr14
	s_and_saveexec_b32 s20, vcc_lo
	s_xor_b32 s20, exec_lo, s20
; %bb.175:                              ;   in Loop: Header=BB141_4 Depth=1
	v_bfe_u32 v14, v2, 16, 1
	s_delay_alu instid0(VALU_DEP_1)
	v_add3_u32 v14, v2, v14, 0x7fff
                                        ; implicit-def: $vgpr2
; %bb.176:                              ;   in Loop: Header=BB141_4 Depth=1
	s_and_not1_saveexec_b32 s20, s20
; %bb.177:                              ;   in Loop: Header=BB141_4 Depth=1
	v_and_b32_e32 v14, 0xffff, v2
	v_or_b32_e32 v18, 0x10000, v2
	s_delay_alu instid0(VALU_DEP_2) | instskip(NEXT) | instid1(VALU_DEP_2)
	v_cmp_eq_u32_e32 vcc_lo, 0, v14
	v_cndmask_b32_e32 v14, v18, v2, vcc_lo
; %bb.178:                              ;   in Loop: Header=BB141_4 Depth=1
	s_or_b32 exec_lo, exec_lo, s20
	v_lshl_add_u64 v[18:19], s[6:7], 1, v[22:23]
	s_delay_alu instid0(VALU_DEP_1) | instskip(SKIP_4) | instid1(VALU_DEP_1)
	v_lshl_add_u64 v[18:19], v[8:9], 1, v[18:19]
	flat_store_d16_hi_b16 v[18:19], v14
	flat_load_u16 v2, v[16:17] offset:32
	s_wait_loadcnt_dscnt 0x0
	v_lshlrev_b32_e32 v2, 16, v2
	v_mul_f32_e32 v2, s30, v2
	s_wait_xcnt 0x1
	s_delay_alu instid0(VALU_DEP_1) | instskip(NEXT) | instid1(VALU_DEP_1)
	v_and_b32_e32 v14, 0x7f800000, v2
	v_cmp_ne_u32_e32 vcc_lo, 0x7f800000, v14
                                        ; implicit-def: $vgpr14
	s_wait_xcnt 0x0
	s_and_saveexec_b32 s20, vcc_lo
	s_delay_alu instid0(SALU_CYCLE_1)
	s_xor_b32 s20, exec_lo, s20
; %bb.179:                              ;   in Loop: Header=BB141_4 Depth=1
	v_bfe_u32 v14, v2, 16, 1
	s_delay_alu instid0(VALU_DEP_1)
	v_add3_u32 v14, v2, v14, 0x7fff
                                        ; implicit-def: $vgpr2
; %bb.180:                              ;   in Loop: Header=BB141_4 Depth=1
	s_and_not1_saveexec_b32 s20, s20
; %bb.181:                              ;   in Loop: Header=BB141_4 Depth=1
	v_and_b32_e32 v14, 0xffff, v2
	v_or_b32_e32 v20, 0x10000, v2
	s_delay_alu instid0(VALU_DEP_2) | instskip(NEXT) | instid1(VALU_DEP_2)
	v_cmp_eq_u32_e32 vcc_lo, 0, v14
	v_cndmask_b32_e32 v14, v20, v2, vcc_lo
; %bb.182:                              ;   in Loop: Header=BB141_4 Depth=1
	s_or_b32 exec_lo, exec_lo, s20
	s_delay_alu instid0(VALU_DEP_1) | instskip(NEXT) | instid1(VALU_DEP_1)
	v_fma_mix_f32_bf16 v2, s2, v15, v14 op_sel:[0,0,1] op_sel_hi:[0,0,1]
	v_and_b32_e32 v14, 0x7f800000, v2
	s_delay_alu instid0(VALU_DEP_1) | instskip(SKIP_1) | instid1(SALU_CYCLE_1)
	v_cmp_ne_u32_e32 vcc_lo, 0x7f800000, v14
                                        ; implicit-def: $vgpr14
	s_and_saveexec_b32 s20, vcc_lo
	s_xor_b32 s20, exec_lo, s20
; %bb.183:                              ;   in Loop: Header=BB141_4 Depth=1
	v_bfe_u32 v14, v2, 16, 1
	s_delay_alu instid0(VALU_DEP_1)
	v_add3_u32 v14, v2, v14, 0x7fff
                                        ; implicit-def: $vgpr2
; %bb.184:                              ;   in Loop: Header=BB141_4 Depth=1
	s_and_not1_saveexec_b32 s20, s20
; %bb.185:                              ;   in Loop: Header=BB141_4 Depth=1
	v_and_b32_e32 v14, 0xffff, v2
	v_or_b32_e32 v15, 0x10000, v2
	s_delay_alu instid0(VALU_DEP_2) | instskip(NEXT) | instid1(VALU_DEP_2)
	v_cmp_eq_u32_e32 vcc_lo, 0, v14
	v_cndmask_b32_e32 v14, v15, v2, vcc_lo
; %bb.186:                              ;   in Loop: Header=BB141_4 Depth=1
	s_or_b32 exec_lo, exec_lo, s20
	flat_store_d16_hi_b16 v[18:19], v14 offset:32
	flat_load_u16 v2, v[16:17] offset:64
	s_wait_loadcnt_dscnt 0x0
	v_lshlrev_b32_e32 v2, 16, v2
	s_delay_alu instid0(VALU_DEP_1) | instskip(SKIP_1) | instid1(VALU_DEP_1)
	v_mul_f32_e32 v2, s30, v2
	s_wait_xcnt 0x1
	v_and_b32_e32 v14, 0x7f800000, v2
	s_delay_alu instid0(VALU_DEP_1) | instskip(SKIP_2) | instid1(SALU_CYCLE_1)
	v_cmp_ne_u32_e32 vcc_lo, 0x7f800000, v14
                                        ; implicit-def: $vgpr14
	s_wait_xcnt 0x0
	s_and_saveexec_b32 s20, vcc_lo
	s_xor_b32 s20, exec_lo, s20
; %bb.187:                              ;   in Loop: Header=BB141_4 Depth=1
	v_bfe_u32 v14, v2, 16, 1
	s_delay_alu instid0(VALU_DEP_1)
	v_add3_u32 v14, v2, v14, 0x7fff
                                        ; implicit-def: $vgpr2
; %bb.188:                              ;   in Loop: Header=BB141_4 Depth=1
	s_and_not1_saveexec_b32 s20, s20
; %bb.189:                              ;   in Loop: Header=BB141_4 Depth=1
	v_and_b32_e32 v14, 0xffff, v2
	v_or_b32_e32 v15, 0x10000, v2
	s_delay_alu instid0(VALU_DEP_2) | instskip(NEXT) | instid1(VALU_DEP_2)
	v_cmp_eq_u32_e32 vcc_lo, 0, v14
	v_cndmask_b32_e32 v14, v15, v2, vcc_lo
; %bb.190:                              ;   in Loop: Header=BB141_4 Depth=1
	s_or_b32 exec_lo, exec_lo, s20
	s_delay_alu instid0(VALU_DEP_1) | instskip(NEXT) | instid1(VALU_DEP_1)
	v_fma_mix_f32_bf16 v2, s2, v12, v14 op_sel:[0,0,1] op_sel_hi:[0,0,1]
	v_and_b32_e32 v12, 0x7f800000, v2
	s_delay_alu instid0(VALU_DEP_1) | instskip(SKIP_1) | instid1(SALU_CYCLE_1)
	v_cmp_ne_u32_e32 vcc_lo, 0x7f800000, v12
                                        ; implicit-def: $vgpr12
	s_and_saveexec_b32 s20, vcc_lo
	s_xor_b32 s20, exec_lo, s20
; %bb.191:                              ;   in Loop: Header=BB141_4 Depth=1
	v_bfe_u32 v12, v2, 16, 1
	s_delay_alu instid0(VALU_DEP_1)
	v_add3_u32 v12, v2, v12, 0x7fff
                                        ; implicit-def: $vgpr2
; %bb.192:                              ;   in Loop: Header=BB141_4 Depth=1
	s_and_not1_saveexec_b32 s20, s20
; %bb.193:                              ;   in Loop: Header=BB141_4 Depth=1
	v_and_b32_e32 v12, 0xffff, v2
	v_or_b32_e32 v14, 0x10000, v2
	s_delay_alu instid0(VALU_DEP_2) | instskip(NEXT) | instid1(VALU_DEP_2)
	v_cmp_eq_u32_e32 vcc_lo, 0, v12
	v_cndmask_b32_e32 v12, v14, v2, vcc_lo
; %bb.194:                              ;   in Loop: Header=BB141_4 Depth=1
	s_or_b32 exec_lo, exec_lo, s20
	flat_store_d16_hi_b16 v[18:19], v12 offset:64
	flat_load_u16 v2, v[16:17] offset:96
	s_wait_loadcnt_dscnt 0x0
	v_lshlrev_b32_e32 v2, 16, v2
	s_delay_alu instid0(VALU_DEP_1) | instskip(SKIP_1) | instid1(VALU_DEP_1)
	v_mul_f32_e32 v2, s30, v2
	s_wait_xcnt 0x1
	v_and_b32_e32 v12, 0x7f800000, v2
	s_delay_alu instid0(VALU_DEP_1) | instskip(SKIP_2) | instid1(SALU_CYCLE_1)
	v_cmp_ne_u32_e32 vcc_lo, 0x7f800000, v12
                                        ; implicit-def: $vgpr12
	s_wait_xcnt 0x0
	s_and_saveexec_b32 s20, vcc_lo
	s_xor_b32 s20, exec_lo, s20
; %bb.195:                              ;   in Loop: Header=BB141_4 Depth=1
	v_bfe_u32 v12, v2, 16, 1
	s_delay_alu instid0(VALU_DEP_1)
	v_add3_u32 v12, v2, v12, 0x7fff
                                        ; implicit-def: $vgpr2
; %bb.196:                              ;   in Loop: Header=BB141_4 Depth=1
	s_and_not1_saveexec_b32 s20, s20
; %bb.197:                              ;   in Loop: Header=BB141_4 Depth=1
	v_and_b32_e32 v12, 0xffff, v2
	v_or_b32_e32 v14, 0x10000, v2
	s_delay_alu instid0(VALU_DEP_2) | instskip(NEXT) | instid1(VALU_DEP_2)
	v_cmp_eq_u32_e32 vcc_lo, 0, v12
	v_cndmask_b32_e32 v12, v14, v2, vcc_lo
; %bb.198:                              ;   in Loop: Header=BB141_4 Depth=1
	s_or_b32 exec_lo, exec_lo, s20
	s_delay_alu instid0(VALU_DEP_1) | instskip(NEXT) | instid1(VALU_DEP_1)
	v_fma_mix_f32_bf16 v2, s2, v13, v12 op_sel:[0,0,1] op_sel_hi:[0,0,1]
	v_and_b32_e32 v12, 0x7f800000, v2
	s_delay_alu instid0(VALU_DEP_1) | instskip(SKIP_1) | instid1(SALU_CYCLE_1)
	v_cmp_ne_u32_e32 vcc_lo, 0x7f800000, v12
                                        ; implicit-def: $vgpr12
	s_and_saveexec_b32 s20, vcc_lo
	s_xor_b32 s20, exec_lo, s20
; %bb.199:                              ;   in Loop: Header=BB141_4 Depth=1
	v_bfe_u32 v12, v2, 16, 1
	s_delay_alu instid0(VALU_DEP_1)
	v_add3_u32 v12, v2, v12, 0x7fff
                                        ; implicit-def: $vgpr2
; %bb.200:                              ;   in Loop: Header=BB141_4 Depth=1
	s_and_not1_saveexec_b32 s20, s20
	s_cbranch_execz .LBB141_2
; %bb.201:                              ;   in Loop: Header=BB141_4 Depth=1
	v_and_b32_e32 v12, 0xffff, v2
	v_or_b32_e32 v13, 0x10000, v2
	s_delay_alu instid0(VALU_DEP_2) | instskip(NEXT) | instid1(VALU_DEP_2)
	v_cmp_eq_u32_e32 vcc_lo, 0, v12
	v_cndmask_b32_e32 v12, v13, v2, vcc_lo
	s_branch .LBB141_2
.LBB141_202:
	s_sendmsg sendmsg(MSG_DEALLOC_VGPRS)
	s_endpgm
	.section	.rodata,"a",@progbits
	.p2align	6, 0x0
	.amdhsa_kernel _ZN12_GLOBAL__N_127rocblas_gemm_batched_kernelIfLi16ELi16ELi64ELi64ELi4ELi64ELi4ELi4ELi64ELc84ELc78EKPK16rocblas_bfloat16S4_KPS1_EEvlllT_PT11_llS9_llS7_PT12_llPT13_lli
		.amdhsa_group_segment_fixed_size 2048
		.amdhsa_private_segment_fixed_size 0
		.amdhsa_kernarg_size 140
		.amdhsa_user_sgpr_count 2
		.amdhsa_user_sgpr_dispatch_ptr 0
		.amdhsa_user_sgpr_queue_ptr 0
		.amdhsa_user_sgpr_kernarg_segment_ptr 1
		.amdhsa_user_sgpr_dispatch_id 0
		.amdhsa_user_sgpr_kernarg_preload_length 0
		.amdhsa_user_sgpr_kernarg_preload_offset 0
		.amdhsa_user_sgpr_private_segment_size 0
		.amdhsa_wavefront_size32 1
		.amdhsa_uses_dynamic_stack 0
		.amdhsa_enable_private_segment 0
		.amdhsa_system_sgpr_workgroup_id_x 1
		.amdhsa_system_sgpr_workgroup_id_y 1
		.amdhsa_system_sgpr_workgroup_id_z 1
		.amdhsa_system_sgpr_workgroup_info 0
		.amdhsa_system_vgpr_workitem_id 1
		.amdhsa_next_free_vgpr 74
		.amdhsa_next_free_sgpr 38
		.amdhsa_named_barrier_count 0
		.amdhsa_reserve_vcc 1
		.amdhsa_float_round_mode_32 0
		.amdhsa_float_round_mode_16_64 0
		.amdhsa_float_denorm_mode_32 3
		.amdhsa_float_denorm_mode_16_64 3
		.amdhsa_fp16_overflow 0
		.amdhsa_memory_ordered 1
		.amdhsa_forward_progress 1
		.amdhsa_inst_pref_size 55
		.amdhsa_round_robin_scheduling 0
		.amdhsa_exception_fp_ieee_invalid_op 0
		.amdhsa_exception_fp_denorm_src 0
		.amdhsa_exception_fp_ieee_div_zero 0
		.amdhsa_exception_fp_ieee_overflow 0
		.amdhsa_exception_fp_ieee_underflow 0
		.amdhsa_exception_fp_ieee_inexact 0
		.amdhsa_exception_int_div_zero 0
	.end_amdhsa_kernel
	.section	.text._ZN12_GLOBAL__N_127rocblas_gemm_batched_kernelIfLi16ELi16ELi64ELi64ELi4ELi64ELi4ELi4ELi64ELc84ELc78EKPK16rocblas_bfloat16S4_KPS1_EEvlllT_PT11_llS9_llS7_PT12_llPT13_lli,"axG",@progbits,_ZN12_GLOBAL__N_127rocblas_gemm_batched_kernelIfLi16ELi16ELi64ELi64ELi4ELi64ELi4ELi4ELi64ELc84ELc78EKPK16rocblas_bfloat16S4_KPS1_EEvlllT_PT11_llS9_llS7_PT12_llPT13_lli,comdat
.Lfunc_end141:
	.size	_ZN12_GLOBAL__N_127rocblas_gemm_batched_kernelIfLi16ELi16ELi64ELi64ELi4ELi64ELi4ELi4ELi64ELc84ELc78EKPK16rocblas_bfloat16S4_KPS1_EEvlllT_PT11_llS9_llS7_PT12_llPT13_lli, .Lfunc_end141-_ZN12_GLOBAL__N_127rocblas_gemm_batched_kernelIfLi16ELi16ELi64ELi64ELi4ELi64ELi4ELi4ELi64ELc84ELc78EKPK16rocblas_bfloat16S4_KPS1_EEvlllT_PT11_llS9_llS7_PT12_llPT13_lli
                                        ; -- End function
	.set _ZN12_GLOBAL__N_127rocblas_gemm_batched_kernelIfLi16ELi16ELi64ELi64ELi4ELi64ELi4ELi4ELi64ELc84ELc78EKPK16rocblas_bfloat16S4_KPS1_EEvlllT_PT11_llS9_llS7_PT12_llPT13_lli.num_vgpr, 74
	.set _ZN12_GLOBAL__N_127rocblas_gemm_batched_kernelIfLi16ELi16ELi64ELi64ELi4ELi64ELi4ELi4ELi64ELc84ELc78EKPK16rocblas_bfloat16S4_KPS1_EEvlllT_PT11_llS9_llS7_PT12_llPT13_lli.num_agpr, 0
	.set _ZN12_GLOBAL__N_127rocblas_gemm_batched_kernelIfLi16ELi16ELi64ELi64ELi4ELi64ELi4ELi4ELi64ELc84ELc78EKPK16rocblas_bfloat16S4_KPS1_EEvlllT_PT11_llS9_llS7_PT12_llPT13_lli.numbered_sgpr, 38
	.set _ZN12_GLOBAL__N_127rocblas_gemm_batched_kernelIfLi16ELi16ELi64ELi64ELi4ELi64ELi4ELi4ELi64ELc84ELc78EKPK16rocblas_bfloat16S4_KPS1_EEvlllT_PT11_llS9_llS7_PT12_llPT13_lli.num_named_barrier, 0
	.set _ZN12_GLOBAL__N_127rocblas_gemm_batched_kernelIfLi16ELi16ELi64ELi64ELi4ELi64ELi4ELi4ELi64ELc84ELc78EKPK16rocblas_bfloat16S4_KPS1_EEvlllT_PT11_llS9_llS7_PT12_llPT13_lli.private_seg_size, 0
	.set _ZN12_GLOBAL__N_127rocblas_gemm_batched_kernelIfLi16ELi16ELi64ELi64ELi4ELi64ELi4ELi4ELi64ELc84ELc78EKPK16rocblas_bfloat16S4_KPS1_EEvlllT_PT11_llS9_llS7_PT12_llPT13_lli.uses_vcc, 1
	.set _ZN12_GLOBAL__N_127rocblas_gemm_batched_kernelIfLi16ELi16ELi64ELi64ELi4ELi64ELi4ELi4ELi64ELc84ELc78EKPK16rocblas_bfloat16S4_KPS1_EEvlllT_PT11_llS9_llS7_PT12_llPT13_lli.uses_flat_scratch, 0
	.set _ZN12_GLOBAL__N_127rocblas_gemm_batched_kernelIfLi16ELi16ELi64ELi64ELi4ELi64ELi4ELi4ELi64ELc84ELc78EKPK16rocblas_bfloat16S4_KPS1_EEvlllT_PT11_llS9_llS7_PT12_llPT13_lli.has_dyn_sized_stack, 0
	.set _ZN12_GLOBAL__N_127rocblas_gemm_batched_kernelIfLi16ELi16ELi64ELi64ELi4ELi64ELi4ELi4ELi64ELc84ELc78EKPK16rocblas_bfloat16S4_KPS1_EEvlllT_PT11_llS9_llS7_PT12_llPT13_lli.has_recursion, 0
	.set _ZN12_GLOBAL__N_127rocblas_gemm_batched_kernelIfLi16ELi16ELi64ELi64ELi4ELi64ELi4ELi4ELi64ELc84ELc78EKPK16rocblas_bfloat16S4_KPS1_EEvlllT_PT11_llS9_llS7_PT12_llPT13_lli.has_indirect_call, 0
	.section	.AMDGPU.csdata,"",@progbits
; Kernel info:
; codeLenInByte = 6980
; TotalNumSgprs: 40
; NumVgprs: 74
; ScratchSize: 0
; MemoryBound: 0
; FloatMode: 240
; IeeeMode: 1
; LDSByteSize: 2048 bytes/workgroup (compile time only)
; SGPRBlocks: 0
; VGPRBlocks: 4
; NumSGPRsForWavesPerEU: 40
; NumVGPRsForWavesPerEU: 74
; NamedBarCnt: 0
; Occupancy: 12
; WaveLimiterHint : 1
; COMPUTE_PGM_RSRC2:SCRATCH_EN: 0
; COMPUTE_PGM_RSRC2:USER_SGPR: 2
; COMPUTE_PGM_RSRC2:TRAP_HANDLER: 0
; COMPUTE_PGM_RSRC2:TGID_X_EN: 1
; COMPUTE_PGM_RSRC2:TGID_Y_EN: 1
; COMPUTE_PGM_RSRC2:TGID_Z_EN: 1
; COMPUTE_PGM_RSRC2:TIDIG_COMP_CNT: 1
	.section	.text._ZN12_GLOBAL__N_127rocblas_gemm_batched_kernelIfLi16ELi16ELi64ELi64ELi4ELi64ELi4ELi4ELi64ELc78ELc84EKPK16rocblas_bfloat16S4_KPS1_EEvlllT_PT11_llS9_llS7_PT12_llPT13_lli,"axG",@progbits,_ZN12_GLOBAL__N_127rocblas_gemm_batched_kernelIfLi16ELi16ELi64ELi64ELi4ELi64ELi4ELi4ELi64ELc78ELc84EKPK16rocblas_bfloat16S4_KPS1_EEvlllT_PT11_llS9_llS7_PT12_llPT13_lli,comdat
	.globl	_ZN12_GLOBAL__N_127rocblas_gemm_batched_kernelIfLi16ELi16ELi64ELi64ELi4ELi64ELi4ELi4ELi64ELc78ELc84EKPK16rocblas_bfloat16S4_KPS1_EEvlllT_PT11_llS9_llS7_PT12_llPT13_lli ; -- Begin function _ZN12_GLOBAL__N_127rocblas_gemm_batched_kernelIfLi16ELi16ELi64ELi64ELi4ELi64ELi4ELi4ELi64ELc78ELc84EKPK16rocblas_bfloat16S4_KPS1_EEvlllT_PT11_llS9_llS7_PT12_llPT13_lli
	.p2align	8
	.type	_ZN12_GLOBAL__N_127rocblas_gemm_batched_kernelIfLi16ELi16ELi64ELi64ELi4ELi64ELi4ELi4ELi64ELc78ELc84EKPK16rocblas_bfloat16S4_KPS1_EEvlllT_PT11_llS9_llS7_PT12_llPT13_lli,@function
_ZN12_GLOBAL__N_127rocblas_gemm_batched_kernelIfLi16ELi16ELi64ELi64ELi4ELi64ELi4ELi4ELi64ELc78ELc84EKPK16rocblas_bfloat16S4_KPS1_EEvlllT_PT11_llS9_llS7_PT12_llPT13_lli: ; @_ZN12_GLOBAL__N_127rocblas_gemm_batched_kernelIfLi16ELi16ELi64ELi64ELi4ELi64ELi4ELi4ELi64ELc78ELc84EKPK16rocblas_bfloat16S4_KPS1_EEvlllT_PT11_llS9_llS7_PT12_llPT13_lli
; %bb.0:
	s_load_b32 s3, s[0:1], 0x88
	s_bfe_u32 s2, ttmp6, 0x40014
	s_lshr_b32 s4, ttmp7, 16
	s_add_co_i32 s2, s2, 1
	s_bfe_u32 s6, ttmp6, 0x40008
	s_mul_i32 s5, s4, s2
	s_getreg_b32 s2, hwreg(HW_REG_IB_STS2, 6, 4)
	s_add_co_i32 s6, s6, s5
	s_cmp_eq_u32 s2, 0
	s_mov_b32 s29, 0
	s_cselect_b32 s28, s4, s6
	s_wait_kmcnt 0x0
	s_cmp_ge_i32 s28, s3
	s_cbranch_scc1 .LBB142_202
; %bb.1:
	v_bfe_u32 v2, v0, 10, 10
	s_clause 0x2
	s_load_b256 s[4:11], s[0:1], 0x20
	s_load_b128 s[20:23], s[0:1], 0x40
	s_load_b32 s30, s[0:1], 0x50
	v_and_b32_e32 v6, 0x3ff, v0
	s_bfe_u32 s33, ttmp6, 0x4000c
	s_bfe_u32 s34, ttmp6, 0x40010
	v_dual_mov_b32 v3, 0 :: v_dual_lshlrev_b32 v16, 4, v2
	s_add_co_i32 s33, s33, 1
	s_and_b32 s35, ttmp7, 0xffff
	s_add_co_i32 s34, s34, 1
	s_clause 0x1
	s_load_b128 s[24:27], s[0:1], 0x78
	s_load_b256 s[12:19], s[0:1], 0x58
	s_and_b32 s31, ttmp6, 15
	s_mul_i32 s33, ttmp9, s33
	s_mul_i32 s34, s35, s34
	s_bfe_u32 s36, ttmp6, 0x40004
	v_dual_add_nc_u32 v14, v16, v6 :: v_dual_bitop2_b32 v7, 3, v0 bitop3:0x40
	s_add_co_i32 s31, s31, s33
	s_add_co_i32 s36, s36, s34
	s_cmp_eq_u32 s2, 0
	s_delay_alu instid0(VALU_DEP_1)
	v_dual_mov_b32 v9, v3 :: v_dual_lshrrev_b32 v8, 2, v14
	s_cselect_b32 s34, ttmp9, s31
	v_dual_lshrrev_b32 v17, 6, v14 :: v_dual_bitop2_b32 v14, 63, v14 bitop3:0x40
	s_cselect_b32 s2, s35, s36
	s_ashr_i32 s35, s34, 31
	s_lshl_b32 s36, s2, 6
	s_lshl_b64 s[34:35], s[34:35], 6
	s_wait_kmcnt 0x0
	v_mad_nc_u64_u32 v[10:11], s20, v7, v[8:9]
	s_mov_b32 s37, s29
	v_mad_nc_u64_u32 v[12:13], s6, v17, s[34:35]
	v_add_nc_u64_e32 v[4:5], s[36:37], v[2:3]
	s_load_b96 s[0:2], s[0:1], 0x10
	v_dual_mov_b32 v15, v3 :: v_dual_lshlrev_b32 v2, 2, v7
	v_lshlrev_b32_e32 v18, 2, v14
	v_lshlrev_b32_e32 v37, 2, v6
	s_cmp_eq_f32 s30, 0
	s_delay_alu instid0(VALU_DEP_4)
	v_mul_u64_e32 v[0:1], s[24:25], v[4:5]
	v_mul_u64_e32 v[4:5], s[14:15], v[4:5]
	v_mad_u32 v11, s21, v7, v11
	v_mad_u32 v13, s7, v17, v13
	v_lshl_or_b32 v19, v8, 4, v2
	v_mov_b32_e32 v7, v3
	v_lshl_or_b32 v2, v17, 8, v18
	v_add_nc_u32_e32 v38, 0x400, v16
	s_cselect_b32 s31, -1, 0
	v_add_nc_u32_e32 v36, 0x400, v19
	v_add_nc_u64_e32 v[6:7], s[34:35], v[6:7]
	s_lshl_b64 s[24:25], s[24:25], 4
	s_lshl_b64 s[14:15], s[14:15], 4
	v_add_nc_u64_e32 v[8:9], s[36:37], v[10:11]
	v_add_nc_u64_e32 v[10:11], v[12:13], v[14:15]
	s_wait_kmcnt 0x0
	v_cmp_gt_i64_e64 s33, s[0:1], 0
	s_lshl_b64 s[20:21], s[20:21], 3
	s_lshl_b64 s[6:7], s[6:7], 3
	;; [unrolled: 1-line block ×3, first 2 shown]
	v_lshlrev_b64_e32 v[8:9], 1, v[8:9]
	v_lshlrev_b64_e32 v[10:11], 1, v[10:11]
	s_delay_alu instid0(VALU_DEP_2) | instskip(NEXT) | instid1(VALU_DEP_2)
	v_lshl_add_u64 v[8:9], s[22:23], 1, v[8:9]
	v_lshl_add_u64 v[10:11], s[8:9], 1, v[10:11]
	s_lshl_b64 s[8:9], s[26:27], 1
	s_branch .LBB142_4
.LBB142_2:                              ;   in Loop: Header=BB142_4 Depth=1
	s_or_b32 exec_lo, exec_lo, s22
	flat_store_d16_hi_b16 v[18:19], v13 offset:96
.LBB142_3:                              ;   in Loop: Header=BB142_4 Depth=1
	s_add_co_i32 s28, s28, 0x10000
	s_delay_alu instid0(SALU_CYCLE_1)
	s_cmp_lt_i32 s28, s3
	s_cbranch_scc0 .LBB142_202
.LBB142_4:                              ; =>This Loop Header: Depth=1
                                        ;     Child Loop BB142_6 Depth 2
	v_dual_mov_b32 v12, s28 :: v_dual_mov_b32 v27, 0
	v_dual_mov_b32 v26, 0 :: v_dual_mov_b32 v25, 0
	;; [unrolled: 1-line block ×3, first 2 shown]
	s_clause 0x1
	global_load_b64 v[28:29], v12, s[12:13] scale_offset
	global_load_b64 v[30:31], v12, s[18:19] scale_offset
	v_dual_mov_b32 v22, 0 :: v_dual_mov_b32 v21, 0
	s_wait_xcnt 0x2
	v_dual_mov_b32 v20, 0 :: v_dual_mov_b32 v19, 0
	v_dual_mov_b32 v18, 0 :: v_dual_mov_b32 v17, 0
	;; [unrolled: 1-line block ×4, first 2 shown]
	s_wait_xcnt 0x0
	v_mov_b32_e32 v12, 0
	s_and_not1_b32 vcc_lo, exec_lo, s33
	s_cbranch_vccnz .LBB142_7
; %bb.5:                                ;   in Loop: Header=BB142_4 Depth=1
	s_lshl_b64 s[22:23], s[28:29], 3
	v_mov_b32_e32 v12, 0
	s_add_nc_u64 s[26:27], s[10:11], s[22:23]
	s_add_nc_u64 s[22:23], s[4:5], s[22:23]
	s_clause 0x1
	global_load_b64 v[26:27], v3, s[26:27]
	global_load_b64 v[34:35], v3, s[22:23]
	s_wait_xcnt 0x0
	s_mov_b64 s[22:23], 0
	v_dual_mov_b32 v13, v12 :: v_dual_mov_b32 v14, v12
	v_dual_mov_b32 v15, v12 :: v_dual_mov_b32 v16, v12
	;; [unrolled: 1-line block ×6, first 2 shown]
	v_mov_b32_e32 v25, v12
	s_wait_loadcnt 0x1
	v_add_nc_u64_e32 v[32:33], v[26:27], v[8:9]
	s_wait_loadcnt 0x0
	v_add_nc_u64_e32 v[34:35], v[34:35], v[10:11]
	v_dual_mov_b32 v26, v12 :: v_dual_mov_b32 v27, v12
.LBB142_6:                              ;   Parent Loop BB142_4 Depth=1
                                        ; =>  This Inner Loop Header: Depth=2
	flat_load_u16 v39, v[34:35]
	flat_load_u16 v40, v[32:33]
	s_add_nc_u64 s[22:23], s[22:23], 4
	s_wait_xcnt 0x0
	v_add_nc_u64_e32 v[32:33], s[20:21], v[32:33]
	v_cmp_lt_i64_e64 s26, s[22:23], s[0:1]
	v_add_nc_u64_e32 v[34:35], s[6:7], v[34:35]
	s_and_b32 vcc_lo, exec_lo, s26
	s_wait_loadcnt_dscnt 0x0
	v_dual_lshlrev_b32 v39, 16, v39 :: v_dual_lshlrev_b32 v40, 16, v40
	ds_store_b32 v2, v39
	ds_store_b32 v36, v40
	s_wait_dscnt 0x0
	s_barrier_signal -1
	s_barrier_wait -1
	ds_load_b128 v[40:43], v38
	ds_load_2addr_b32 v[56:57], v37 offset1:16
	ds_load_2addr_b32 v[58:59], v37 offset0:32 offset1:48
	ds_load_b128 v[44:47], v38 offset:256
	ds_load_b128 v[48:51], v38 offset:512
	;; [unrolled: 1-line block ×3, first 2 shown]
	ds_load_2addr_b32 v[60:61], v37 offset0:64 offset1:80
	ds_load_2addr_b32 v[62:63], v37 offset0:96 offset1:112
	;; [unrolled: 1-line block ×6, first 2 shown]
	s_wait_dscnt 0x0
	s_barrier_signal -1
	s_barrier_wait -1
	v_mov_b32_e32 v72, v43
	v_pk_fma_f32 v[26:27], v[56:57], v[40:41], v[26:27] op_sel_hi:[1,0,1]
	v_pk_fma_f32 v[24:25], v[58:59], v[40:41], v[24:25] op_sel_hi:[1,0,1]
	;; [unrolled: 1-line block ×8, first 2 shown]
	v_pk_fma_f32 v[26:27], v[60:61], v[40:41], v[26:27] op_sel:[0,1,0]
	v_pk_fma_f32 v[24:25], v[62:63], v[40:41], v[24:25] op_sel:[0,1,0]
	;; [unrolled: 1-line block ×8, first 2 shown]
	v_dual_mov_b32 v56, v47 :: v_dual_mov_b32 v58, v51
	v_mov_b32_e32 v74, v55
	v_pk_fma_f32 v[26:27], v[64:65], v[42:43], v[26:27] op_sel_hi:[1,0,1]
	v_pk_fma_f32 v[24:25], v[66:67], v[42:43], v[24:25] op_sel_hi:[1,0,1]
	;; [unrolled: 1-line block ×16, first 2 shown]
	s_cbranch_vccnz .LBB142_6
.LBB142_7:                              ;   in Loop: Header=BB142_4 Depth=1
	s_wait_loadcnt 0x0
	v_add_nc_u64_e32 v[30:31], s[8:9], v[30:31]
	s_and_not1_b32 vcc_lo, exec_lo, s31
	s_cbranch_vccnz .LBB142_73
; %bb.8:                                ;   in Loop: Header=BB142_4 Depth=1
	v_mul_f32_e32 v32, s2, v26
	s_mov_b32 s22, exec_lo
                                        ; implicit-def: $vgpr39
	s_delay_alu instid0(VALU_DEP_1) | instskip(NEXT) | instid1(VALU_DEP_1)
	v_and_b32_e32 v33, 0x7f800000, v32
	v_cmpx_ne_u32_e32 0x7f800000, v33
	s_xor_b32 s22, exec_lo, s22
; %bb.9:                                ;   in Loop: Header=BB142_4 Depth=1
	v_bfe_u32 v33, v32, 16, 1
	s_delay_alu instid0(VALU_DEP_1)
	v_add3_u32 v39, v32, v33, 0x7fff
                                        ; implicit-def: $vgpr32
; %bb.10:                               ;   in Loop: Header=BB142_4 Depth=1
	s_and_not1_saveexec_b32 s22, s22
; %bb.11:                               ;   in Loop: Header=BB142_4 Depth=1
	v_and_b32_e32 v33, 0xffff, v32
	v_or_b32_e32 v34, 0x10000, v32
	s_delay_alu instid0(VALU_DEP_2) | instskip(NEXT) | instid1(VALU_DEP_2)
	v_cmp_eq_u32_e32 vcc_lo, 0, v33
	v_cndmask_b32_e32 v39, v34, v32, vcc_lo
; %bb.12:                               ;   in Loop: Header=BB142_4 Depth=1
	s_or_b32 exec_lo, exec_lo, s22
	v_mul_f32_e32 v40, s2, v27
	v_lshl_add_u64 v[32:33], v[0:1], 1, v[30:31]
	s_delay_alu instid0(VALU_DEP_2) | instskip(NEXT) | instid1(VALU_DEP_2)
	v_and_b32_e32 v41, 0x7f800000, v40
	v_lshl_add_u64 v[34:35], v[6:7], 1, v[32:33]
	s_delay_alu instid0(VALU_DEP_2) | instskip(SKIP_3) | instid1(SALU_CYCLE_1)
	v_cmp_ne_u32_e32 vcc_lo, 0x7f800000, v41
	flat_store_d16_hi_b16 v[34:35], v39
                                        ; implicit-def: $vgpr41
	s_wait_xcnt 0x0
	s_and_saveexec_b32 s22, vcc_lo
	s_xor_b32 s22, exec_lo, s22
; %bb.13:                               ;   in Loop: Header=BB142_4 Depth=1
	v_bfe_u32 v39, v40, 16, 1
	s_delay_alu instid0(VALU_DEP_1)
	v_add3_u32 v41, v40, v39, 0x7fff
                                        ; implicit-def: $vgpr40
; %bb.14:                               ;   in Loop: Header=BB142_4 Depth=1
	s_and_not1_saveexec_b32 s22, s22
; %bb.15:                               ;   in Loop: Header=BB142_4 Depth=1
	v_and_b32_e32 v39, 0xffff, v40
	v_or_b32_e32 v41, 0x10000, v40
	s_delay_alu instid0(VALU_DEP_2) | instskip(NEXT) | instid1(VALU_DEP_2)
	v_cmp_eq_u32_e32 vcc_lo, 0, v39
	v_cndmask_b32_e32 v41, v41, v40, vcc_lo
; %bb.16:                               ;   in Loop: Header=BB142_4 Depth=1
	s_or_b32 exec_lo, exec_lo, s22
	v_mul_f32_e32 v39, s2, v24
	flat_store_d16_hi_b16 v[34:35], v41 offset:32
	v_and_b32_e32 v40, 0x7f800000, v39
	s_delay_alu instid0(VALU_DEP_1) | instskip(SKIP_2) | instid1(SALU_CYCLE_1)
	v_cmp_ne_u32_e32 vcc_lo, 0x7f800000, v40
                                        ; implicit-def: $vgpr40
	s_wait_xcnt 0x0
	s_and_saveexec_b32 s22, vcc_lo
	s_xor_b32 s22, exec_lo, s22
; %bb.17:                               ;   in Loop: Header=BB142_4 Depth=1
	v_bfe_u32 v40, v39, 16, 1
	s_delay_alu instid0(VALU_DEP_1)
	v_add3_u32 v40, v39, v40, 0x7fff
                                        ; implicit-def: $vgpr39
; %bb.18:                               ;   in Loop: Header=BB142_4 Depth=1
	s_and_not1_saveexec_b32 s22, s22
; %bb.19:                               ;   in Loop: Header=BB142_4 Depth=1
	v_and_b32_e32 v40, 0xffff, v39
	v_or_b32_e32 v41, 0x10000, v39
	s_delay_alu instid0(VALU_DEP_2) | instskip(NEXT) | instid1(VALU_DEP_2)
	v_cmp_eq_u32_e32 vcc_lo, 0, v40
	v_cndmask_b32_e32 v40, v41, v39, vcc_lo
; %bb.20:                               ;   in Loop: Header=BB142_4 Depth=1
	s_or_b32 exec_lo, exec_lo, s22
	v_mul_f32_e32 v39, s2, v25
	flat_store_d16_hi_b16 v[34:35], v40 offset:64
	v_and_b32_e32 v41, 0x7f800000, v39
	s_delay_alu instid0(VALU_DEP_1) | instskip(SKIP_2) | instid1(SALU_CYCLE_1)
	v_cmp_ne_u32_e32 vcc_lo, 0x7f800000, v41
                                        ; implicit-def: $vgpr41
	s_wait_xcnt 0x0
	s_and_saveexec_b32 s22, vcc_lo
	s_xor_b32 s22, exec_lo, s22
; %bb.21:                               ;   in Loop: Header=BB142_4 Depth=1
	v_bfe_u32 v40, v39, 16, 1
	s_delay_alu instid0(VALU_DEP_1)
	v_add3_u32 v41, v39, v40, 0x7fff
                                        ; implicit-def: $vgpr39
; %bb.22:                               ;   in Loop: Header=BB142_4 Depth=1
	s_and_not1_saveexec_b32 s22, s22
; %bb.23:                               ;   in Loop: Header=BB142_4 Depth=1
	v_and_b32_e32 v40, 0xffff, v39
	v_or_b32_e32 v41, 0x10000, v39
	s_delay_alu instid0(VALU_DEP_2) | instskip(NEXT) | instid1(VALU_DEP_2)
	v_cmp_eq_u32_e32 vcc_lo, 0, v40
	v_cndmask_b32_e32 v41, v41, v39, vcc_lo
; %bb.24:                               ;   in Loop: Header=BB142_4 Depth=1
	s_or_b32 exec_lo, exec_lo, s22
	v_mul_f32_e32 v40, s2, v22
	flat_store_d16_hi_b16 v[34:35], v41 offset:96
	v_and_b32_e32 v39, 0x7f800000, v40
	s_delay_alu instid0(VALU_DEP_1) | instskip(SKIP_2) | instid1(SALU_CYCLE_1)
	v_cmp_ne_u32_e32 vcc_lo, 0x7f800000, v39
                                        ; implicit-def: $vgpr39
	s_wait_xcnt 0x0
	s_and_saveexec_b32 s22, vcc_lo
	s_xor_b32 s22, exec_lo, s22
; %bb.25:                               ;   in Loop: Header=BB142_4 Depth=1
	v_bfe_u32 v34, v40, 16, 1
	s_delay_alu instid0(VALU_DEP_1)
	v_add3_u32 v39, v40, v34, 0x7fff
                                        ; implicit-def: $vgpr40
; %bb.26:                               ;   in Loop: Header=BB142_4 Depth=1
	s_and_not1_saveexec_b32 s22, s22
; %bb.27:                               ;   in Loop: Header=BB142_4 Depth=1
	v_and_b32_e32 v34, 0xffff, v40
	v_or_b32_e32 v35, 0x10000, v40
	s_delay_alu instid0(VALU_DEP_2) | instskip(NEXT) | instid1(VALU_DEP_2)
	v_cmp_eq_u32_e32 vcc_lo, 0, v34
	v_cndmask_b32_e32 v39, v35, v40, vcc_lo
; %bb.28:                               ;   in Loop: Header=BB142_4 Depth=1
	s_or_b32 exec_lo, exec_lo, s22
	v_mul_f32_e32 v40, s2, v23
	v_lshl_add_u64 v[32:33], s[24:25], 1, v[32:33]
	s_delay_alu instid0(VALU_DEP_2) | instskip(NEXT) | instid1(VALU_DEP_2)
	v_and_b32_e32 v41, 0x7f800000, v40
	v_lshl_add_u64 v[34:35], v[6:7], 1, v[32:33]
	s_delay_alu instid0(VALU_DEP_2) | instskip(SKIP_3) | instid1(SALU_CYCLE_1)
	v_cmp_ne_u32_e32 vcc_lo, 0x7f800000, v41
	flat_store_d16_hi_b16 v[34:35], v39
                                        ; implicit-def: $vgpr41
	s_wait_xcnt 0x0
	s_and_saveexec_b32 s22, vcc_lo
	s_xor_b32 s22, exec_lo, s22
; %bb.29:                               ;   in Loop: Header=BB142_4 Depth=1
	v_bfe_u32 v39, v40, 16, 1
	s_delay_alu instid0(VALU_DEP_1)
	v_add3_u32 v41, v40, v39, 0x7fff
                                        ; implicit-def: $vgpr40
; %bb.30:                               ;   in Loop: Header=BB142_4 Depth=1
	s_and_not1_saveexec_b32 s22, s22
; %bb.31:                               ;   in Loop: Header=BB142_4 Depth=1
	v_and_b32_e32 v39, 0xffff, v40
	v_or_b32_e32 v41, 0x10000, v40
	s_delay_alu instid0(VALU_DEP_2) | instskip(NEXT) | instid1(VALU_DEP_2)
	v_cmp_eq_u32_e32 vcc_lo, 0, v39
	v_cndmask_b32_e32 v41, v41, v40, vcc_lo
; %bb.32:                               ;   in Loop: Header=BB142_4 Depth=1
	s_or_b32 exec_lo, exec_lo, s22
	v_mul_f32_e32 v39, s2, v20
	flat_store_d16_hi_b16 v[34:35], v41 offset:32
	v_and_b32_e32 v40, 0x7f800000, v39
	s_delay_alu instid0(VALU_DEP_1) | instskip(SKIP_2) | instid1(SALU_CYCLE_1)
	v_cmp_ne_u32_e32 vcc_lo, 0x7f800000, v40
                                        ; implicit-def: $vgpr40
	s_wait_xcnt 0x0
	s_and_saveexec_b32 s22, vcc_lo
	s_xor_b32 s22, exec_lo, s22
; %bb.33:                               ;   in Loop: Header=BB142_4 Depth=1
	v_bfe_u32 v40, v39, 16, 1
	s_delay_alu instid0(VALU_DEP_1)
	v_add3_u32 v40, v39, v40, 0x7fff
                                        ; implicit-def: $vgpr39
; %bb.34:                               ;   in Loop: Header=BB142_4 Depth=1
	s_and_not1_saveexec_b32 s22, s22
; %bb.35:                               ;   in Loop: Header=BB142_4 Depth=1
	v_and_b32_e32 v40, 0xffff, v39
	v_or_b32_e32 v41, 0x10000, v39
	s_delay_alu instid0(VALU_DEP_2) | instskip(NEXT) | instid1(VALU_DEP_2)
	v_cmp_eq_u32_e32 vcc_lo, 0, v40
	v_cndmask_b32_e32 v40, v41, v39, vcc_lo
; %bb.36:                               ;   in Loop: Header=BB142_4 Depth=1
	s_or_b32 exec_lo, exec_lo, s22
	v_mul_f32_e32 v39, s2, v21
	flat_store_d16_hi_b16 v[34:35], v40 offset:64
	v_and_b32_e32 v41, 0x7f800000, v39
	s_delay_alu instid0(VALU_DEP_1) | instskip(SKIP_2) | instid1(SALU_CYCLE_1)
	v_cmp_ne_u32_e32 vcc_lo, 0x7f800000, v41
                                        ; implicit-def: $vgpr41
	s_wait_xcnt 0x0
	s_and_saveexec_b32 s22, vcc_lo
	s_xor_b32 s22, exec_lo, s22
; %bb.37:                               ;   in Loop: Header=BB142_4 Depth=1
	v_bfe_u32 v40, v39, 16, 1
	s_delay_alu instid0(VALU_DEP_1)
	v_add3_u32 v41, v39, v40, 0x7fff
                                        ; implicit-def: $vgpr39
; %bb.38:                               ;   in Loop: Header=BB142_4 Depth=1
	s_and_not1_saveexec_b32 s22, s22
; %bb.39:                               ;   in Loop: Header=BB142_4 Depth=1
	v_and_b32_e32 v40, 0xffff, v39
	v_or_b32_e32 v41, 0x10000, v39
	s_delay_alu instid0(VALU_DEP_2) | instskip(NEXT) | instid1(VALU_DEP_2)
	v_cmp_eq_u32_e32 vcc_lo, 0, v40
	v_cndmask_b32_e32 v41, v41, v39, vcc_lo
; %bb.40:                               ;   in Loop: Header=BB142_4 Depth=1
	s_or_b32 exec_lo, exec_lo, s22
	v_mul_f32_e32 v40, s2, v18
	flat_store_d16_hi_b16 v[34:35], v41 offset:96
	v_and_b32_e32 v39, 0x7f800000, v40
	s_delay_alu instid0(VALU_DEP_1) | instskip(SKIP_2) | instid1(SALU_CYCLE_1)
	v_cmp_ne_u32_e32 vcc_lo, 0x7f800000, v39
                                        ; implicit-def: $vgpr39
	s_wait_xcnt 0x0
	s_and_saveexec_b32 s22, vcc_lo
	s_xor_b32 s22, exec_lo, s22
; %bb.41:                               ;   in Loop: Header=BB142_4 Depth=1
	v_bfe_u32 v34, v40, 16, 1
	s_delay_alu instid0(VALU_DEP_1)
	v_add3_u32 v39, v40, v34, 0x7fff
                                        ; implicit-def: $vgpr40
; %bb.42:                               ;   in Loop: Header=BB142_4 Depth=1
	s_and_not1_saveexec_b32 s22, s22
; %bb.43:                               ;   in Loop: Header=BB142_4 Depth=1
	v_and_b32_e32 v34, 0xffff, v40
	v_or_b32_e32 v35, 0x10000, v40
	s_delay_alu instid0(VALU_DEP_2) | instskip(NEXT) | instid1(VALU_DEP_2)
	v_cmp_eq_u32_e32 vcc_lo, 0, v34
	v_cndmask_b32_e32 v39, v35, v40, vcc_lo
; %bb.44:                               ;   in Loop: Header=BB142_4 Depth=1
	s_or_b32 exec_lo, exec_lo, s22
	v_mul_f32_e32 v40, s2, v19
	v_lshl_add_u64 v[32:33], s[24:25], 1, v[32:33]
	s_delay_alu instid0(VALU_DEP_2) | instskip(NEXT) | instid1(VALU_DEP_2)
	v_and_b32_e32 v41, 0x7f800000, v40
	v_lshl_add_u64 v[34:35], v[6:7], 1, v[32:33]
	s_delay_alu instid0(VALU_DEP_2) | instskip(SKIP_3) | instid1(SALU_CYCLE_1)
	v_cmp_ne_u32_e32 vcc_lo, 0x7f800000, v41
	flat_store_d16_hi_b16 v[34:35], v39
                                        ; implicit-def: $vgpr41
	s_wait_xcnt 0x0
	s_and_saveexec_b32 s22, vcc_lo
	s_xor_b32 s22, exec_lo, s22
; %bb.45:                               ;   in Loop: Header=BB142_4 Depth=1
	v_bfe_u32 v39, v40, 16, 1
	s_delay_alu instid0(VALU_DEP_1)
	v_add3_u32 v41, v40, v39, 0x7fff
                                        ; implicit-def: $vgpr40
; %bb.46:                               ;   in Loop: Header=BB142_4 Depth=1
	s_and_not1_saveexec_b32 s22, s22
; %bb.47:                               ;   in Loop: Header=BB142_4 Depth=1
	v_and_b32_e32 v39, 0xffff, v40
	v_or_b32_e32 v41, 0x10000, v40
	s_delay_alu instid0(VALU_DEP_2) | instskip(NEXT) | instid1(VALU_DEP_2)
	v_cmp_eq_u32_e32 vcc_lo, 0, v39
	v_cndmask_b32_e32 v41, v41, v40, vcc_lo
; %bb.48:                               ;   in Loop: Header=BB142_4 Depth=1
	s_or_b32 exec_lo, exec_lo, s22
	v_mul_f32_e32 v39, s2, v16
	flat_store_d16_hi_b16 v[34:35], v41 offset:32
	v_and_b32_e32 v40, 0x7f800000, v39
	s_delay_alu instid0(VALU_DEP_1) | instskip(SKIP_2) | instid1(SALU_CYCLE_1)
	v_cmp_ne_u32_e32 vcc_lo, 0x7f800000, v40
                                        ; implicit-def: $vgpr40
	s_wait_xcnt 0x0
	s_and_saveexec_b32 s22, vcc_lo
	s_xor_b32 s22, exec_lo, s22
; %bb.49:                               ;   in Loop: Header=BB142_4 Depth=1
	v_bfe_u32 v40, v39, 16, 1
	s_delay_alu instid0(VALU_DEP_1)
	v_add3_u32 v40, v39, v40, 0x7fff
                                        ; implicit-def: $vgpr39
; %bb.50:                               ;   in Loop: Header=BB142_4 Depth=1
	s_and_not1_saveexec_b32 s22, s22
; %bb.51:                               ;   in Loop: Header=BB142_4 Depth=1
	v_and_b32_e32 v40, 0xffff, v39
	v_or_b32_e32 v41, 0x10000, v39
	s_delay_alu instid0(VALU_DEP_2) | instskip(NEXT) | instid1(VALU_DEP_2)
	v_cmp_eq_u32_e32 vcc_lo, 0, v40
	v_cndmask_b32_e32 v40, v41, v39, vcc_lo
; %bb.52:                               ;   in Loop: Header=BB142_4 Depth=1
	s_or_b32 exec_lo, exec_lo, s22
	v_mul_f32_e32 v39, s2, v17
	s_mov_b32 s22, exec_lo
	flat_store_d16_hi_b16 v[34:35], v40 offset:64
                                        ; implicit-def: $vgpr40
	v_and_b32_e32 v41, 0x7f800000, v39
	s_wait_xcnt 0x0
	s_delay_alu instid0(VALU_DEP_1)
	v_cmpx_ne_u32_e32 0x7f800000, v41
	s_xor_b32 s22, exec_lo, s22
; %bb.53:                               ;   in Loop: Header=BB142_4 Depth=1
	v_bfe_u32 v40, v39, 16, 1
	s_delay_alu instid0(VALU_DEP_1)
	v_add3_u32 v40, v39, v40, 0x7fff
                                        ; implicit-def: $vgpr39
; %bb.54:                               ;   in Loop: Header=BB142_4 Depth=1
	s_and_not1_saveexec_b32 s22, s22
; %bb.55:                               ;   in Loop: Header=BB142_4 Depth=1
	v_and_b32_e32 v40, 0xffff, v39
	v_or_b32_e32 v41, 0x10000, v39
	s_delay_alu instid0(VALU_DEP_2) | instskip(NEXT) | instid1(VALU_DEP_2)
	v_cmp_eq_u32_e32 vcc_lo, 0, v40
	v_cndmask_b32_e32 v40, v41, v39, vcc_lo
; %bb.56:                               ;   in Loop: Header=BB142_4 Depth=1
	s_or_b32 exec_lo, exec_lo, s22
	v_mul_f32_e32 v39, s2, v14
	s_mov_b32 s22, exec_lo
	flat_store_d16_hi_b16 v[34:35], v40 offset:96
                                        ; implicit-def: $vgpr34
	v_and_b32_e32 v41, 0x7f800000, v39
	s_wait_xcnt 0x0
	s_delay_alu instid0(VALU_DEP_1)
	v_cmpx_ne_u32_e32 0x7f800000, v41
	s_xor_b32 s22, exec_lo, s22
; %bb.57:                               ;   in Loop: Header=BB142_4 Depth=1
	v_bfe_u32 v34, v39, 16, 1
	s_delay_alu instid0(VALU_DEP_1)
	v_add3_u32 v34, v39, v34, 0x7fff
                                        ; implicit-def: $vgpr39
; %bb.58:                               ;   in Loop: Header=BB142_4 Depth=1
	s_and_not1_saveexec_b32 s22, s22
; %bb.59:                               ;   in Loop: Header=BB142_4 Depth=1
	v_and_b32_e32 v34, 0xffff, v39
	v_or_b32_e32 v35, 0x10000, v39
	s_delay_alu instid0(VALU_DEP_2) | instskip(NEXT) | instid1(VALU_DEP_2)
	v_cmp_eq_u32_e32 vcc_lo, 0, v34
	v_cndmask_b32_e32 v34, v35, v39, vcc_lo
; %bb.60:                               ;   in Loop: Header=BB142_4 Depth=1
	s_or_b32 exec_lo, exec_lo, s22
	v_mul_f32_e32 v35, s2, v15
	v_lshl_add_u64 v[32:33], s[24:25], 1, v[32:33]
	s_delay_alu instid0(VALU_DEP_2) | instskip(NEXT) | instid1(VALU_DEP_2)
	v_and_b32_e32 v39, 0x7f800000, v35
	v_lshl_add_u64 v[32:33], v[6:7], 1, v[32:33]
	s_delay_alu instid0(VALU_DEP_2) | instskip(SKIP_3) | instid1(SALU_CYCLE_1)
	v_cmp_ne_u32_e32 vcc_lo, 0x7f800000, v39
	flat_store_d16_hi_b16 v[32:33], v34
                                        ; implicit-def: $vgpr39
	s_wait_xcnt 0x0
	s_and_saveexec_b32 s22, vcc_lo
	s_xor_b32 s22, exec_lo, s22
; %bb.61:                               ;   in Loop: Header=BB142_4 Depth=1
	v_bfe_u32 v34, v35, 16, 1
	s_delay_alu instid0(VALU_DEP_1)
	v_add3_u32 v39, v35, v34, 0x7fff
                                        ; implicit-def: $vgpr35
; %bb.62:                               ;   in Loop: Header=BB142_4 Depth=1
	s_and_not1_saveexec_b32 s22, s22
; %bb.63:                               ;   in Loop: Header=BB142_4 Depth=1
	v_and_b32_e32 v34, 0xffff, v35
	v_or_b32_e32 v39, 0x10000, v35
	s_delay_alu instid0(VALU_DEP_2) | instskip(NEXT) | instid1(VALU_DEP_2)
	v_cmp_eq_u32_e32 vcc_lo, 0, v34
	v_cndmask_b32_e32 v39, v39, v35, vcc_lo
; %bb.64:                               ;   in Loop: Header=BB142_4 Depth=1
	s_or_b32 exec_lo, exec_lo, s22
	v_mul_f32_e32 v34, s2, v12
	flat_store_d16_hi_b16 v[32:33], v39 offset:32
	v_and_b32_e32 v35, 0x7f800000, v34
	s_delay_alu instid0(VALU_DEP_1) | instskip(SKIP_2) | instid1(SALU_CYCLE_1)
	v_cmp_ne_u32_e32 vcc_lo, 0x7f800000, v35
                                        ; implicit-def: $vgpr35
	s_wait_xcnt 0x0
	s_and_saveexec_b32 s22, vcc_lo
	s_xor_b32 s22, exec_lo, s22
; %bb.65:                               ;   in Loop: Header=BB142_4 Depth=1
	v_bfe_u32 v35, v34, 16, 1
	s_delay_alu instid0(VALU_DEP_1)
	v_add3_u32 v35, v34, v35, 0x7fff
                                        ; implicit-def: $vgpr34
; %bb.66:                               ;   in Loop: Header=BB142_4 Depth=1
	s_and_not1_saveexec_b32 s22, s22
; %bb.67:                               ;   in Loop: Header=BB142_4 Depth=1
	v_and_b32_e32 v35, 0xffff, v34
	v_or_b32_e32 v39, 0x10000, v34
	s_delay_alu instid0(VALU_DEP_2) | instskip(NEXT) | instid1(VALU_DEP_2)
	v_cmp_eq_u32_e32 vcc_lo, 0, v35
	v_cndmask_b32_e32 v35, v39, v34, vcc_lo
; %bb.68:                               ;   in Loop: Header=BB142_4 Depth=1
	s_or_b32 exec_lo, exec_lo, s22
	v_mul_f32_e32 v34, s2, v13
	s_mov_b32 s22, exec_lo
	flat_store_d16_hi_b16 v[32:33], v35 offset:64
                                        ; implicit-def: $vgpr35
	v_and_b32_e32 v39, 0x7f800000, v34
	s_wait_xcnt 0x0
	s_delay_alu instid0(VALU_DEP_1)
	v_cmpx_ne_u32_e32 0x7f800000, v39
	s_xor_b32 s22, exec_lo, s22
; %bb.69:                               ;   in Loop: Header=BB142_4 Depth=1
	v_bfe_u32 v35, v34, 16, 1
	s_delay_alu instid0(VALU_DEP_1)
	v_add3_u32 v35, v34, v35, 0x7fff
                                        ; implicit-def: $vgpr34
; %bb.70:                               ;   in Loop: Header=BB142_4 Depth=1
	s_and_not1_saveexec_b32 s22, s22
; %bb.71:                               ;   in Loop: Header=BB142_4 Depth=1
	v_and_b32_e32 v35, 0xffff, v34
	v_or_b32_e32 v39, 0x10000, v34
	s_delay_alu instid0(VALU_DEP_2) | instskip(NEXT) | instid1(VALU_DEP_2)
	v_cmp_eq_u32_e32 vcc_lo, 0, v35
	v_cndmask_b32_e32 v35, v39, v34, vcc_lo
; %bb.72:                               ;   in Loop: Header=BB142_4 Depth=1
	s_or_b32 exec_lo, exec_lo, s22
	flat_store_d16_hi_b16 v[32:33], v35 offset:96
	s_branch .LBB142_3
.LBB142_73:                             ;   in Loop: Header=BB142_4 Depth=1
	s_cbranch_execz .LBB142_3
; %bb.74:                               ;   in Loop: Header=BB142_4 Depth=1
	v_add_nc_u64_e32 v[28:29], s[16:17], v[28:29]
	s_delay_alu instid0(VALU_DEP_1) | instskip(SKIP_1) | instid1(VALU_DEP_1)
	v_lshl_add_u64 v[28:29], v[4:5], 1, v[28:29]
	s_wait_xcnt 0x0
	v_lshl_add_u64 v[32:33], v[6:7], 1, v[28:29]
	flat_load_u16 v34, v[32:33]
	s_wait_loadcnt_dscnt 0x0
	v_lshlrev_b32_e32 v34, 16, v34
	s_delay_alu instid0(VALU_DEP_1) | instskip(NEXT) | instid1(VALU_DEP_1)
	v_mul_f32_e32 v34, s30, v34
	v_and_b32_e32 v35, 0x7f800000, v34
	s_delay_alu instid0(VALU_DEP_1) | instskip(SKIP_2) | instid1(SALU_CYCLE_1)
	v_cmp_ne_u32_e32 vcc_lo, 0x7f800000, v35
                                        ; implicit-def: $vgpr35
	s_wait_xcnt 0x0
	s_and_saveexec_b32 s22, vcc_lo
	s_xor_b32 s22, exec_lo, s22
; %bb.75:                               ;   in Loop: Header=BB142_4 Depth=1
	v_bfe_u32 v35, v34, 16, 1
	s_delay_alu instid0(VALU_DEP_1)
	v_add3_u32 v35, v34, v35, 0x7fff
                                        ; implicit-def: $vgpr34
; %bb.76:                               ;   in Loop: Header=BB142_4 Depth=1
	s_and_not1_saveexec_b32 s22, s22
; %bb.77:                               ;   in Loop: Header=BB142_4 Depth=1
	v_and_b32_e32 v35, 0xffff, v34
	v_or_b32_e32 v39, 0x10000, v34
	s_delay_alu instid0(VALU_DEP_2) | instskip(NEXT) | instid1(VALU_DEP_2)
	v_cmp_eq_u32_e32 vcc_lo, 0, v35
	v_cndmask_b32_e32 v35, v39, v34, vcc_lo
; %bb.78:                               ;   in Loop: Header=BB142_4 Depth=1
	s_or_b32 exec_lo, exec_lo, s22
	s_delay_alu instid0(VALU_DEP_1) | instskip(SKIP_1) | instid1(VALU_DEP_1)
	v_fma_mix_f32_bf16 v26, s2, v26, v35 op_sel:[0,0,1] op_sel_hi:[0,0,1]
	s_mov_b32 s22, exec_lo
                                        ; implicit-def: $vgpr39
	v_and_b32_e32 v34, 0x7f800000, v26
	s_delay_alu instid0(VALU_DEP_1)
	v_cmpx_ne_u32_e32 0x7f800000, v34
	s_xor_b32 s22, exec_lo, s22
; %bb.79:                               ;   in Loop: Header=BB142_4 Depth=1
	v_bfe_u32 v34, v26, 16, 1
	s_delay_alu instid0(VALU_DEP_1)
	v_add3_u32 v39, v26, v34, 0x7fff
                                        ; implicit-def: $vgpr26
; %bb.80:                               ;   in Loop: Header=BB142_4 Depth=1
	s_and_not1_saveexec_b32 s22, s22
; %bb.81:                               ;   in Loop: Header=BB142_4 Depth=1
	v_and_b32_e32 v34, 0xffff, v26
	v_or_b32_e32 v35, 0x10000, v26
	s_delay_alu instid0(VALU_DEP_2) | instskip(NEXT) | instid1(VALU_DEP_2)
	v_cmp_eq_u32_e32 vcc_lo, 0, v34
	v_cndmask_b32_e32 v39, v35, v26, vcc_lo
; %bb.82:                               ;   in Loop: Header=BB142_4 Depth=1
	s_or_b32 exec_lo, exec_lo, s22
	v_lshl_add_u64 v[30:31], v[0:1], 1, v[30:31]
	s_delay_alu instid0(VALU_DEP_1) | instskip(SKIP_4) | instid1(VALU_DEP_1)
	v_lshl_add_u64 v[34:35], v[6:7], 1, v[30:31]
	flat_store_d16_hi_b16 v[34:35], v39
	flat_load_u16 v26, v[32:33] offset:32
	s_wait_loadcnt_dscnt 0x0
	v_lshlrev_b32_e32 v26, 16, v26
	v_mul_f32_e32 v26, s30, v26
	s_wait_xcnt 0x1
	s_delay_alu instid0(VALU_DEP_1) | instskip(NEXT) | instid1(VALU_DEP_1)
	v_and_b32_e32 v39, 0x7f800000, v26
	v_cmp_ne_u32_e32 vcc_lo, 0x7f800000, v39
                                        ; implicit-def: $vgpr39
	s_wait_xcnt 0x0
	s_and_saveexec_b32 s22, vcc_lo
	s_delay_alu instid0(SALU_CYCLE_1)
	s_xor_b32 s22, exec_lo, s22
; %bb.83:                               ;   in Loop: Header=BB142_4 Depth=1
	v_bfe_u32 v39, v26, 16, 1
	s_delay_alu instid0(VALU_DEP_1)
	v_add3_u32 v39, v26, v39, 0x7fff
                                        ; implicit-def: $vgpr26
; %bb.84:                               ;   in Loop: Header=BB142_4 Depth=1
	s_and_not1_saveexec_b32 s22, s22
; %bb.85:                               ;   in Loop: Header=BB142_4 Depth=1
	v_and_b32_e32 v39, 0xffff, v26
	v_or_b32_e32 v40, 0x10000, v26
	s_delay_alu instid0(VALU_DEP_2) | instskip(NEXT) | instid1(VALU_DEP_2)
	v_cmp_eq_u32_e32 vcc_lo, 0, v39
	v_cndmask_b32_e32 v39, v40, v26, vcc_lo
; %bb.86:                               ;   in Loop: Header=BB142_4 Depth=1
	s_or_b32 exec_lo, exec_lo, s22
	s_delay_alu instid0(VALU_DEP_1) | instskip(NEXT) | instid1(VALU_DEP_1)
	v_fma_mix_f32_bf16 v26, s2, v27, v39 op_sel:[0,0,1] op_sel_hi:[0,0,1]
	v_and_b32_e32 v27, 0x7f800000, v26
	s_delay_alu instid0(VALU_DEP_1) | instskip(SKIP_1) | instid1(SALU_CYCLE_1)
	v_cmp_ne_u32_e32 vcc_lo, 0x7f800000, v27
                                        ; implicit-def: $vgpr27
	s_and_saveexec_b32 s22, vcc_lo
	s_xor_b32 s22, exec_lo, s22
; %bb.87:                               ;   in Loop: Header=BB142_4 Depth=1
	v_bfe_u32 v27, v26, 16, 1
	s_delay_alu instid0(VALU_DEP_1)
	v_add3_u32 v27, v26, v27, 0x7fff
                                        ; implicit-def: $vgpr26
; %bb.88:                               ;   in Loop: Header=BB142_4 Depth=1
	s_and_not1_saveexec_b32 s22, s22
; %bb.89:                               ;   in Loop: Header=BB142_4 Depth=1
	v_and_b32_e32 v27, 0xffff, v26
	v_or_b32_e32 v39, 0x10000, v26
	s_delay_alu instid0(VALU_DEP_2) | instskip(NEXT) | instid1(VALU_DEP_2)
	v_cmp_eq_u32_e32 vcc_lo, 0, v27
	v_cndmask_b32_e32 v27, v39, v26, vcc_lo
; %bb.90:                               ;   in Loop: Header=BB142_4 Depth=1
	s_or_b32 exec_lo, exec_lo, s22
	flat_store_d16_hi_b16 v[34:35], v27 offset:32
	flat_load_u16 v26, v[32:33] offset:64
	s_wait_loadcnt_dscnt 0x0
	v_lshlrev_b32_e32 v26, 16, v26
	s_delay_alu instid0(VALU_DEP_1) | instskip(SKIP_1) | instid1(VALU_DEP_1)
	v_mul_f32_e32 v26, s30, v26
	s_wait_xcnt 0x1
	v_and_b32_e32 v27, 0x7f800000, v26
	s_delay_alu instid0(VALU_DEP_1) | instskip(SKIP_2) | instid1(SALU_CYCLE_1)
	v_cmp_ne_u32_e32 vcc_lo, 0x7f800000, v27
                                        ; implicit-def: $vgpr27
	s_wait_xcnt 0x0
	s_and_saveexec_b32 s22, vcc_lo
	s_xor_b32 s22, exec_lo, s22
; %bb.91:                               ;   in Loop: Header=BB142_4 Depth=1
	v_bfe_u32 v27, v26, 16, 1
	s_delay_alu instid0(VALU_DEP_1)
	v_add3_u32 v27, v26, v27, 0x7fff
                                        ; implicit-def: $vgpr26
; %bb.92:                               ;   in Loop: Header=BB142_4 Depth=1
	s_and_not1_saveexec_b32 s22, s22
; %bb.93:                               ;   in Loop: Header=BB142_4 Depth=1
	v_and_b32_e32 v27, 0xffff, v26
	v_or_b32_e32 v39, 0x10000, v26
	s_delay_alu instid0(VALU_DEP_2) | instskip(NEXT) | instid1(VALU_DEP_2)
	v_cmp_eq_u32_e32 vcc_lo, 0, v27
	v_cndmask_b32_e32 v27, v39, v26, vcc_lo
; %bb.94:                               ;   in Loop: Header=BB142_4 Depth=1
	s_or_b32 exec_lo, exec_lo, s22
	s_delay_alu instid0(VALU_DEP_1) | instskip(NEXT) | instid1(VALU_DEP_1)
	v_fma_mix_f32_bf16 v24, s2, v24, v27 op_sel:[0,0,1] op_sel_hi:[0,0,1]
	v_and_b32_e32 v26, 0x7f800000, v24
	s_delay_alu instid0(VALU_DEP_1) | instskip(SKIP_1) | instid1(SALU_CYCLE_1)
	v_cmp_ne_u32_e32 vcc_lo, 0x7f800000, v26
                                        ; implicit-def: $vgpr26
	s_and_saveexec_b32 s22, vcc_lo
	s_xor_b32 s22, exec_lo, s22
; %bb.95:                               ;   in Loop: Header=BB142_4 Depth=1
	v_bfe_u32 v26, v24, 16, 1
	s_delay_alu instid0(VALU_DEP_1)
	v_add3_u32 v26, v24, v26, 0x7fff
                                        ; implicit-def: $vgpr24
; %bb.96:                               ;   in Loop: Header=BB142_4 Depth=1
	s_and_not1_saveexec_b32 s22, s22
; %bb.97:                               ;   in Loop: Header=BB142_4 Depth=1
	v_and_b32_e32 v26, 0xffff, v24
	v_or_b32_e32 v27, 0x10000, v24
	s_delay_alu instid0(VALU_DEP_2) | instskip(NEXT) | instid1(VALU_DEP_2)
	v_cmp_eq_u32_e32 vcc_lo, 0, v26
	v_cndmask_b32_e32 v26, v27, v24, vcc_lo
; %bb.98:                               ;   in Loop: Header=BB142_4 Depth=1
	s_or_b32 exec_lo, exec_lo, s22
	flat_store_d16_hi_b16 v[34:35], v26 offset:64
	flat_load_u16 v24, v[32:33] offset:96
	s_wait_loadcnt_dscnt 0x0
	v_lshlrev_b32_e32 v24, 16, v24
	s_delay_alu instid0(VALU_DEP_1) | instskip(SKIP_1) | instid1(VALU_DEP_1)
	v_mul_f32_e32 v24, s30, v24
	s_wait_xcnt 0x1
	v_and_b32_e32 v26, 0x7f800000, v24
	s_delay_alu instid0(VALU_DEP_1) | instskip(SKIP_2) | instid1(SALU_CYCLE_1)
	v_cmp_ne_u32_e32 vcc_lo, 0x7f800000, v26
                                        ; implicit-def: $vgpr26
	s_wait_xcnt 0x0
	s_and_saveexec_b32 s22, vcc_lo
	s_xor_b32 s22, exec_lo, s22
; %bb.99:                               ;   in Loop: Header=BB142_4 Depth=1
	v_bfe_u32 v26, v24, 16, 1
	s_delay_alu instid0(VALU_DEP_1)
	v_add3_u32 v26, v24, v26, 0x7fff
                                        ; implicit-def: $vgpr24
; %bb.100:                              ;   in Loop: Header=BB142_4 Depth=1
	s_and_not1_saveexec_b32 s22, s22
; %bb.101:                              ;   in Loop: Header=BB142_4 Depth=1
	v_and_b32_e32 v26, 0xffff, v24
	v_or_b32_e32 v27, 0x10000, v24
	s_delay_alu instid0(VALU_DEP_2) | instskip(NEXT) | instid1(VALU_DEP_2)
	v_cmp_eq_u32_e32 vcc_lo, 0, v26
	v_cndmask_b32_e32 v26, v27, v24, vcc_lo
; %bb.102:                              ;   in Loop: Header=BB142_4 Depth=1
	s_or_b32 exec_lo, exec_lo, s22
	s_delay_alu instid0(VALU_DEP_1) | instskip(SKIP_1) | instid1(VALU_DEP_1)
	v_fma_mix_f32_bf16 v24, s2, v25, v26 op_sel:[0,0,1] op_sel_hi:[0,0,1]
	s_mov_b32 s22, exec_lo
                                        ; implicit-def: $vgpr26
	v_and_b32_e32 v25, 0x7f800000, v24
	s_delay_alu instid0(VALU_DEP_1)
	v_cmpx_ne_u32_e32 0x7f800000, v25
	s_xor_b32 s22, exec_lo, s22
; %bb.103:                              ;   in Loop: Header=BB142_4 Depth=1
	v_bfe_u32 v25, v24, 16, 1
	s_delay_alu instid0(VALU_DEP_1)
	v_add3_u32 v26, v24, v25, 0x7fff
                                        ; implicit-def: $vgpr24
; %bb.104:                              ;   in Loop: Header=BB142_4 Depth=1
	s_and_not1_saveexec_b32 s22, s22
; %bb.105:                              ;   in Loop: Header=BB142_4 Depth=1
	v_and_b32_e32 v25, 0xffff, v24
	v_or_b32_e32 v26, 0x10000, v24
	s_delay_alu instid0(VALU_DEP_2) | instskip(NEXT) | instid1(VALU_DEP_2)
	v_cmp_eq_u32_e32 vcc_lo, 0, v25
	v_cndmask_b32_e32 v26, v26, v24, vcc_lo
; %bb.106:                              ;   in Loop: Header=BB142_4 Depth=1
	s_or_b32 exec_lo, exec_lo, s22
	v_lshl_add_u64 v[24:25], s[14:15], 1, v[28:29]
	flat_store_d16_hi_b16 v[34:35], v26 offset:96
	v_lshl_add_u64 v[28:29], v[6:7], 1, v[24:25]
	flat_load_u16 v26, v[28:29]
	s_wait_loadcnt_dscnt 0x0
	v_lshlrev_b32_e32 v26, 16, v26
	s_delay_alu instid0(VALU_DEP_1) | instskip(NEXT) | instid1(VALU_DEP_1)
	v_mul_f32_e32 v26, s30, v26
	v_and_b32_e32 v27, 0x7f800000, v26
	s_delay_alu instid0(VALU_DEP_1) | instskip(SKIP_2) | instid1(SALU_CYCLE_1)
	v_cmp_ne_u32_e32 vcc_lo, 0x7f800000, v27
                                        ; implicit-def: $vgpr27
	s_wait_xcnt 0x0
	s_and_saveexec_b32 s22, vcc_lo
	s_xor_b32 s22, exec_lo, s22
; %bb.107:                              ;   in Loop: Header=BB142_4 Depth=1
	v_bfe_u32 v27, v26, 16, 1
	s_delay_alu instid0(VALU_DEP_1)
	v_add3_u32 v27, v26, v27, 0x7fff
                                        ; implicit-def: $vgpr26
; %bb.108:                              ;   in Loop: Header=BB142_4 Depth=1
	s_and_not1_saveexec_b32 s22, s22
; %bb.109:                              ;   in Loop: Header=BB142_4 Depth=1
	v_and_b32_e32 v27, 0xffff, v26
	v_or_b32_e32 v32, 0x10000, v26
	s_delay_alu instid0(VALU_DEP_2) | instskip(NEXT) | instid1(VALU_DEP_2)
	v_cmp_eq_u32_e32 vcc_lo, 0, v27
	v_cndmask_b32_e32 v27, v32, v26, vcc_lo
; %bb.110:                              ;   in Loop: Header=BB142_4 Depth=1
	s_or_b32 exec_lo, exec_lo, s22
	s_delay_alu instid0(VALU_DEP_1) | instskip(SKIP_1) | instid1(VALU_DEP_1)
	v_fma_mix_f32_bf16 v22, s2, v22, v27 op_sel:[0,0,1] op_sel_hi:[0,0,1]
	s_mov_b32 s22, exec_lo
                                        ; implicit-def: $vgpr32
	v_and_b32_e32 v26, 0x7f800000, v22
	s_delay_alu instid0(VALU_DEP_1)
	v_cmpx_ne_u32_e32 0x7f800000, v26
	s_xor_b32 s22, exec_lo, s22
; %bb.111:                              ;   in Loop: Header=BB142_4 Depth=1
	v_bfe_u32 v26, v22, 16, 1
	s_delay_alu instid0(VALU_DEP_1)
	v_add3_u32 v32, v22, v26, 0x7fff
                                        ; implicit-def: $vgpr22
; %bb.112:                              ;   in Loop: Header=BB142_4 Depth=1
	s_and_not1_saveexec_b32 s22, s22
; %bb.113:                              ;   in Loop: Header=BB142_4 Depth=1
	v_and_b32_e32 v26, 0xffff, v22
	v_or_b32_e32 v27, 0x10000, v22
	s_delay_alu instid0(VALU_DEP_2) | instskip(NEXT) | instid1(VALU_DEP_2)
	v_cmp_eq_u32_e32 vcc_lo, 0, v26
	v_cndmask_b32_e32 v32, v27, v22, vcc_lo
; %bb.114:                              ;   in Loop: Header=BB142_4 Depth=1
	s_or_b32 exec_lo, exec_lo, s22
	v_lshl_add_u64 v[26:27], s[24:25], 1, v[30:31]
	s_delay_alu instid0(VALU_DEP_1) | instskip(SKIP_4) | instid1(VALU_DEP_1)
	v_lshl_add_u64 v[30:31], v[6:7], 1, v[26:27]
	flat_store_d16_hi_b16 v[30:31], v32
	flat_load_u16 v22, v[28:29] offset:32
	s_wait_loadcnt_dscnt 0x0
	v_lshlrev_b32_e32 v22, 16, v22
	v_mul_f32_e32 v22, s30, v22
	s_wait_xcnt 0x1
	s_delay_alu instid0(VALU_DEP_1) | instskip(NEXT) | instid1(VALU_DEP_1)
	v_and_b32_e32 v32, 0x7f800000, v22
	v_cmp_ne_u32_e32 vcc_lo, 0x7f800000, v32
                                        ; implicit-def: $vgpr32
	s_wait_xcnt 0x0
	s_and_saveexec_b32 s22, vcc_lo
	s_delay_alu instid0(SALU_CYCLE_1)
	s_xor_b32 s22, exec_lo, s22
; %bb.115:                              ;   in Loop: Header=BB142_4 Depth=1
	v_bfe_u32 v32, v22, 16, 1
	s_delay_alu instid0(VALU_DEP_1)
	v_add3_u32 v32, v22, v32, 0x7fff
                                        ; implicit-def: $vgpr22
; %bb.116:                              ;   in Loop: Header=BB142_4 Depth=1
	s_and_not1_saveexec_b32 s22, s22
; %bb.117:                              ;   in Loop: Header=BB142_4 Depth=1
	v_and_b32_e32 v32, 0xffff, v22
	v_or_b32_e32 v33, 0x10000, v22
	s_delay_alu instid0(VALU_DEP_2) | instskip(NEXT) | instid1(VALU_DEP_2)
	v_cmp_eq_u32_e32 vcc_lo, 0, v32
	v_cndmask_b32_e32 v32, v33, v22, vcc_lo
; %bb.118:                              ;   in Loop: Header=BB142_4 Depth=1
	s_or_b32 exec_lo, exec_lo, s22
	s_delay_alu instid0(VALU_DEP_1) | instskip(NEXT) | instid1(VALU_DEP_1)
	v_fma_mix_f32_bf16 v22, s2, v23, v32 op_sel:[0,0,1] op_sel_hi:[0,0,1]
	v_and_b32_e32 v23, 0x7f800000, v22
	s_delay_alu instid0(VALU_DEP_1) | instskip(SKIP_1) | instid1(SALU_CYCLE_1)
	v_cmp_ne_u32_e32 vcc_lo, 0x7f800000, v23
                                        ; implicit-def: $vgpr23
	s_and_saveexec_b32 s22, vcc_lo
	s_xor_b32 s22, exec_lo, s22
; %bb.119:                              ;   in Loop: Header=BB142_4 Depth=1
	v_bfe_u32 v23, v22, 16, 1
	s_delay_alu instid0(VALU_DEP_1)
	v_add3_u32 v23, v22, v23, 0x7fff
                                        ; implicit-def: $vgpr22
; %bb.120:                              ;   in Loop: Header=BB142_4 Depth=1
	s_and_not1_saveexec_b32 s22, s22
; %bb.121:                              ;   in Loop: Header=BB142_4 Depth=1
	v_and_b32_e32 v23, 0xffff, v22
	v_or_b32_e32 v32, 0x10000, v22
	s_delay_alu instid0(VALU_DEP_2) | instskip(NEXT) | instid1(VALU_DEP_2)
	v_cmp_eq_u32_e32 vcc_lo, 0, v23
	v_cndmask_b32_e32 v23, v32, v22, vcc_lo
; %bb.122:                              ;   in Loop: Header=BB142_4 Depth=1
	s_or_b32 exec_lo, exec_lo, s22
	flat_store_d16_hi_b16 v[30:31], v23 offset:32
	flat_load_u16 v22, v[28:29] offset:64
	s_wait_loadcnt_dscnt 0x0
	v_lshlrev_b32_e32 v22, 16, v22
	s_delay_alu instid0(VALU_DEP_1) | instskip(SKIP_1) | instid1(VALU_DEP_1)
	v_mul_f32_e32 v22, s30, v22
	s_wait_xcnt 0x1
	v_and_b32_e32 v23, 0x7f800000, v22
	s_delay_alu instid0(VALU_DEP_1) | instskip(SKIP_2) | instid1(SALU_CYCLE_1)
	v_cmp_ne_u32_e32 vcc_lo, 0x7f800000, v23
                                        ; implicit-def: $vgpr23
	s_wait_xcnt 0x0
	s_and_saveexec_b32 s22, vcc_lo
	s_xor_b32 s22, exec_lo, s22
; %bb.123:                              ;   in Loop: Header=BB142_4 Depth=1
	v_bfe_u32 v23, v22, 16, 1
	s_delay_alu instid0(VALU_DEP_1)
	v_add3_u32 v23, v22, v23, 0x7fff
                                        ; implicit-def: $vgpr22
; %bb.124:                              ;   in Loop: Header=BB142_4 Depth=1
	s_and_not1_saveexec_b32 s22, s22
; %bb.125:                              ;   in Loop: Header=BB142_4 Depth=1
	v_and_b32_e32 v23, 0xffff, v22
	v_or_b32_e32 v32, 0x10000, v22
	s_delay_alu instid0(VALU_DEP_2) | instskip(NEXT) | instid1(VALU_DEP_2)
	v_cmp_eq_u32_e32 vcc_lo, 0, v23
	v_cndmask_b32_e32 v23, v32, v22, vcc_lo
; %bb.126:                              ;   in Loop: Header=BB142_4 Depth=1
	s_or_b32 exec_lo, exec_lo, s22
	s_delay_alu instid0(VALU_DEP_1) | instskip(NEXT) | instid1(VALU_DEP_1)
	v_fma_mix_f32_bf16 v20, s2, v20, v23 op_sel:[0,0,1] op_sel_hi:[0,0,1]
	v_and_b32_e32 v22, 0x7f800000, v20
	s_delay_alu instid0(VALU_DEP_1) | instskip(SKIP_1) | instid1(SALU_CYCLE_1)
	v_cmp_ne_u32_e32 vcc_lo, 0x7f800000, v22
                                        ; implicit-def: $vgpr22
	s_and_saveexec_b32 s22, vcc_lo
	s_xor_b32 s22, exec_lo, s22
; %bb.127:                              ;   in Loop: Header=BB142_4 Depth=1
	v_bfe_u32 v22, v20, 16, 1
	s_delay_alu instid0(VALU_DEP_1)
	v_add3_u32 v22, v20, v22, 0x7fff
                                        ; implicit-def: $vgpr20
; %bb.128:                              ;   in Loop: Header=BB142_4 Depth=1
	s_and_not1_saveexec_b32 s22, s22
; %bb.129:                              ;   in Loop: Header=BB142_4 Depth=1
	v_and_b32_e32 v22, 0xffff, v20
	v_or_b32_e32 v23, 0x10000, v20
	s_delay_alu instid0(VALU_DEP_2) | instskip(NEXT) | instid1(VALU_DEP_2)
	v_cmp_eq_u32_e32 vcc_lo, 0, v22
	v_cndmask_b32_e32 v22, v23, v20, vcc_lo
; %bb.130:                              ;   in Loop: Header=BB142_4 Depth=1
	s_or_b32 exec_lo, exec_lo, s22
	flat_store_d16_hi_b16 v[30:31], v22 offset:64
	flat_load_u16 v20, v[28:29] offset:96
	s_wait_loadcnt_dscnt 0x0
	v_lshlrev_b32_e32 v20, 16, v20
	s_delay_alu instid0(VALU_DEP_1) | instskip(SKIP_1) | instid1(VALU_DEP_1)
	v_mul_f32_e32 v20, s30, v20
	s_wait_xcnt 0x1
	v_and_b32_e32 v22, 0x7f800000, v20
	s_delay_alu instid0(VALU_DEP_1) | instskip(SKIP_2) | instid1(SALU_CYCLE_1)
	v_cmp_ne_u32_e32 vcc_lo, 0x7f800000, v22
                                        ; implicit-def: $vgpr22
	s_wait_xcnt 0x0
	s_and_saveexec_b32 s22, vcc_lo
	s_xor_b32 s22, exec_lo, s22
; %bb.131:                              ;   in Loop: Header=BB142_4 Depth=1
	v_bfe_u32 v22, v20, 16, 1
	s_delay_alu instid0(VALU_DEP_1)
	v_add3_u32 v22, v20, v22, 0x7fff
                                        ; implicit-def: $vgpr20
; %bb.132:                              ;   in Loop: Header=BB142_4 Depth=1
	s_and_not1_saveexec_b32 s22, s22
; %bb.133:                              ;   in Loop: Header=BB142_4 Depth=1
	v_and_b32_e32 v22, 0xffff, v20
	v_or_b32_e32 v23, 0x10000, v20
	s_delay_alu instid0(VALU_DEP_2) | instskip(NEXT) | instid1(VALU_DEP_2)
	v_cmp_eq_u32_e32 vcc_lo, 0, v22
	v_cndmask_b32_e32 v22, v23, v20, vcc_lo
; %bb.134:                              ;   in Loop: Header=BB142_4 Depth=1
	s_or_b32 exec_lo, exec_lo, s22
	s_delay_alu instid0(VALU_DEP_1) | instskip(SKIP_1) | instid1(VALU_DEP_1)
	v_fma_mix_f32_bf16 v20, s2, v21, v22 op_sel:[0,0,1] op_sel_hi:[0,0,1]
	s_mov_b32 s22, exec_lo
                                        ; implicit-def: $vgpr22
	v_and_b32_e32 v21, 0x7f800000, v20
	s_delay_alu instid0(VALU_DEP_1)
	v_cmpx_ne_u32_e32 0x7f800000, v21
	s_xor_b32 s22, exec_lo, s22
; %bb.135:                              ;   in Loop: Header=BB142_4 Depth=1
	v_bfe_u32 v21, v20, 16, 1
	s_delay_alu instid0(VALU_DEP_1)
	v_add3_u32 v22, v20, v21, 0x7fff
                                        ; implicit-def: $vgpr20
; %bb.136:                              ;   in Loop: Header=BB142_4 Depth=1
	s_and_not1_saveexec_b32 s22, s22
; %bb.137:                              ;   in Loop: Header=BB142_4 Depth=1
	v_and_b32_e32 v21, 0xffff, v20
	v_or_b32_e32 v22, 0x10000, v20
	s_delay_alu instid0(VALU_DEP_2) | instskip(NEXT) | instid1(VALU_DEP_2)
	v_cmp_eq_u32_e32 vcc_lo, 0, v21
	v_cndmask_b32_e32 v22, v22, v20, vcc_lo
; %bb.138:                              ;   in Loop: Header=BB142_4 Depth=1
	s_or_b32 exec_lo, exec_lo, s22
	v_lshl_add_u64 v[20:21], s[14:15], 1, v[24:25]
	flat_store_d16_hi_b16 v[30:31], v22 offset:96
	v_lshl_add_u64 v[24:25], v[6:7], 1, v[20:21]
	flat_load_u16 v22, v[24:25]
	s_wait_loadcnt_dscnt 0x0
	v_lshlrev_b32_e32 v22, 16, v22
	s_delay_alu instid0(VALU_DEP_1) | instskip(NEXT) | instid1(VALU_DEP_1)
	v_mul_f32_e32 v22, s30, v22
	v_and_b32_e32 v23, 0x7f800000, v22
	s_delay_alu instid0(VALU_DEP_1) | instskip(SKIP_2) | instid1(SALU_CYCLE_1)
	v_cmp_ne_u32_e32 vcc_lo, 0x7f800000, v23
                                        ; implicit-def: $vgpr23
	s_wait_xcnt 0x0
	s_and_saveexec_b32 s22, vcc_lo
	s_xor_b32 s22, exec_lo, s22
; %bb.139:                              ;   in Loop: Header=BB142_4 Depth=1
	v_bfe_u32 v23, v22, 16, 1
	s_delay_alu instid0(VALU_DEP_1)
	v_add3_u32 v23, v22, v23, 0x7fff
                                        ; implicit-def: $vgpr22
; %bb.140:                              ;   in Loop: Header=BB142_4 Depth=1
	s_and_not1_saveexec_b32 s22, s22
; %bb.141:                              ;   in Loop: Header=BB142_4 Depth=1
	v_and_b32_e32 v23, 0xffff, v22
	v_or_b32_e32 v28, 0x10000, v22
	s_delay_alu instid0(VALU_DEP_2) | instskip(NEXT) | instid1(VALU_DEP_2)
	v_cmp_eq_u32_e32 vcc_lo, 0, v23
	v_cndmask_b32_e32 v23, v28, v22, vcc_lo
; %bb.142:                              ;   in Loop: Header=BB142_4 Depth=1
	s_or_b32 exec_lo, exec_lo, s22
	s_delay_alu instid0(VALU_DEP_1) | instskip(SKIP_1) | instid1(VALU_DEP_1)
	v_fma_mix_f32_bf16 v18, s2, v18, v23 op_sel:[0,0,1] op_sel_hi:[0,0,1]
	s_mov_b32 s22, exec_lo
                                        ; implicit-def: $vgpr28
	v_and_b32_e32 v22, 0x7f800000, v18
	s_delay_alu instid0(VALU_DEP_1)
	v_cmpx_ne_u32_e32 0x7f800000, v22
	s_xor_b32 s22, exec_lo, s22
; %bb.143:                              ;   in Loop: Header=BB142_4 Depth=1
	v_bfe_u32 v22, v18, 16, 1
	s_delay_alu instid0(VALU_DEP_1)
	v_add3_u32 v28, v18, v22, 0x7fff
                                        ; implicit-def: $vgpr18
; %bb.144:                              ;   in Loop: Header=BB142_4 Depth=1
	s_and_not1_saveexec_b32 s22, s22
; %bb.145:                              ;   in Loop: Header=BB142_4 Depth=1
	v_and_b32_e32 v22, 0xffff, v18
	v_or_b32_e32 v23, 0x10000, v18
	s_delay_alu instid0(VALU_DEP_2) | instskip(NEXT) | instid1(VALU_DEP_2)
	v_cmp_eq_u32_e32 vcc_lo, 0, v22
	v_cndmask_b32_e32 v28, v23, v18, vcc_lo
; %bb.146:                              ;   in Loop: Header=BB142_4 Depth=1
	s_or_b32 exec_lo, exec_lo, s22
	v_lshl_add_u64 v[22:23], s[24:25], 1, v[26:27]
	s_delay_alu instid0(VALU_DEP_1) | instskip(SKIP_4) | instid1(VALU_DEP_1)
	v_lshl_add_u64 v[26:27], v[6:7], 1, v[22:23]
	flat_store_d16_hi_b16 v[26:27], v28
	flat_load_u16 v18, v[24:25] offset:32
	s_wait_loadcnt_dscnt 0x0
	v_lshlrev_b32_e32 v18, 16, v18
	v_mul_f32_e32 v18, s30, v18
	s_wait_xcnt 0x1
	s_delay_alu instid0(VALU_DEP_1) | instskip(NEXT) | instid1(VALU_DEP_1)
	v_and_b32_e32 v28, 0x7f800000, v18
	v_cmp_ne_u32_e32 vcc_lo, 0x7f800000, v28
                                        ; implicit-def: $vgpr28
	s_wait_xcnt 0x0
	s_and_saveexec_b32 s22, vcc_lo
	s_delay_alu instid0(SALU_CYCLE_1)
	s_xor_b32 s22, exec_lo, s22
; %bb.147:                              ;   in Loop: Header=BB142_4 Depth=1
	v_bfe_u32 v28, v18, 16, 1
	s_delay_alu instid0(VALU_DEP_1)
	v_add3_u32 v28, v18, v28, 0x7fff
                                        ; implicit-def: $vgpr18
; %bb.148:                              ;   in Loop: Header=BB142_4 Depth=1
	s_and_not1_saveexec_b32 s22, s22
; %bb.149:                              ;   in Loop: Header=BB142_4 Depth=1
	v_and_b32_e32 v28, 0xffff, v18
	v_or_b32_e32 v29, 0x10000, v18
	s_delay_alu instid0(VALU_DEP_2) | instskip(NEXT) | instid1(VALU_DEP_2)
	v_cmp_eq_u32_e32 vcc_lo, 0, v28
	v_cndmask_b32_e32 v28, v29, v18, vcc_lo
; %bb.150:                              ;   in Loop: Header=BB142_4 Depth=1
	s_or_b32 exec_lo, exec_lo, s22
	s_delay_alu instid0(VALU_DEP_1) | instskip(NEXT) | instid1(VALU_DEP_1)
	v_fma_mix_f32_bf16 v18, s2, v19, v28 op_sel:[0,0,1] op_sel_hi:[0,0,1]
	v_and_b32_e32 v19, 0x7f800000, v18
	s_delay_alu instid0(VALU_DEP_1) | instskip(SKIP_1) | instid1(SALU_CYCLE_1)
	v_cmp_ne_u32_e32 vcc_lo, 0x7f800000, v19
                                        ; implicit-def: $vgpr19
	s_and_saveexec_b32 s22, vcc_lo
	s_xor_b32 s22, exec_lo, s22
; %bb.151:                              ;   in Loop: Header=BB142_4 Depth=1
	v_bfe_u32 v19, v18, 16, 1
	s_delay_alu instid0(VALU_DEP_1)
	v_add3_u32 v19, v18, v19, 0x7fff
                                        ; implicit-def: $vgpr18
; %bb.152:                              ;   in Loop: Header=BB142_4 Depth=1
	s_and_not1_saveexec_b32 s22, s22
; %bb.153:                              ;   in Loop: Header=BB142_4 Depth=1
	v_and_b32_e32 v19, 0xffff, v18
	v_or_b32_e32 v28, 0x10000, v18
	s_delay_alu instid0(VALU_DEP_2) | instskip(NEXT) | instid1(VALU_DEP_2)
	v_cmp_eq_u32_e32 vcc_lo, 0, v19
	v_cndmask_b32_e32 v19, v28, v18, vcc_lo
; %bb.154:                              ;   in Loop: Header=BB142_4 Depth=1
	s_or_b32 exec_lo, exec_lo, s22
	flat_store_d16_hi_b16 v[26:27], v19 offset:32
	flat_load_u16 v18, v[24:25] offset:64
	s_wait_loadcnt_dscnt 0x0
	v_lshlrev_b32_e32 v18, 16, v18
	s_delay_alu instid0(VALU_DEP_1) | instskip(SKIP_1) | instid1(VALU_DEP_1)
	v_mul_f32_e32 v18, s30, v18
	s_wait_xcnt 0x1
	v_and_b32_e32 v19, 0x7f800000, v18
	s_delay_alu instid0(VALU_DEP_1) | instskip(SKIP_2) | instid1(SALU_CYCLE_1)
	v_cmp_ne_u32_e32 vcc_lo, 0x7f800000, v19
                                        ; implicit-def: $vgpr19
	s_wait_xcnt 0x0
	s_and_saveexec_b32 s22, vcc_lo
	s_xor_b32 s22, exec_lo, s22
; %bb.155:                              ;   in Loop: Header=BB142_4 Depth=1
	v_bfe_u32 v19, v18, 16, 1
	s_delay_alu instid0(VALU_DEP_1)
	v_add3_u32 v19, v18, v19, 0x7fff
                                        ; implicit-def: $vgpr18
; %bb.156:                              ;   in Loop: Header=BB142_4 Depth=1
	s_and_not1_saveexec_b32 s22, s22
; %bb.157:                              ;   in Loop: Header=BB142_4 Depth=1
	v_and_b32_e32 v19, 0xffff, v18
	v_or_b32_e32 v28, 0x10000, v18
	s_delay_alu instid0(VALU_DEP_2) | instskip(NEXT) | instid1(VALU_DEP_2)
	v_cmp_eq_u32_e32 vcc_lo, 0, v19
	v_cndmask_b32_e32 v19, v28, v18, vcc_lo
; %bb.158:                              ;   in Loop: Header=BB142_4 Depth=1
	s_or_b32 exec_lo, exec_lo, s22
	s_delay_alu instid0(VALU_DEP_1) | instskip(NEXT) | instid1(VALU_DEP_1)
	v_fma_mix_f32_bf16 v16, s2, v16, v19 op_sel:[0,0,1] op_sel_hi:[0,0,1]
	v_and_b32_e32 v18, 0x7f800000, v16
	s_delay_alu instid0(VALU_DEP_1) | instskip(SKIP_1) | instid1(SALU_CYCLE_1)
	v_cmp_ne_u32_e32 vcc_lo, 0x7f800000, v18
                                        ; implicit-def: $vgpr18
	s_and_saveexec_b32 s22, vcc_lo
	s_xor_b32 s22, exec_lo, s22
; %bb.159:                              ;   in Loop: Header=BB142_4 Depth=1
	v_bfe_u32 v18, v16, 16, 1
	s_delay_alu instid0(VALU_DEP_1)
	v_add3_u32 v18, v16, v18, 0x7fff
                                        ; implicit-def: $vgpr16
; %bb.160:                              ;   in Loop: Header=BB142_4 Depth=1
	s_and_not1_saveexec_b32 s22, s22
; %bb.161:                              ;   in Loop: Header=BB142_4 Depth=1
	v_and_b32_e32 v18, 0xffff, v16
	v_or_b32_e32 v19, 0x10000, v16
	s_delay_alu instid0(VALU_DEP_2) | instskip(NEXT) | instid1(VALU_DEP_2)
	v_cmp_eq_u32_e32 vcc_lo, 0, v18
	v_cndmask_b32_e32 v18, v19, v16, vcc_lo
; %bb.162:                              ;   in Loop: Header=BB142_4 Depth=1
	s_or_b32 exec_lo, exec_lo, s22
	flat_store_d16_hi_b16 v[26:27], v18 offset:64
	flat_load_u16 v16, v[24:25] offset:96
	s_wait_loadcnt_dscnt 0x0
	v_lshlrev_b32_e32 v16, 16, v16
	s_delay_alu instid0(VALU_DEP_1) | instskip(SKIP_1) | instid1(VALU_DEP_1)
	v_mul_f32_e32 v16, s30, v16
	s_wait_xcnt 0x1
	v_and_b32_e32 v18, 0x7f800000, v16
	s_delay_alu instid0(VALU_DEP_1) | instskip(SKIP_2) | instid1(SALU_CYCLE_1)
	v_cmp_ne_u32_e32 vcc_lo, 0x7f800000, v18
                                        ; implicit-def: $vgpr18
	s_wait_xcnt 0x0
	s_and_saveexec_b32 s22, vcc_lo
	s_xor_b32 s22, exec_lo, s22
; %bb.163:                              ;   in Loop: Header=BB142_4 Depth=1
	v_bfe_u32 v18, v16, 16, 1
	s_delay_alu instid0(VALU_DEP_1)
	v_add3_u32 v18, v16, v18, 0x7fff
                                        ; implicit-def: $vgpr16
; %bb.164:                              ;   in Loop: Header=BB142_4 Depth=1
	s_and_not1_saveexec_b32 s22, s22
; %bb.165:                              ;   in Loop: Header=BB142_4 Depth=1
	v_and_b32_e32 v18, 0xffff, v16
	v_or_b32_e32 v19, 0x10000, v16
	s_delay_alu instid0(VALU_DEP_2) | instskip(NEXT) | instid1(VALU_DEP_2)
	v_cmp_eq_u32_e32 vcc_lo, 0, v18
	v_cndmask_b32_e32 v18, v19, v16, vcc_lo
; %bb.166:                              ;   in Loop: Header=BB142_4 Depth=1
	s_or_b32 exec_lo, exec_lo, s22
	s_delay_alu instid0(VALU_DEP_1) | instskip(SKIP_1) | instid1(VALU_DEP_1)
	v_fma_mix_f32_bf16 v16, s2, v17, v18 op_sel:[0,0,1] op_sel_hi:[0,0,1]
	s_mov_b32 s22, exec_lo
                                        ; implicit-def: $vgpr18
	v_and_b32_e32 v17, 0x7f800000, v16
	s_delay_alu instid0(VALU_DEP_1)
	v_cmpx_ne_u32_e32 0x7f800000, v17
	s_xor_b32 s22, exec_lo, s22
; %bb.167:                              ;   in Loop: Header=BB142_4 Depth=1
	v_bfe_u32 v17, v16, 16, 1
	s_delay_alu instid0(VALU_DEP_1)
	v_add3_u32 v18, v16, v17, 0x7fff
                                        ; implicit-def: $vgpr16
; %bb.168:                              ;   in Loop: Header=BB142_4 Depth=1
	s_and_not1_saveexec_b32 s22, s22
; %bb.169:                              ;   in Loop: Header=BB142_4 Depth=1
	v_and_b32_e32 v17, 0xffff, v16
	v_or_b32_e32 v18, 0x10000, v16
	s_delay_alu instid0(VALU_DEP_2) | instskip(NEXT) | instid1(VALU_DEP_2)
	v_cmp_eq_u32_e32 vcc_lo, 0, v17
	v_cndmask_b32_e32 v18, v18, v16, vcc_lo
; %bb.170:                              ;   in Loop: Header=BB142_4 Depth=1
	s_or_b32 exec_lo, exec_lo, s22
	v_lshl_add_u64 v[16:17], s[14:15], 1, v[20:21]
	flat_store_d16_hi_b16 v[26:27], v18 offset:96
	v_lshl_add_u64 v[16:17], v[6:7], 1, v[16:17]
	flat_load_u16 v18, v[16:17]
	s_wait_loadcnt_dscnt 0x0
	v_lshlrev_b32_e32 v18, 16, v18
	s_delay_alu instid0(VALU_DEP_1) | instskip(NEXT) | instid1(VALU_DEP_1)
	v_mul_f32_e32 v18, s30, v18
	v_and_b32_e32 v19, 0x7f800000, v18
	s_delay_alu instid0(VALU_DEP_1) | instskip(SKIP_2) | instid1(SALU_CYCLE_1)
	v_cmp_ne_u32_e32 vcc_lo, 0x7f800000, v19
                                        ; implicit-def: $vgpr19
	s_wait_xcnt 0x0
	s_and_saveexec_b32 s22, vcc_lo
	s_xor_b32 s22, exec_lo, s22
; %bb.171:                              ;   in Loop: Header=BB142_4 Depth=1
	v_bfe_u32 v19, v18, 16, 1
	s_delay_alu instid0(VALU_DEP_1)
	v_add3_u32 v19, v18, v19, 0x7fff
                                        ; implicit-def: $vgpr18
; %bb.172:                              ;   in Loop: Header=BB142_4 Depth=1
	s_and_not1_saveexec_b32 s22, s22
; %bb.173:                              ;   in Loop: Header=BB142_4 Depth=1
	v_and_b32_e32 v19, 0xffff, v18
	v_or_b32_e32 v20, 0x10000, v18
	s_delay_alu instid0(VALU_DEP_2) | instskip(NEXT) | instid1(VALU_DEP_2)
	v_cmp_eq_u32_e32 vcc_lo, 0, v19
	v_cndmask_b32_e32 v19, v20, v18, vcc_lo
; %bb.174:                              ;   in Loop: Header=BB142_4 Depth=1
	s_or_b32 exec_lo, exec_lo, s22
	s_delay_alu instid0(VALU_DEP_1) | instskip(SKIP_1) | instid1(VALU_DEP_1)
	v_fma_mix_f32_bf16 v14, s2, v14, v19 op_sel:[0,0,1] op_sel_hi:[0,0,1]
	s_mov_b32 s22, exec_lo
                                        ; implicit-def: $vgpr20
	v_and_b32_e32 v18, 0x7f800000, v14
	s_delay_alu instid0(VALU_DEP_1)
	v_cmpx_ne_u32_e32 0x7f800000, v18
	s_xor_b32 s22, exec_lo, s22
; %bb.175:                              ;   in Loop: Header=BB142_4 Depth=1
	v_bfe_u32 v18, v14, 16, 1
	s_delay_alu instid0(VALU_DEP_1)
	v_add3_u32 v20, v14, v18, 0x7fff
                                        ; implicit-def: $vgpr14
; %bb.176:                              ;   in Loop: Header=BB142_4 Depth=1
	s_and_not1_saveexec_b32 s22, s22
; %bb.177:                              ;   in Loop: Header=BB142_4 Depth=1
	v_and_b32_e32 v18, 0xffff, v14
	v_or_b32_e32 v19, 0x10000, v14
	s_delay_alu instid0(VALU_DEP_2) | instskip(NEXT) | instid1(VALU_DEP_2)
	v_cmp_eq_u32_e32 vcc_lo, 0, v18
	v_cndmask_b32_e32 v20, v19, v14, vcc_lo
; %bb.178:                              ;   in Loop: Header=BB142_4 Depth=1
	s_or_b32 exec_lo, exec_lo, s22
	v_lshl_add_u64 v[18:19], s[24:25], 1, v[22:23]
	s_delay_alu instid0(VALU_DEP_1) | instskip(SKIP_4) | instid1(VALU_DEP_1)
	v_lshl_add_u64 v[18:19], v[6:7], 1, v[18:19]
	flat_store_d16_hi_b16 v[18:19], v20
	flat_load_u16 v14, v[16:17] offset:32
	s_wait_loadcnt_dscnt 0x0
	v_lshlrev_b32_e32 v14, 16, v14
	v_mul_f32_e32 v14, s30, v14
	s_wait_xcnt 0x1
	s_delay_alu instid0(VALU_DEP_1) | instskip(NEXT) | instid1(VALU_DEP_1)
	v_and_b32_e32 v20, 0x7f800000, v14
	v_cmp_ne_u32_e32 vcc_lo, 0x7f800000, v20
                                        ; implicit-def: $vgpr20
	s_wait_xcnt 0x0
	s_and_saveexec_b32 s22, vcc_lo
	s_delay_alu instid0(SALU_CYCLE_1)
	s_xor_b32 s22, exec_lo, s22
; %bb.179:                              ;   in Loop: Header=BB142_4 Depth=1
	v_bfe_u32 v20, v14, 16, 1
	s_delay_alu instid0(VALU_DEP_1)
	v_add3_u32 v20, v14, v20, 0x7fff
                                        ; implicit-def: $vgpr14
; %bb.180:                              ;   in Loop: Header=BB142_4 Depth=1
	s_and_not1_saveexec_b32 s22, s22
; %bb.181:                              ;   in Loop: Header=BB142_4 Depth=1
	v_and_b32_e32 v20, 0xffff, v14
	v_or_b32_e32 v21, 0x10000, v14
	s_delay_alu instid0(VALU_DEP_2) | instskip(NEXT) | instid1(VALU_DEP_2)
	v_cmp_eq_u32_e32 vcc_lo, 0, v20
	v_cndmask_b32_e32 v20, v21, v14, vcc_lo
; %bb.182:                              ;   in Loop: Header=BB142_4 Depth=1
	s_or_b32 exec_lo, exec_lo, s22
	s_delay_alu instid0(VALU_DEP_1) | instskip(NEXT) | instid1(VALU_DEP_1)
	v_fma_mix_f32_bf16 v14, s2, v15, v20 op_sel:[0,0,1] op_sel_hi:[0,0,1]
	v_and_b32_e32 v15, 0x7f800000, v14
	s_delay_alu instid0(VALU_DEP_1) | instskip(SKIP_1) | instid1(SALU_CYCLE_1)
	v_cmp_ne_u32_e32 vcc_lo, 0x7f800000, v15
                                        ; implicit-def: $vgpr15
	s_and_saveexec_b32 s22, vcc_lo
	s_xor_b32 s22, exec_lo, s22
; %bb.183:                              ;   in Loop: Header=BB142_4 Depth=1
	v_bfe_u32 v15, v14, 16, 1
	s_delay_alu instid0(VALU_DEP_1)
	v_add3_u32 v15, v14, v15, 0x7fff
                                        ; implicit-def: $vgpr14
; %bb.184:                              ;   in Loop: Header=BB142_4 Depth=1
	s_and_not1_saveexec_b32 s22, s22
; %bb.185:                              ;   in Loop: Header=BB142_4 Depth=1
	v_and_b32_e32 v15, 0xffff, v14
	v_or_b32_e32 v20, 0x10000, v14
	s_delay_alu instid0(VALU_DEP_2) | instskip(NEXT) | instid1(VALU_DEP_2)
	v_cmp_eq_u32_e32 vcc_lo, 0, v15
	v_cndmask_b32_e32 v15, v20, v14, vcc_lo
; %bb.186:                              ;   in Loop: Header=BB142_4 Depth=1
	s_or_b32 exec_lo, exec_lo, s22
	flat_store_d16_hi_b16 v[18:19], v15 offset:32
	flat_load_u16 v14, v[16:17] offset:64
	s_wait_loadcnt_dscnt 0x0
	v_lshlrev_b32_e32 v14, 16, v14
	s_delay_alu instid0(VALU_DEP_1) | instskip(SKIP_1) | instid1(VALU_DEP_1)
	v_mul_f32_e32 v14, s30, v14
	s_wait_xcnt 0x1
	v_and_b32_e32 v15, 0x7f800000, v14
	s_delay_alu instid0(VALU_DEP_1) | instskip(SKIP_2) | instid1(SALU_CYCLE_1)
	v_cmp_ne_u32_e32 vcc_lo, 0x7f800000, v15
                                        ; implicit-def: $vgpr15
	s_wait_xcnt 0x0
	s_and_saveexec_b32 s22, vcc_lo
	s_xor_b32 s22, exec_lo, s22
; %bb.187:                              ;   in Loop: Header=BB142_4 Depth=1
	v_bfe_u32 v15, v14, 16, 1
	s_delay_alu instid0(VALU_DEP_1)
	v_add3_u32 v15, v14, v15, 0x7fff
                                        ; implicit-def: $vgpr14
; %bb.188:                              ;   in Loop: Header=BB142_4 Depth=1
	s_and_not1_saveexec_b32 s22, s22
; %bb.189:                              ;   in Loop: Header=BB142_4 Depth=1
	v_and_b32_e32 v15, 0xffff, v14
	v_or_b32_e32 v20, 0x10000, v14
	s_delay_alu instid0(VALU_DEP_2) | instskip(NEXT) | instid1(VALU_DEP_2)
	v_cmp_eq_u32_e32 vcc_lo, 0, v15
	v_cndmask_b32_e32 v15, v20, v14, vcc_lo
; %bb.190:                              ;   in Loop: Header=BB142_4 Depth=1
	s_or_b32 exec_lo, exec_lo, s22
	s_delay_alu instid0(VALU_DEP_1) | instskip(NEXT) | instid1(VALU_DEP_1)
	v_fma_mix_f32_bf16 v12, s2, v12, v15 op_sel:[0,0,1] op_sel_hi:[0,0,1]
	v_and_b32_e32 v14, 0x7f800000, v12
	s_delay_alu instid0(VALU_DEP_1) | instskip(SKIP_1) | instid1(SALU_CYCLE_1)
	v_cmp_ne_u32_e32 vcc_lo, 0x7f800000, v14
                                        ; implicit-def: $vgpr14
	s_and_saveexec_b32 s22, vcc_lo
	s_xor_b32 s22, exec_lo, s22
; %bb.191:                              ;   in Loop: Header=BB142_4 Depth=1
	v_bfe_u32 v14, v12, 16, 1
	s_delay_alu instid0(VALU_DEP_1)
	v_add3_u32 v14, v12, v14, 0x7fff
                                        ; implicit-def: $vgpr12
; %bb.192:                              ;   in Loop: Header=BB142_4 Depth=1
	s_and_not1_saveexec_b32 s22, s22
; %bb.193:                              ;   in Loop: Header=BB142_4 Depth=1
	v_and_b32_e32 v14, 0xffff, v12
	v_or_b32_e32 v15, 0x10000, v12
	s_delay_alu instid0(VALU_DEP_2) | instskip(NEXT) | instid1(VALU_DEP_2)
	v_cmp_eq_u32_e32 vcc_lo, 0, v14
	v_cndmask_b32_e32 v14, v15, v12, vcc_lo
; %bb.194:                              ;   in Loop: Header=BB142_4 Depth=1
	s_or_b32 exec_lo, exec_lo, s22
	flat_store_d16_hi_b16 v[18:19], v14 offset:64
	flat_load_u16 v12, v[16:17] offset:96
	s_wait_loadcnt_dscnt 0x0
	v_lshlrev_b32_e32 v12, 16, v12
	s_delay_alu instid0(VALU_DEP_1) | instskip(SKIP_1) | instid1(VALU_DEP_1)
	v_mul_f32_e32 v12, s30, v12
	s_wait_xcnt 0x1
	v_and_b32_e32 v14, 0x7f800000, v12
	s_delay_alu instid0(VALU_DEP_1) | instskip(SKIP_2) | instid1(SALU_CYCLE_1)
	v_cmp_ne_u32_e32 vcc_lo, 0x7f800000, v14
                                        ; implicit-def: $vgpr14
	s_wait_xcnt 0x0
	s_and_saveexec_b32 s22, vcc_lo
	s_xor_b32 s22, exec_lo, s22
; %bb.195:                              ;   in Loop: Header=BB142_4 Depth=1
	v_bfe_u32 v14, v12, 16, 1
	s_delay_alu instid0(VALU_DEP_1)
	v_add3_u32 v14, v12, v14, 0x7fff
                                        ; implicit-def: $vgpr12
; %bb.196:                              ;   in Loop: Header=BB142_4 Depth=1
	s_and_not1_saveexec_b32 s22, s22
; %bb.197:                              ;   in Loop: Header=BB142_4 Depth=1
	v_and_b32_e32 v14, 0xffff, v12
	v_or_b32_e32 v15, 0x10000, v12
	s_delay_alu instid0(VALU_DEP_2) | instskip(NEXT) | instid1(VALU_DEP_2)
	v_cmp_eq_u32_e32 vcc_lo, 0, v14
	v_cndmask_b32_e32 v14, v15, v12, vcc_lo
; %bb.198:                              ;   in Loop: Header=BB142_4 Depth=1
	s_or_b32 exec_lo, exec_lo, s22
	s_delay_alu instid0(VALU_DEP_1) | instskip(NEXT) | instid1(VALU_DEP_1)
	v_fma_mix_f32_bf16 v12, s2, v13, v14 op_sel:[0,0,1] op_sel_hi:[0,0,1]
	v_and_b32_e32 v13, 0x7f800000, v12
	s_delay_alu instid0(VALU_DEP_1) | instskip(SKIP_1) | instid1(SALU_CYCLE_1)
	v_cmp_ne_u32_e32 vcc_lo, 0x7f800000, v13
                                        ; implicit-def: $vgpr13
	s_and_saveexec_b32 s22, vcc_lo
	s_xor_b32 s22, exec_lo, s22
; %bb.199:                              ;   in Loop: Header=BB142_4 Depth=1
	v_bfe_u32 v13, v12, 16, 1
	s_delay_alu instid0(VALU_DEP_1)
	v_add3_u32 v13, v12, v13, 0x7fff
                                        ; implicit-def: $vgpr12
; %bb.200:                              ;   in Loop: Header=BB142_4 Depth=1
	s_and_not1_saveexec_b32 s22, s22
	s_cbranch_execz .LBB142_2
; %bb.201:                              ;   in Loop: Header=BB142_4 Depth=1
	v_and_b32_e32 v13, 0xffff, v12
	v_or_b32_e32 v14, 0x10000, v12
	s_delay_alu instid0(VALU_DEP_2) | instskip(NEXT) | instid1(VALU_DEP_2)
	v_cmp_eq_u32_e32 vcc_lo, 0, v13
	v_cndmask_b32_e32 v13, v14, v12, vcc_lo
	s_branch .LBB142_2
.LBB142_202:
	s_sendmsg sendmsg(MSG_DEALLOC_VGPRS)
	s_endpgm
	.section	.rodata,"a",@progbits
	.p2align	6, 0x0
	.amdhsa_kernel _ZN12_GLOBAL__N_127rocblas_gemm_batched_kernelIfLi16ELi16ELi64ELi64ELi4ELi64ELi4ELi4ELi64ELc78ELc84EKPK16rocblas_bfloat16S4_KPS1_EEvlllT_PT11_llS9_llS7_PT12_llPT13_lli
		.amdhsa_group_segment_fixed_size 2048
		.amdhsa_private_segment_fixed_size 0
		.amdhsa_kernarg_size 140
		.amdhsa_user_sgpr_count 2
		.amdhsa_user_sgpr_dispatch_ptr 0
		.amdhsa_user_sgpr_queue_ptr 0
		.amdhsa_user_sgpr_kernarg_segment_ptr 1
		.amdhsa_user_sgpr_dispatch_id 0
		.amdhsa_user_sgpr_kernarg_preload_length 0
		.amdhsa_user_sgpr_kernarg_preload_offset 0
		.amdhsa_user_sgpr_private_segment_size 0
		.amdhsa_wavefront_size32 1
		.amdhsa_uses_dynamic_stack 0
		.amdhsa_enable_private_segment 0
		.amdhsa_system_sgpr_workgroup_id_x 1
		.amdhsa_system_sgpr_workgroup_id_y 1
		.amdhsa_system_sgpr_workgroup_id_z 1
		.amdhsa_system_sgpr_workgroup_info 0
		.amdhsa_system_vgpr_workitem_id 1
		.amdhsa_next_free_vgpr 76
		.amdhsa_next_free_sgpr 38
		.amdhsa_named_barrier_count 0
		.amdhsa_reserve_vcc 1
		.amdhsa_float_round_mode_32 0
		.amdhsa_float_round_mode_16_64 0
		.amdhsa_float_denorm_mode_32 3
		.amdhsa_float_denorm_mode_16_64 3
		.amdhsa_fp16_overflow 0
		.amdhsa_memory_ordered 1
		.amdhsa_forward_progress 1
		.amdhsa_inst_pref_size 55
		.amdhsa_round_robin_scheduling 0
		.amdhsa_exception_fp_ieee_invalid_op 0
		.amdhsa_exception_fp_denorm_src 0
		.amdhsa_exception_fp_ieee_div_zero 0
		.amdhsa_exception_fp_ieee_overflow 0
		.amdhsa_exception_fp_ieee_underflow 0
		.amdhsa_exception_fp_ieee_inexact 0
		.amdhsa_exception_int_div_zero 0
	.end_amdhsa_kernel
	.section	.text._ZN12_GLOBAL__N_127rocblas_gemm_batched_kernelIfLi16ELi16ELi64ELi64ELi4ELi64ELi4ELi4ELi64ELc78ELc84EKPK16rocblas_bfloat16S4_KPS1_EEvlllT_PT11_llS9_llS7_PT12_llPT13_lli,"axG",@progbits,_ZN12_GLOBAL__N_127rocblas_gemm_batched_kernelIfLi16ELi16ELi64ELi64ELi4ELi64ELi4ELi4ELi64ELc78ELc84EKPK16rocblas_bfloat16S4_KPS1_EEvlllT_PT11_llS9_llS7_PT12_llPT13_lli,comdat
.Lfunc_end142:
	.size	_ZN12_GLOBAL__N_127rocblas_gemm_batched_kernelIfLi16ELi16ELi64ELi64ELi4ELi64ELi4ELi4ELi64ELc78ELc84EKPK16rocblas_bfloat16S4_KPS1_EEvlllT_PT11_llS9_llS7_PT12_llPT13_lli, .Lfunc_end142-_ZN12_GLOBAL__N_127rocblas_gemm_batched_kernelIfLi16ELi16ELi64ELi64ELi4ELi64ELi4ELi4ELi64ELc78ELc84EKPK16rocblas_bfloat16S4_KPS1_EEvlllT_PT11_llS9_llS7_PT12_llPT13_lli
                                        ; -- End function
	.set _ZN12_GLOBAL__N_127rocblas_gemm_batched_kernelIfLi16ELi16ELi64ELi64ELi4ELi64ELi4ELi4ELi64ELc78ELc84EKPK16rocblas_bfloat16S4_KPS1_EEvlllT_PT11_llS9_llS7_PT12_llPT13_lli.num_vgpr, 76
	.set _ZN12_GLOBAL__N_127rocblas_gemm_batched_kernelIfLi16ELi16ELi64ELi64ELi4ELi64ELi4ELi4ELi64ELc78ELc84EKPK16rocblas_bfloat16S4_KPS1_EEvlllT_PT11_llS9_llS7_PT12_llPT13_lli.num_agpr, 0
	.set _ZN12_GLOBAL__N_127rocblas_gemm_batched_kernelIfLi16ELi16ELi64ELi64ELi4ELi64ELi4ELi4ELi64ELc78ELc84EKPK16rocblas_bfloat16S4_KPS1_EEvlllT_PT11_llS9_llS7_PT12_llPT13_lli.numbered_sgpr, 38
	.set _ZN12_GLOBAL__N_127rocblas_gemm_batched_kernelIfLi16ELi16ELi64ELi64ELi4ELi64ELi4ELi4ELi64ELc78ELc84EKPK16rocblas_bfloat16S4_KPS1_EEvlllT_PT11_llS9_llS7_PT12_llPT13_lli.num_named_barrier, 0
	.set _ZN12_GLOBAL__N_127rocblas_gemm_batched_kernelIfLi16ELi16ELi64ELi64ELi4ELi64ELi4ELi4ELi64ELc78ELc84EKPK16rocblas_bfloat16S4_KPS1_EEvlllT_PT11_llS9_llS7_PT12_llPT13_lli.private_seg_size, 0
	.set _ZN12_GLOBAL__N_127rocblas_gemm_batched_kernelIfLi16ELi16ELi64ELi64ELi4ELi64ELi4ELi4ELi64ELc78ELc84EKPK16rocblas_bfloat16S4_KPS1_EEvlllT_PT11_llS9_llS7_PT12_llPT13_lli.uses_vcc, 1
	.set _ZN12_GLOBAL__N_127rocblas_gemm_batched_kernelIfLi16ELi16ELi64ELi64ELi4ELi64ELi4ELi4ELi64ELc78ELc84EKPK16rocblas_bfloat16S4_KPS1_EEvlllT_PT11_llS9_llS7_PT12_llPT13_lli.uses_flat_scratch, 0
	.set _ZN12_GLOBAL__N_127rocblas_gemm_batched_kernelIfLi16ELi16ELi64ELi64ELi4ELi64ELi4ELi4ELi64ELc78ELc84EKPK16rocblas_bfloat16S4_KPS1_EEvlllT_PT11_llS9_llS7_PT12_llPT13_lli.has_dyn_sized_stack, 0
	.set _ZN12_GLOBAL__N_127rocblas_gemm_batched_kernelIfLi16ELi16ELi64ELi64ELi4ELi64ELi4ELi4ELi64ELc78ELc84EKPK16rocblas_bfloat16S4_KPS1_EEvlllT_PT11_llS9_llS7_PT12_llPT13_lli.has_recursion, 0
	.set _ZN12_GLOBAL__N_127rocblas_gemm_batched_kernelIfLi16ELi16ELi64ELi64ELi4ELi64ELi4ELi4ELi64ELc78ELc84EKPK16rocblas_bfloat16S4_KPS1_EEvlllT_PT11_llS9_llS7_PT12_llPT13_lli.has_indirect_call, 0
	.section	.AMDGPU.csdata,"",@progbits
; Kernel info:
; codeLenInByte = 6968
; TotalNumSgprs: 40
; NumVgprs: 76
; ScratchSize: 0
; MemoryBound: 0
; FloatMode: 240
; IeeeMode: 1
; LDSByteSize: 2048 bytes/workgroup (compile time only)
; SGPRBlocks: 0
; VGPRBlocks: 4
; NumSGPRsForWavesPerEU: 40
; NumVGPRsForWavesPerEU: 76
; NamedBarCnt: 0
; Occupancy: 12
; WaveLimiterHint : 1
; COMPUTE_PGM_RSRC2:SCRATCH_EN: 0
; COMPUTE_PGM_RSRC2:USER_SGPR: 2
; COMPUTE_PGM_RSRC2:TRAP_HANDLER: 0
; COMPUTE_PGM_RSRC2:TGID_X_EN: 1
; COMPUTE_PGM_RSRC2:TGID_Y_EN: 1
; COMPUTE_PGM_RSRC2:TGID_Z_EN: 1
; COMPUTE_PGM_RSRC2:TIDIG_COMP_CNT: 1
	.section	.text._ZN12_GLOBAL__N_127rocblas_gemm_batched_kernelIfLi16ELi16ELi64ELi64ELi4ELi64ELi4ELi4ELi64ELc84ELc84EKPK16rocblas_bfloat16S4_KPS1_EEvlllT_PT11_llS9_llS7_PT12_llPT13_lli,"axG",@progbits,_ZN12_GLOBAL__N_127rocblas_gemm_batched_kernelIfLi16ELi16ELi64ELi64ELi4ELi64ELi4ELi4ELi64ELc84ELc84EKPK16rocblas_bfloat16S4_KPS1_EEvlllT_PT11_llS9_llS7_PT12_llPT13_lli,comdat
	.globl	_ZN12_GLOBAL__N_127rocblas_gemm_batched_kernelIfLi16ELi16ELi64ELi64ELi4ELi64ELi4ELi4ELi64ELc84ELc84EKPK16rocblas_bfloat16S4_KPS1_EEvlllT_PT11_llS9_llS7_PT12_llPT13_lli ; -- Begin function _ZN12_GLOBAL__N_127rocblas_gemm_batched_kernelIfLi16ELi16ELi64ELi64ELi4ELi64ELi4ELi4ELi64ELc84ELc84EKPK16rocblas_bfloat16S4_KPS1_EEvlllT_PT11_llS9_llS7_PT12_llPT13_lli
	.p2align	8
	.type	_ZN12_GLOBAL__N_127rocblas_gemm_batched_kernelIfLi16ELi16ELi64ELi64ELi4ELi64ELi4ELi4ELi64ELc84ELc84EKPK16rocblas_bfloat16S4_KPS1_EEvlllT_PT11_llS9_llS7_PT12_llPT13_lli,@function
_ZN12_GLOBAL__N_127rocblas_gemm_batched_kernelIfLi16ELi16ELi64ELi64ELi4ELi64ELi4ELi4ELi64ELc84ELc84EKPK16rocblas_bfloat16S4_KPS1_EEvlllT_PT11_llS9_llS7_PT12_llPT13_lli: ; @_ZN12_GLOBAL__N_127rocblas_gemm_batched_kernelIfLi16ELi16ELi64ELi64ELi4ELi64ELi4ELi4ELi64ELc84ELc84EKPK16rocblas_bfloat16S4_KPS1_EEvlllT_PT11_llS9_llS7_PT12_llPT13_lli
; %bb.0:
	s_load_b32 s3, s[0:1], 0x88
	s_bfe_u32 s2, ttmp6, 0x40014
	s_lshr_b32 s4, ttmp7, 16
	s_add_co_i32 s2, s2, 1
	s_bfe_u32 s6, ttmp6, 0x40008
	s_mul_i32 s5, s4, s2
	s_getreg_b32 s2, hwreg(HW_REG_IB_STS2, 6, 4)
	s_add_co_i32 s6, s6, s5
	s_cmp_eq_u32 s2, 0
	s_mov_b32 s29, 0
	s_cselect_b32 s28, s4, s6
	s_wait_kmcnt 0x0
	s_cmp_ge_i32 s28, s3
	s_cbranch_scc1 .LBB143_202
; %bb.1:
	v_bfe_u32 v2, v0, 10, 10
	v_and_b32_e32 v6, 0x3ff, v0
	s_bfe_u32 s31, ttmp6, 0x4000c
	s_bfe_u32 s33, ttmp6, 0x40010
	s_clause 0x2
	s_load_b256 s[4:11], s[0:1], 0x20
	s_load_b128 s[24:27], s[0:1], 0x40
	s_load_b128 s[20:23], s[0:1], 0x78
	v_dual_mov_b32 v3, 0 :: v_dual_lshlrev_b32 v14, 4, v2
	s_add_co_i32 s31, s31, 1
	s_and_b32 s34, ttmp7, 0xffff
	s_add_co_i32 s33, s33, 1
	s_and_b32 s30, ttmp6, 15
	s_mul_i32 s31, ttmp9, s31
	s_mul_i32 s33, s34, s33
	s_bfe_u32 s35, ttmp6, 0x40004
	v_dual_add_nc_u32 v15, v14, v6 :: v_dual_bitop2_b32 v17, 3, v0 bitop3:0x40
	s_add_co_i32 s30, s30, s31
	s_add_co_i32 s35, s35, s33
	s_cmp_eq_u32 s2, 0
	s_delay_alu instid0(VALU_DEP_1)
	v_dual_lshrrev_b32 v8, 2, v15 :: v_dual_bitop2_b32 v16, 63, v15 bitop3:0x40
	s_cselect_b32 s30, ttmp9, s30
	s_cselect_b32 s2, s34, s35
	s_ashr_i32 s31, s30, 31
	s_load_b256 s[12:19], s[0:1], 0x58
	s_lshl_b64 s[34:35], s[30:31], 6
	v_dual_mov_b32 v9, v3 :: v_dual_mov_b32 v7, v3
	v_dual_mov_b32 v1, s35 :: v_dual_bitop2_b32 v0, s34, v16 bitop3:0x54
	s_lshl_b32 s36, s2, 6
	s_wait_kmcnt 0x0
	s_delay_alu instid0(VALU_DEP_2)
	v_mad_nc_u64_u32 v[12:13], s24, v17, v[8:9]
	s_mov_b32 s37, s29
	s_load_b32 s30, s[0:1], 0x50
	v_mul_u64_e32 v[10:11], s[6:7], v[0:1]
	v_add_nc_u64_e32 v[4:5], s[36:37], v[2:3]
	s_wait_xcnt 0x0
	s_load_b96 s[0:2], s[0:1], 0x10
	v_dual_lshlrev_b32 v2, 2, v17 :: v_dual_lshlrev_b32 v36, 2, v6
	v_dual_lshrrev_b32 v15, 6, v15 :: v_dual_lshlrev_b32 v9, 2, v16
	v_add_nc_u64_e32 v[6:7], s[34:35], v[6:7]
	s_delay_alu instid0(VALU_DEP_4)
	v_mul_u64_e32 v[0:1], s[20:21], v[4:5]
	v_mad_u32 v13, s25, v17, v13
	v_mul_u64_e32 v[4:5], s[14:15], v[4:5]
	v_lshl_or_b32 v2, v8, 4, v2
	v_lshl_or_b32 v38, v15, 8, v9
	v_add_nc_u32_e32 v37, 0x400, v14
	s_delay_alu instid0(VALU_DEP_3)
	v_add_nc_u32_e32 v39, 0x400, v2
	v_lshlrev_b32_e32 v2, 1, v15
	s_wait_kmcnt 0x0
	s_cmp_eq_f32 s30, 0
	v_add_nc_u64_e32 v[12:13], s[36:37], v[12:13]
	s_cselect_b32 s31, -1, 0
	s_lshl_b64 s[6:7], s[8:9], 1
	s_lshl_b64 s[8:9], s[14:15], 4
	;; [unrolled: 1-line block ×3, first 2 shown]
	s_delay_alu instid0(VALU_DEP_1) | instskip(SKIP_3) | instid1(VALU_DEP_2)
	v_lshlrev_b64_e32 v[8:9], 1, v[12:13]
	s_lshl_b64 s[16:17], s[16:17], 1
	v_lshl_add_u64 v[10:11], v[10:11], 1, s[6:7]
	s_lshl_b64 s[6:7], s[20:21], 4
	v_lshl_add_u64 v[8:9], s[26:27], 1, v[8:9]
	v_cmp_gt_i64_e64 s26, s[0:1], 0
	s_lshl_b64 s[20:21], s[22:23], 1
	v_add_nc_u64_e32 v[10:11], v[10:11], v[2:3]
	s_branch .LBB143_4
.LBB143_2:                              ;   in Loop: Header=BB143_4 Depth=1
	s_or_b32 exec_lo, exec_lo, s22
	flat_store_d16_hi_b16 v[18:19], v12 offset:96
.LBB143_3:                              ;   in Loop: Header=BB143_4 Depth=1
	s_add_co_i32 s28, s28, 0x10000
	s_delay_alu instid0(SALU_CYCLE_1)
	s_cmp_lt_i32 s28, s3
	s_cbranch_scc0 .LBB143_202
.LBB143_4:                              ; =>This Loop Header: Depth=1
                                        ;     Child Loop BB143_6 Depth 2
	s_wait_xcnt 0x0
	v_dual_mov_b32 v2, s28 :: v_dual_mov_b32 v27, 0
	v_dual_mov_b32 v26, 0 :: v_dual_mov_b32 v25, 0
	;; [unrolled: 1-line block ×3, first 2 shown]
	s_clause 0x1
	global_load_b64 v[28:29], v2, s[12:13] scale_offset
	global_load_b64 v[30:31], v2, s[18:19] scale_offset
	v_dual_mov_b32 v22, 0 :: v_dual_mov_b32 v21, 0
	s_wait_xcnt 0x2
	v_dual_mov_b32 v20, 0 :: v_dual_mov_b32 v19, 0
	v_dual_mov_b32 v18, 0 :: v_dual_mov_b32 v17, 0
	v_dual_mov_b32 v16, 0 :: v_dual_mov_b32 v15, 0
	v_dual_mov_b32 v14, 0 :: v_dual_mov_b32 v13, 0
	v_mov_b32_e32 v12, 0
	s_and_not1_b32 vcc_lo, exec_lo, s26
	s_cbranch_vccnz .LBB143_7
; %bb.5:                                ;   in Loop: Header=BB143_4 Depth=1
	s_lshl_b64 s[22:23], s[28:29], 3
	v_mov_b32_e32 v12, 0
	s_add_nc_u64 s[24:25], s[10:11], s[22:23]
	s_add_nc_u64 s[22:23], s[4:5], s[22:23]
	s_clause 0x1
	global_load_b64 v[26:27], v3, s[24:25]
	global_load_b64 v[34:35], v3, s[22:23]
	s_wait_xcnt 0x0
	s_mov_b64 s[22:23], 0
	v_dual_mov_b32 v13, v12 :: v_dual_mov_b32 v14, v12
	v_dual_mov_b32 v15, v12 :: v_dual_mov_b32 v16, v12
	;; [unrolled: 1-line block ×6, first 2 shown]
	v_mov_b32_e32 v25, v12
	s_wait_loadcnt 0x1
	v_add_nc_u64_e32 v[32:33], v[26:27], v[8:9]
	s_wait_loadcnt 0x0
	v_add_nc_u64_e32 v[34:35], v[34:35], v[10:11]
	v_dual_mov_b32 v26, v12 :: v_dual_mov_b32 v27, v12
.LBB143_6:                              ;   Parent Loop BB143_4 Depth=1
                                        ; =>  This Inner Loop Header: Depth=2
	flat_load_u16 v2, v[34:35]
	flat_load_u16 v40, v[32:33]
	s_add_nc_u64 s[22:23], s[22:23], 4
	s_wait_xcnt 0x0
	v_add_nc_u64_e32 v[32:33], s[14:15], v[32:33]
	v_cmp_lt_i64_e64 s24, s[22:23], s[0:1]
	v_add_nc_u64_e32 v[34:35], 8, v[34:35]
	s_and_b32 vcc_lo, exec_lo, s24
	s_wait_loadcnt_dscnt 0x0
	v_dual_lshlrev_b32 v2, 16, v2 :: v_dual_lshlrev_b32 v40, 16, v40
	ds_store_b32 v38, v2
	ds_store_b32 v39, v40
	s_wait_dscnt 0x0
	s_barrier_signal -1
	s_barrier_wait -1
	ds_load_b128 v[40:43], v37
	ds_load_2addr_b32 v[56:57], v36 offset1:16
	ds_load_2addr_b32 v[58:59], v36 offset0:32 offset1:48
	ds_load_b128 v[44:47], v37 offset:256
	ds_load_b128 v[48:51], v37 offset:512
	;; [unrolled: 1-line block ×3, first 2 shown]
	ds_load_2addr_b32 v[60:61], v36 offset0:64 offset1:80
	ds_load_2addr_b32 v[62:63], v36 offset0:96 offset1:112
	;; [unrolled: 1-line block ×6, first 2 shown]
	s_wait_dscnt 0x0
	s_barrier_signal -1
	s_barrier_wait -1
	v_mov_b32_e32 v2, v43
	v_pk_fma_f32 v[26:27], v[56:57], v[40:41], v[26:27] op_sel_hi:[1,0,1]
	v_pk_fma_f32 v[24:25], v[58:59], v[40:41], v[24:25] op_sel_hi:[1,0,1]
	;; [unrolled: 1-line block ×8, first 2 shown]
	v_pk_fma_f32 v[26:27], v[60:61], v[40:41], v[26:27] op_sel:[0,1,0]
	v_pk_fma_f32 v[24:25], v[62:63], v[40:41], v[24:25] op_sel:[0,1,0]
	;; [unrolled: 1-line block ×8, first 2 shown]
	v_dual_mov_b32 v56, v47 :: v_dual_mov_b32 v58, v51
	v_mov_b32_e32 v72, v55
	v_pk_fma_f32 v[26:27], v[64:65], v[42:43], v[26:27] op_sel_hi:[1,0,1]
	v_pk_fma_f32 v[24:25], v[66:67], v[42:43], v[24:25] op_sel_hi:[1,0,1]
	;; [unrolled: 1-line block ×16, first 2 shown]
	s_cbranch_vccnz .LBB143_6
.LBB143_7:                              ;   in Loop: Header=BB143_4 Depth=1
	s_wait_loadcnt 0x0
	v_add_nc_u64_e32 v[30:31], s[20:21], v[30:31]
	s_and_not1_b32 vcc_lo, exec_lo, s31
	s_cbranch_vccnz .LBB143_73
; %bb.8:                                ;   in Loop: Header=BB143_4 Depth=1
	v_mul_f32_e32 v32, s2, v26
	s_wait_xcnt 0x0
	s_delay_alu instid0(VALU_DEP_1) | instskip(NEXT) | instid1(VALU_DEP_1)
	v_and_b32_e32 v2, 0x7f800000, v32
	v_cmp_ne_u32_e32 vcc_lo, 0x7f800000, v2
                                        ; implicit-def: $vgpr2
	s_and_saveexec_b32 s22, vcc_lo
	s_delay_alu instid0(SALU_CYCLE_1)
	s_xor_b32 s22, exec_lo, s22
; %bb.9:                                ;   in Loop: Header=BB143_4 Depth=1
	v_bfe_u32 v2, v32, 16, 1
	s_delay_alu instid0(VALU_DEP_1)
	v_add3_u32 v2, v32, v2, 0x7fff
                                        ; implicit-def: $vgpr32
; %bb.10:                               ;   in Loop: Header=BB143_4 Depth=1
	s_and_not1_saveexec_b32 s22, s22
; %bb.11:                               ;   in Loop: Header=BB143_4 Depth=1
	v_and_b32_e32 v2, 0xffff, v32
	v_or_b32_e32 v33, 0x10000, v32
	s_delay_alu instid0(VALU_DEP_2) | instskip(NEXT) | instid1(VALU_DEP_2)
	v_cmp_eq_u32_e32 vcc_lo, 0, v2
	v_cndmask_b32_e32 v2, v33, v32, vcc_lo
; %bb.12:                               ;   in Loop: Header=BB143_4 Depth=1
	s_or_b32 exec_lo, exec_lo, s22
	v_mul_f32_e32 v40, s2, v27
	v_lshl_add_u64 v[32:33], v[0:1], 1, v[30:31]
	s_delay_alu instid0(VALU_DEP_2) | instskip(NEXT) | instid1(VALU_DEP_2)
	v_and_b32_e32 v41, 0x7f800000, v40
	v_lshl_add_u64 v[34:35], v[6:7], 1, v[32:33]
	s_delay_alu instid0(VALU_DEP_2) | instskip(SKIP_3) | instid1(SALU_CYCLE_1)
	v_cmp_ne_u32_e32 vcc_lo, 0x7f800000, v41
	flat_store_d16_hi_b16 v[34:35], v2
                                        ; implicit-def: $vgpr41
	s_wait_xcnt 0x0
	s_and_saveexec_b32 s22, vcc_lo
	s_xor_b32 s22, exec_lo, s22
; %bb.13:                               ;   in Loop: Header=BB143_4 Depth=1
	v_bfe_u32 v2, v40, 16, 1
	s_delay_alu instid0(VALU_DEP_1)
	v_add3_u32 v41, v40, v2, 0x7fff
                                        ; implicit-def: $vgpr40
; %bb.14:                               ;   in Loop: Header=BB143_4 Depth=1
	s_and_not1_saveexec_b32 s22, s22
; %bb.15:                               ;   in Loop: Header=BB143_4 Depth=1
	v_and_b32_e32 v2, 0xffff, v40
	v_or_b32_e32 v41, 0x10000, v40
	s_delay_alu instid0(VALU_DEP_2) | instskip(NEXT) | instid1(VALU_DEP_2)
	v_cmp_eq_u32_e32 vcc_lo, 0, v2
	v_cndmask_b32_e32 v41, v41, v40, vcc_lo
; %bb.16:                               ;   in Loop: Header=BB143_4 Depth=1
	s_or_b32 exec_lo, exec_lo, s22
	v_mul_f32_e32 v2, s2, v24
	flat_store_d16_hi_b16 v[34:35], v41 offset:32
	v_and_b32_e32 v40, 0x7f800000, v2
	s_delay_alu instid0(VALU_DEP_1) | instskip(SKIP_2) | instid1(SALU_CYCLE_1)
	v_cmp_ne_u32_e32 vcc_lo, 0x7f800000, v40
                                        ; implicit-def: $vgpr40
	s_wait_xcnt 0x0
	s_and_saveexec_b32 s22, vcc_lo
	s_xor_b32 s22, exec_lo, s22
; %bb.17:                               ;   in Loop: Header=BB143_4 Depth=1
	v_bfe_u32 v40, v2, 16, 1
	s_delay_alu instid0(VALU_DEP_1)
	v_add3_u32 v40, v2, v40, 0x7fff
                                        ; implicit-def: $vgpr2
; %bb.18:                               ;   in Loop: Header=BB143_4 Depth=1
	s_and_not1_saveexec_b32 s22, s22
; %bb.19:                               ;   in Loop: Header=BB143_4 Depth=1
	v_and_b32_e32 v40, 0xffff, v2
	v_or_b32_e32 v41, 0x10000, v2
	s_delay_alu instid0(VALU_DEP_2) | instskip(NEXT) | instid1(VALU_DEP_2)
	v_cmp_eq_u32_e32 vcc_lo, 0, v40
	v_cndmask_b32_e32 v40, v41, v2, vcc_lo
; %bb.20:                               ;   in Loop: Header=BB143_4 Depth=1
	s_or_b32 exec_lo, exec_lo, s22
	v_mul_f32_e32 v2, s2, v25
	flat_store_d16_hi_b16 v[34:35], v40 offset:64
	v_and_b32_e32 v41, 0x7f800000, v2
	s_delay_alu instid0(VALU_DEP_1) | instskip(SKIP_2) | instid1(SALU_CYCLE_1)
	v_cmp_ne_u32_e32 vcc_lo, 0x7f800000, v41
                                        ; implicit-def: $vgpr41
	s_wait_xcnt 0x0
	s_and_saveexec_b32 s22, vcc_lo
	s_xor_b32 s22, exec_lo, s22
; %bb.21:                               ;   in Loop: Header=BB143_4 Depth=1
	v_bfe_u32 v40, v2, 16, 1
	s_delay_alu instid0(VALU_DEP_1)
	v_add3_u32 v41, v2, v40, 0x7fff
                                        ; implicit-def: $vgpr2
; %bb.22:                               ;   in Loop: Header=BB143_4 Depth=1
	s_and_not1_saveexec_b32 s22, s22
; %bb.23:                               ;   in Loop: Header=BB143_4 Depth=1
	v_and_b32_e32 v40, 0xffff, v2
	v_or_b32_e32 v41, 0x10000, v2
	s_delay_alu instid0(VALU_DEP_2) | instskip(NEXT) | instid1(VALU_DEP_2)
	v_cmp_eq_u32_e32 vcc_lo, 0, v40
	v_cndmask_b32_e32 v41, v41, v2, vcc_lo
; %bb.24:                               ;   in Loop: Header=BB143_4 Depth=1
	s_or_b32 exec_lo, exec_lo, s22
	v_mul_f32_e32 v40, s2, v22
	flat_store_d16_hi_b16 v[34:35], v41 offset:96
	v_and_b32_e32 v2, 0x7f800000, v40
	s_delay_alu instid0(VALU_DEP_1) | instskip(SKIP_2) | instid1(SALU_CYCLE_1)
	v_cmp_ne_u32_e32 vcc_lo, 0x7f800000, v2
                                        ; implicit-def: $vgpr2
	s_wait_xcnt 0x0
	s_and_saveexec_b32 s22, vcc_lo
	s_xor_b32 s22, exec_lo, s22
; %bb.25:                               ;   in Loop: Header=BB143_4 Depth=1
	v_bfe_u32 v2, v40, 16, 1
	s_delay_alu instid0(VALU_DEP_1)
	v_add3_u32 v2, v40, v2, 0x7fff
                                        ; implicit-def: $vgpr40
; %bb.26:                               ;   in Loop: Header=BB143_4 Depth=1
	s_and_not1_saveexec_b32 s22, s22
; %bb.27:                               ;   in Loop: Header=BB143_4 Depth=1
	v_and_b32_e32 v2, 0xffff, v40
	v_or_b32_e32 v34, 0x10000, v40
	s_delay_alu instid0(VALU_DEP_2) | instskip(NEXT) | instid1(VALU_DEP_2)
	v_cmp_eq_u32_e32 vcc_lo, 0, v2
	v_cndmask_b32_e32 v2, v34, v40, vcc_lo
; %bb.28:                               ;   in Loop: Header=BB143_4 Depth=1
	s_or_b32 exec_lo, exec_lo, s22
	v_mul_f32_e32 v40, s2, v23
	v_lshl_add_u64 v[32:33], s[6:7], 1, v[32:33]
	s_delay_alu instid0(VALU_DEP_2) | instskip(NEXT) | instid1(VALU_DEP_2)
	v_and_b32_e32 v41, 0x7f800000, v40
	v_lshl_add_u64 v[34:35], v[6:7], 1, v[32:33]
	s_delay_alu instid0(VALU_DEP_2) | instskip(SKIP_3) | instid1(SALU_CYCLE_1)
	v_cmp_ne_u32_e32 vcc_lo, 0x7f800000, v41
	flat_store_d16_hi_b16 v[34:35], v2
                                        ; implicit-def: $vgpr41
	s_wait_xcnt 0x0
	s_and_saveexec_b32 s22, vcc_lo
	s_xor_b32 s22, exec_lo, s22
; %bb.29:                               ;   in Loop: Header=BB143_4 Depth=1
	v_bfe_u32 v2, v40, 16, 1
	s_delay_alu instid0(VALU_DEP_1)
	v_add3_u32 v41, v40, v2, 0x7fff
                                        ; implicit-def: $vgpr40
; %bb.30:                               ;   in Loop: Header=BB143_4 Depth=1
	s_and_not1_saveexec_b32 s22, s22
; %bb.31:                               ;   in Loop: Header=BB143_4 Depth=1
	v_and_b32_e32 v2, 0xffff, v40
	v_or_b32_e32 v41, 0x10000, v40
	s_delay_alu instid0(VALU_DEP_2) | instskip(NEXT) | instid1(VALU_DEP_2)
	v_cmp_eq_u32_e32 vcc_lo, 0, v2
	v_cndmask_b32_e32 v41, v41, v40, vcc_lo
; %bb.32:                               ;   in Loop: Header=BB143_4 Depth=1
	s_or_b32 exec_lo, exec_lo, s22
	v_mul_f32_e32 v2, s2, v20
	flat_store_d16_hi_b16 v[34:35], v41 offset:32
	v_and_b32_e32 v40, 0x7f800000, v2
	s_delay_alu instid0(VALU_DEP_1) | instskip(SKIP_2) | instid1(SALU_CYCLE_1)
	v_cmp_ne_u32_e32 vcc_lo, 0x7f800000, v40
                                        ; implicit-def: $vgpr40
	s_wait_xcnt 0x0
	s_and_saveexec_b32 s22, vcc_lo
	s_xor_b32 s22, exec_lo, s22
; %bb.33:                               ;   in Loop: Header=BB143_4 Depth=1
	v_bfe_u32 v40, v2, 16, 1
	s_delay_alu instid0(VALU_DEP_1)
	v_add3_u32 v40, v2, v40, 0x7fff
                                        ; implicit-def: $vgpr2
; %bb.34:                               ;   in Loop: Header=BB143_4 Depth=1
	s_and_not1_saveexec_b32 s22, s22
; %bb.35:                               ;   in Loop: Header=BB143_4 Depth=1
	v_and_b32_e32 v40, 0xffff, v2
	v_or_b32_e32 v41, 0x10000, v2
	s_delay_alu instid0(VALU_DEP_2) | instskip(NEXT) | instid1(VALU_DEP_2)
	v_cmp_eq_u32_e32 vcc_lo, 0, v40
	v_cndmask_b32_e32 v40, v41, v2, vcc_lo
; %bb.36:                               ;   in Loop: Header=BB143_4 Depth=1
	s_or_b32 exec_lo, exec_lo, s22
	v_mul_f32_e32 v2, s2, v21
	flat_store_d16_hi_b16 v[34:35], v40 offset:64
	v_and_b32_e32 v41, 0x7f800000, v2
	s_delay_alu instid0(VALU_DEP_1) | instskip(SKIP_2) | instid1(SALU_CYCLE_1)
	v_cmp_ne_u32_e32 vcc_lo, 0x7f800000, v41
                                        ; implicit-def: $vgpr41
	s_wait_xcnt 0x0
	s_and_saveexec_b32 s22, vcc_lo
	s_xor_b32 s22, exec_lo, s22
; %bb.37:                               ;   in Loop: Header=BB143_4 Depth=1
	v_bfe_u32 v40, v2, 16, 1
	s_delay_alu instid0(VALU_DEP_1)
	v_add3_u32 v41, v2, v40, 0x7fff
                                        ; implicit-def: $vgpr2
; %bb.38:                               ;   in Loop: Header=BB143_4 Depth=1
	s_and_not1_saveexec_b32 s22, s22
; %bb.39:                               ;   in Loop: Header=BB143_4 Depth=1
	v_and_b32_e32 v40, 0xffff, v2
	v_or_b32_e32 v41, 0x10000, v2
	s_delay_alu instid0(VALU_DEP_2) | instskip(NEXT) | instid1(VALU_DEP_2)
	v_cmp_eq_u32_e32 vcc_lo, 0, v40
	v_cndmask_b32_e32 v41, v41, v2, vcc_lo
; %bb.40:                               ;   in Loop: Header=BB143_4 Depth=1
	s_or_b32 exec_lo, exec_lo, s22
	v_mul_f32_e32 v40, s2, v18
	flat_store_d16_hi_b16 v[34:35], v41 offset:96
	v_and_b32_e32 v2, 0x7f800000, v40
	s_delay_alu instid0(VALU_DEP_1) | instskip(SKIP_2) | instid1(SALU_CYCLE_1)
	v_cmp_ne_u32_e32 vcc_lo, 0x7f800000, v2
                                        ; implicit-def: $vgpr2
	s_wait_xcnt 0x0
	s_and_saveexec_b32 s22, vcc_lo
	s_xor_b32 s22, exec_lo, s22
; %bb.41:                               ;   in Loop: Header=BB143_4 Depth=1
	v_bfe_u32 v2, v40, 16, 1
	s_delay_alu instid0(VALU_DEP_1)
	v_add3_u32 v2, v40, v2, 0x7fff
                                        ; implicit-def: $vgpr40
; %bb.42:                               ;   in Loop: Header=BB143_4 Depth=1
	s_and_not1_saveexec_b32 s22, s22
; %bb.43:                               ;   in Loop: Header=BB143_4 Depth=1
	v_and_b32_e32 v2, 0xffff, v40
	v_or_b32_e32 v34, 0x10000, v40
	s_delay_alu instid0(VALU_DEP_2) | instskip(NEXT) | instid1(VALU_DEP_2)
	v_cmp_eq_u32_e32 vcc_lo, 0, v2
	v_cndmask_b32_e32 v2, v34, v40, vcc_lo
; %bb.44:                               ;   in Loop: Header=BB143_4 Depth=1
	s_or_b32 exec_lo, exec_lo, s22
	v_mul_f32_e32 v40, s2, v19
	v_lshl_add_u64 v[32:33], s[6:7], 1, v[32:33]
	s_delay_alu instid0(VALU_DEP_2) | instskip(NEXT) | instid1(VALU_DEP_2)
	v_and_b32_e32 v41, 0x7f800000, v40
	v_lshl_add_u64 v[34:35], v[6:7], 1, v[32:33]
	s_delay_alu instid0(VALU_DEP_2) | instskip(SKIP_3) | instid1(SALU_CYCLE_1)
	v_cmp_ne_u32_e32 vcc_lo, 0x7f800000, v41
	flat_store_d16_hi_b16 v[34:35], v2
                                        ; implicit-def: $vgpr41
	s_wait_xcnt 0x0
	s_and_saveexec_b32 s22, vcc_lo
	s_xor_b32 s22, exec_lo, s22
; %bb.45:                               ;   in Loop: Header=BB143_4 Depth=1
	v_bfe_u32 v2, v40, 16, 1
	s_delay_alu instid0(VALU_DEP_1)
	v_add3_u32 v41, v40, v2, 0x7fff
                                        ; implicit-def: $vgpr40
; %bb.46:                               ;   in Loop: Header=BB143_4 Depth=1
	s_and_not1_saveexec_b32 s22, s22
; %bb.47:                               ;   in Loop: Header=BB143_4 Depth=1
	v_and_b32_e32 v2, 0xffff, v40
	v_or_b32_e32 v41, 0x10000, v40
	s_delay_alu instid0(VALU_DEP_2) | instskip(NEXT) | instid1(VALU_DEP_2)
	v_cmp_eq_u32_e32 vcc_lo, 0, v2
	v_cndmask_b32_e32 v41, v41, v40, vcc_lo
; %bb.48:                               ;   in Loop: Header=BB143_4 Depth=1
	s_or_b32 exec_lo, exec_lo, s22
	v_mul_f32_e32 v2, s2, v16
	flat_store_d16_hi_b16 v[34:35], v41 offset:32
	v_and_b32_e32 v40, 0x7f800000, v2
	s_delay_alu instid0(VALU_DEP_1) | instskip(SKIP_2) | instid1(SALU_CYCLE_1)
	v_cmp_ne_u32_e32 vcc_lo, 0x7f800000, v40
                                        ; implicit-def: $vgpr40
	s_wait_xcnt 0x0
	s_and_saveexec_b32 s22, vcc_lo
	s_xor_b32 s22, exec_lo, s22
; %bb.49:                               ;   in Loop: Header=BB143_4 Depth=1
	v_bfe_u32 v40, v2, 16, 1
	s_delay_alu instid0(VALU_DEP_1)
	v_add3_u32 v40, v2, v40, 0x7fff
                                        ; implicit-def: $vgpr2
; %bb.50:                               ;   in Loop: Header=BB143_4 Depth=1
	s_and_not1_saveexec_b32 s22, s22
; %bb.51:                               ;   in Loop: Header=BB143_4 Depth=1
	v_and_b32_e32 v40, 0xffff, v2
	v_or_b32_e32 v41, 0x10000, v2
	s_delay_alu instid0(VALU_DEP_2) | instskip(NEXT) | instid1(VALU_DEP_2)
	v_cmp_eq_u32_e32 vcc_lo, 0, v40
	v_cndmask_b32_e32 v40, v41, v2, vcc_lo
; %bb.52:                               ;   in Loop: Header=BB143_4 Depth=1
	s_or_b32 exec_lo, exec_lo, s22
	v_mul_f32_e32 v2, s2, v17
	flat_store_d16_hi_b16 v[34:35], v40 offset:64
	v_and_b32_e32 v41, 0x7f800000, v2
	s_delay_alu instid0(VALU_DEP_1) | instskip(SKIP_2) | instid1(SALU_CYCLE_1)
	v_cmp_ne_u32_e32 vcc_lo, 0x7f800000, v41
                                        ; implicit-def: $vgpr41
	s_wait_xcnt 0x0
	s_and_saveexec_b32 s22, vcc_lo
	s_xor_b32 s22, exec_lo, s22
; %bb.53:                               ;   in Loop: Header=BB143_4 Depth=1
	v_bfe_u32 v40, v2, 16, 1
	s_delay_alu instid0(VALU_DEP_1)
	v_add3_u32 v41, v2, v40, 0x7fff
                                        ; implicit-def: $vgpr2
; %bb.54:                               ;   in Loop: Header=BB143_4 Depth=1
	s_and_not1_saveexec_b32 s22, s22
; %bb.55:                               ;   in Loop: Header=BB143_4 Depth=1
	v_and_b32_e32 v40, 0xffff, v2
	v_or_b32_e32 v41, 0x10000, v2
	s_delay_alu instid0(VALU_DEP_2) | instskip(NEXT) | instid1(VALU_DEP_2)
	v_cmp_eq_u32_e32 vcc_lo, 0, v40
	v_cndmask_b32_e32 v41, v41, v2, vcc_lo
; %bb.56:                               ;   in Loop: Header=BB143_4 Depth=1
	s_or_b32 exec_lo, exec_lo, s22
	v_mul_f32_e32 v40, s2, v14
	flat_store_d16_hi_b16 v[34:35], v41 offset:96
	v_and_b32_e32 v2, 0x7f800000, v40
	s_delay_alu instid0(VALU_DEP_1) | instskip(SKIP_2) | instid1(SALU_CYCLE_1)
	v_cmp_ne_u32_e32 vcc_lo, 0x7f800000, v2
                                        ; implicit-def: $vgpr2
	s_wait_xcnt 0x0
	s_and_saveexec_b32 s22, vcc_lo
	s_xor_b32 s22, exec_lo, s22
; %bb.57:                               ;   in Loop: Header=BB143_4 Depth=1
	v_bfe_u32 v2, v40, 16, 1
	s_delay_alu instid0(VALU_DEP_1)
	v_add3_u32 v2, v40, v2, 0x7fff
                                        ; implicit-def: $vgpr40
; %bb.58:                               ;   in Loop: Header=BB143_4 Depth=1
	s_and_not1_saveexec_b32 s22, s22
; %bb.59:                               ;   in Loop: Header=BB143_4 Depth=1
	v_and_b32_e32 v2, 0xffff, v40
	v_or_b32_e32 v34, 0x10000, v40
	s_delay_alu instid0(VALU_DEP_2) | instskip(NEXT) | instid1(VALU_DEP_2)
	v_cmp_eq_u32_e32 vcc_lo, 0, v2
	v_cndmask_b32_e32 v2, v34, v40, vcc_lo
; %bb.60:                               ;   in Loop: Header=BB143_4 Depth=1
	s_or_b32 exec_lo, exec_lo, s22
	v_mul_f32_e32 v34, s2, v15
	v_lshl_add_u64 v[32:33], s[6:7], 1, v[32:33]
	s_delay_alu instid0(VALU_DEP_2) | instskip(NEXT) | instid1(VALU_DEP_2)
	v_and_b32_e32 v35, 0x7f800000, v34
	v_lshl_add_u64 v[32:33], v[6:7], 1, v[32:33]
	s_delay_alu instid0(VALU_DEP_2) | instskip(SKIP_3) | instid1(SALU_CYCLE_1)
	v_cmp_ne_u32_e32 vcc_lo, 0x7f800000, v35
	flat_store_d16_hi_b16 v[32:33], v2
                                        ; implicit-def: $vgpr35
	s_wait_xcnt 0x0
	s_and_saveexec_b32 s22, vcc_lo
	s_xor_b32 s22, exec_lo, s22
; %bb.61:                               ;   in Loop: Header=BB143_4 Depth=1
	v_bfe_u32 v2, v34, 16, 1
	s_delay_alu instid0(VALU_DEP_1)
	v_add3_u32 v35, v34, v2, 0x7fff
                                        ; implicit-def: $vgpr34
; %bb.62:                               ;   in Loop: Header=BB143_4 Depth=1
	s_and_not1_saveexec_b32 s22, s22
; %bb.63:                               ;   in Loop: Header=BB143_4 Depth=1
	v_and_b32_e32 v2, 0xffff, v34
	v_or_b32_e32 v35, 0x10000, v34
	s_delay_alu instid0(VALU_DEP_2) | instskip(NEXT) | instid1(VALU_DEP_2)
	v_cmp_eq_u32_e32 vcc_lo, 0, v2
	v_cndmask_b32_e32 v35, v35, v34, vcc_lo
; %bb.64:                               ;   in Loop: Header=BB143_4 Depth=1
	s_or_b32 exec_lo, exec_lo, s22
	v_mul_f32_e32 v2, s2, v12
	flat_store_d16_hi_b16 v[32:33], v35 offset:32
	v_and_b32_e32 v34, 0x7f800000, v2
	s_delay_alu instid0(VALU_DEP_1) | instskip(SKIP_2) | instid1(SALU_CYCLE_1)
	v_cmp_ne_u32_e32 vcc_lo, 0x7f800000, v34
                                        ; implicit-def: $vgpr34
	s_wait_xcnt 0x0
	s_and_saveexec_b32 s22, vcc_lo
	s_xor_b32 s22, exec_lo, s22
; %bb.65:                               ;   in Loop: Header=BB143_4 Depth=1
	v_bfe_u32 v34, v2, 16, 1
	s_delay_alu instid0(VALU_DEP_1)
	v_add3_u32 v34, v2, v34, 0x7fff
                                        ; implicit-def: $vgpr2
; %bb.66:                               ;   in Loop: Header=BB143_4 Depth=1
	s_and_not1_saveexec_b32 s22, s22
; %bb.67:                               ;   in Loop: Header=BB143_4 Depth=1
	v_and_b32_e32 v34, 0xffff, v2
	v_or_b32_e32 v35, 0x10000, v2
	s_delay_alu instid0(VALU_DEP_2) | instskip(NEXT) | instid1(VALU_DEP_2)
	v_cmp_eq_u32_e32 vcc_lo, 0, v34
	v_cndmask_b32_e32 v34, v35, v2, vcc_lo
; %bb.68:                               ;   in Loop: Header=BB143_4 Depth=1
	s_or_b32 exec_lo, exec_lo, s22
	v_mul_f32_e32 v2, s2, v13
	s_mov_b32 s22, exec_lo
	flat_store_d16_hi_b16 v[32:33], v34 offset:64
                                        ; implicit-def: $vgpr34
	v_and_b32_e32 v35, 0x7f800000, v2
	s_wait_xcnt 0x0
	s_delay_alu instid0(VALU_DEP_1)
	v_cmpx_ne_u32_e32 0x7f800000, v35
	s_xor_b32 s22, exec_lo, s22
; %bb.69:                               ;   in Loop: Header=BB143_4 Depth=1
	v_bfe_u32 v34, v2, 16, 1
	s_delay_alu instid0(VALU_DEP_1)
	v_add3_u32 v34, v2, v34, 0x7fff
                                        ; implicit-def: $vgpr2
; %bb.70:                               ;   in Loop: Header=BB143_4 Depth=1
	s_and_not1_saveexec_b32 s22, s22
; %bb.71:                               ;   in Loop: Header=BB143_4 Depth=1
	v_and_b32_e32 v34, 0xffff, v2
	v_or_b32_e32 v35, 0x10000, v2
	s_delay_alu instid0(VALU_DEP_2) | instskip(NEXT) | instid1(VALU_DEP_2)
	v_cmp_eq_u32_e32 vcc_lo, 0, v34
	v_cndmask_b32_e32 v34, v35, v2, vcc_lo
; %bb.72:                               ;   in Loop: Header=BB143_4 Depth=1
	s_or_b32 exec_lo, exec_lo, s22
	flat_store_d16_hi_b16 v[32:33], v34 offset:96
	s_branch .LBB143_3
.LBB143_73:                             ;   in Loop: Header=BB143_4 Depth=1
	s_cbranch_execz .LBB143_3
; %bb.74:                               ;   in Loop: Header=BB143_4 Depth=1
	v_add_nc_u64_e32 v[28:29], s[16:17], v[28:29]
	s_delay_alu instid0(VALU_DEP_1) | instskip(SKIP_1) | instid1(VALU_DEP_1)
	v_lshl_add_u64 v[28:29], v[4:5], 1, v[28:29]
	s_wait_xcnt 0x0
	v_lshl_add_u64 v[32:33], v[6:7], 1, v[28:29]
	flat_load_u16 v2, v[32:33]
	s_wait_loadcnt_dscnt 0x0
	v_lshlrev_b32_e32 v2, 16, v2
	s_delay_alu instid0(VALU_DEP_1) | instskip(NEXT) | instid1(VALU_DEP_1)
	v_mul_f32_e32 v2, s30, v2
	v_and_b32_e32 v34, 0x7f800000, v2
	s_delay_alu instid0(VALU_DEP_1) | instskip(SKIP_2) | instid1(SALU_CYCLE_1)
	v_cmp_ne_u32_e32 vcc_lo, 0x7f800000, v34
                                        ; implicit-def: $vgpr34
	s_wait_xcnt 0x0
	s_and_saveexec_b32 s22, vcc_lo
	s_xor_b32 s22, exec_lo, s22
; %bb.75:                               ;   in Loop: Header=BB143_4 Depth=1
	v_bfe_u32 v34, v2, 16, 1
	s_delay_alu instid0(VALU_DEP_1)
	v_add3_u32 v34, v2, v34, 0x7fff
                                        ; implicit-def: $vgpr2
; %bb.76:                               ;   in Loop: Header=BB143_4 Depth=1
	s_and_not1_saveexec_b32 s22, s22
; %bb.77:                               ;   in Loop: Header=BB143_4 Depth=1
	v_and_b32_e32 v34, 0xffff, v2
	v_or_b32_e32 v35, 0x10000, v2
	s_delay_alu instid0(VALU_DEP_2) | instskip(NEXT) | instid1(VALU_DEP_2)
	v_cmp_eq_u32_e32 vcc_lo, 0, v34
	v_cndmask_b32_e32 v34, v35, v2, vcc_lo
; %bb.78:                               ;   in Loop: Header=BB143_4 Depth=1
	s_or_b32 exec_lo, exec_lo, s22
	s_delay_alu instid0(VALU_DEP_1) | instskip(NEXT) | instid1(VALU_DEP_1)
	v_fma_mix_f32_bf16 v2, s2, v26, v34 op_sel:[0,0,1] op_sel_hi:[0,0,1]
	v_and_b32_e32 v26, 0x7f800000, v2
	s_delay_alu instid0(VALU_DEP_1) | instskip(SKIP_1) | instid1(SALU_CYCLE_1)
	v_cmp_ne_u32_e32 vcc_lo, 0x7f800000, v26
                                        ; implicit-def: $vgpr26
	s_and_saveexec_b32 s22, vcc_lo
	s_xor_b32 s22, exec_lo, s22
; %bb.79:                               ;   in Loop: Header=BB143_4 Depth=1
	v_bfe_u32 v26, v2, 16, 1
	s_delay_alu instid0(VALU_DEP_1)
	v_add3_u32 v26, v2, v26, 0x7fff
                                        ; implicit-def: $vgpr2
; %bb.80:                               ;   in Loop: Header=BB143_4 Depth=1
	s_and_not1_saveexec_b32 s22, s22
; %bb.81:                               ;   in Loop: Header=BB143_4 Depth=1
	v_and_b32_e32 v26, 0xffff, v2
	v_or_b32_e32 v34, 0x10000, v2
	s_delay_alu instid0(VALU_DEP_2) | instskip(NEXT) | instid1(VALU_DEP_2)
	v_cmp_eq_u32_e32 vcc_lo, 0, v26
	v_cndmask_b32_e32 v26, v34, v2, vcc_lo
; %bb.82:                               ;   in Loop: Header=BB143_4 Depth=1
	s_or_b32 exec_lo, exec_lo, s22
	v_lshl_add_u64 v[30:31], v[0:1], 1, v[30:31]
	s_delay_alu instid0(VALU_DEP_1) | instskip(SKIP_4) | instid1(VALU_DEP_1)
	v_lshl_add_u64 v[34:35], v[6:7], 1, v[30:31]
	flat_store_d16_hi_b16 v[34:35], v26
	flat_load_u16 v2, v[32:33] offset:32
	s_wait_loadcnt_dscnt 0x0
	v_lshlrev_b32_e32 v2, 16, v2
	v_mul_f32_e32 v2, s30, v2
	s_wait_xcnt 0x1
	s_delay_alu instid0(VALU_DEP_1) | instskip(NEXT) | instid1(VALU_DEP_1)
	v_and_b32_e32 v26, 0x7f800000, v2
	v_cmp_ne_u32_e32 vcc_lo, 0x7f800000, v26
                                        ; implicit-def: $vgpr26
	s_wait_xcnt 0x0
	s_and_saveexec_b32 s22, vcc_lo
	s_delay_alu instid0(SALU_CYCLE_1)
	s_xor_b32 s22, exec_lo, s22
; %bb.83:                               ;   in Loop: Header=BB143_4 Depth=1
	v_bfe_u32 v26, v2, 16, 1
	s_delay_alu instid0(VALU_DEP_1)
	v_add3_u32 v26, v2, v26, 0x7fff
                                        ; implicit-def: $vgpr2
; %bb.84:                               ;   in Loop: Header=BB143_4 Depth=1
	s_and_not1_saveexec_b32 s22, s22
; %bb.85:                               ;   in Loop: Header=BB143_4 Depth=1
	v_and_b32_e32 v26, 0xffff, v2
	v_or_b32_e32 v40, 0x10000, v2
	s_delay_alu instid0(VALU_DEP_2) | instskip(NEXT) | instid1(VALU_DEP_2)
	v_cmp_eq_u32_e32 vcc_lo, 0, v26
	v_cndmask_b32_e32 v26, v40, v2, vcc_lo
; %bb.86:                               ;   in Loop: Header=BB143_4 Depth=1
	s_or_b32 exec_lo, exec_lo, s22
	s_delay_alu instid0(VALU_DEP_1) | instskip(NEXT) | instid1(VALU_DEP_1)
	v_fma_mix_f32_bf16 v2, s2, v27, v26 op_sel:[0,0,1] op_sel_hi:[0,0,1]
	v_and_b32_e32 v26, 0x7f800000, v2
	s_delay_alu instid0(VALU_DEP_1) | instskip(SKIP_1) | instid1(SALU_CYCLE_1)
	v_cmp_ne_u32_e32 vcc_lo, 0x7f800000, v26
                                        ; implicit-def: $vgpr26
	s_and_saveexec_b32 s22, vcc_lo
	s_xor_b32 s22, exec_lo, s22
; %bb.87:                               ;   in Loop: Header=BB143_4 Depth=1
	v_bfe_u32 v26, v2, 16, 1
	s_delay_alu instid0(VALU_DEP_1)
	v_add3_u32 v26, v2, v26, 0x7fff
                                        ; implicit-def: $vgpr2
; %bb.88:                               ;   in Loop: Header=BB143_4 Depth=1
	s_and_not1_saveexec_b32 s22, s22
; %bb.89:                               ;   in Loop: Header=BB143_4 Depth=1
	v_and_b32_e32 v26, 0xffff, v2
	v_or_b32_e32 v27, 0x10000, v2
	s_delay_alu instid0(VALU_DEP_2) | instskip(NEXT) | instid1(VALU_DEP_2)
	v_cmp_eq_u32_e32 vcc_lo, 0, v26
	v_cndmask_b32_e32 v26, v27, v2, vcc_lo
; %bb.90:                               ;   in Loop: Header=BB143_4 Depth=1
	s_or_b32 exec_lo, exec_lo, s22
	flat_store_d16_hi_b16 v[34:35], v26 offset:32
	flat_load_u16 v2, v[32:33] offset:64
	s_wait_loadcnt_dscnt 0x0
	v_lshlrev_b32_e32 v2, 16, v2
	s_delay_alu instid0(VALU_DEP_1) | instskip(SKIP_1) | instid1(VALU_DEP_1)
	v_mul_f32_e32 v2, s30, v2
	s_wait_xcnt 0x1
	v_and_b32_e32 v26, 0x7f800000, v2
	s_delay_alu instid0(VALU_DEP_1) | instskip(SKIP_2) | instid1(SALU_CYCLE_1)
	v_cmp_ne_u32_e32 vcc_lo, 0x7f800000, v26
                                        ; implicit-def: $vgpr26
	s_wait_xcnt 0x0
	s_and_saveexec_b32 s22, vcc_lo
	s_xor_b32 s22, exec_lo, s22
; %bb.91:                               ;   in Loop: Header=BB143_4 Depth=1
	v_bfe_u32 v26, v2, 16, 1
	s_delay_alu instid0(VALU_DEP_1)
	v_add3_u32 v26, v2, v26, 0x7fff
                                        ; implicit-def: $vgpr2
; %bb.92:                               ;   in Loop: Header=BB143_4 Depth=1
	s_and_not1_saveexec_b32 s22, s22
; %bb.93:                               ;   in Loop: Header=BB143_4 Depth=1
	v_and_b32_e32 v26, 0xffff, v2
	v_or_b32_e32 v27, 0x10000, v2
	s_delay_alu instid0(VALU_DEP_2) | instskip(NEXT) | instid1(VALU_DEP_2)
	v_cmp_eq_u32_e32 vcc_lo, 0, v26
	v_cndmask_b32_e32 v26, v27, v2, vcc_lo
; %bb.94:                               ;   in Loop: Header=BB143_4 Depth=1
	s_or_b32 exec_lo, exec_lo, s22
	s_delay_alu instid0(VALU_DEP_1) | instskip(NEXT) | instid1(VALU_DEP_1)
	v_fma_mix_f32_bf16 v2, s2, v24, v26 op_sel:[0,0,1] op_sel_hi:[0,0,1]
	v_and_b32_e32 v24, 0x7f800000, v2
	s_delay_alu instid0(VALU_DEP_1) | instskip(SKIP_1) | instid1(SALU_CYCLE_1)
	v_cmp_ne_u32_e32 vcc_lo, 0x7f800000, v24
                                        ; implicit-def: $vgpr24
	s_and_saveexec_b32 s22, vcc_lo
	s_xor_b32 s22, exec_lo, s22
; %bb.95:                               ;   in Loop: Header=BB143_4 Depth=1
	v_bfe_u32 v24, v2, 16, 1
	s_delay_alu instid0(VALU_DEP_1)
	v_add3_u32 v24, v2, v24, 0x7fff
                                        ; implicit-def: $vgpr2
; %bb.96:                               ;   in Loop: Header=BB143_4 Depth=1
	s_and_not1_saveexec_b32 s22, s22
; %bb.97:                               ;   in Loop: Header=BB143_4 Depth=1
	v_and_b32_e32 v24, 0xffff, v2
	v_or_b32_e32 v26, 0x10000, v2
	s_delay_alu instid0(VALU_DEP_2) | instskip(NEXT) | instid1(VALU_DEP_2)
	v_cmp_eq_u32_e32 vcc_lo, 0, v24
	v_cndmask_b32_e32 v24, v26, v2, vcc_lo
; %bb.98:                               ;   in Loop: Header=BB143_4 Depth=1
	s_or_b32 exec_lo, exec_lo, s22
	flat_store_d16_hi_b16 v[34:35], v24 offset:64
	flat_load_u16 v2, v[32:33] offset:96
	s_wait_loadcnt_dscnt 0x0
	v_lshlrev_b32_e32 v2, 16, v2
	s_delay_alu instid0(VALU_DEP_1) | instskip(SKIP_1) | instid1(VALU_DEP_1)
	v_mul_f32_e32 v2, s30, v2
	s_wait_xcnt 0x1
	v_and_b32_e32 v24, 0x7f800000, v2
	s_delay_alu instid0(VALU_DEP_1) | instskip(SKIP_2) | instid1(SALU_CYCLE_1)
	v_cmp_ne_u32_e32 vcc_lo, 0x7f800000, v24
                                        ; implicit-def: $vgpr24
	s_wait_xcnt 0x0
	s_and_saveexec_b32 s22, vcc_lo
	s_xor_b32 s22, exec_lo, s22
; %bb.99:                               ;   in Loop: Header=BB143_4 Depth=1
	v_bfe_u32 v24, v2, 16, 1
	s_delay_alu instid0(VALU_DEP_1)
	v_add3_u32 v24, v2, v24, 0x7fff
                                        ; implicit-def: $vgpr2
; %bb.100:                              ;   in Loop: Header=BB143_4 Depth=1
	s_and_not1_saveexec_b32 s22, s22
; %bb.101:                              ;   in Loop: Header=BB143_4 Depth=1
	v_and_b32_e32 v24, 0xffff, v2
	v_or_b32_e32 v26, 0x10000, v2
	s_delay_alu instid0(VALU_DEP_2) | instskip(NEXT) | instid1(VALU_DEP_2)
	v_cmp_eq_u32_e32 vcc_lo, 0, v24
	v_cndmask_b32_e32 v24, v26, v2, vcc_lo
; %bb.102:                              ;   in Loop: Header=BB143_4 Depth=1
	s_or_b32 exec_lo, exec_lo, s22
	s_delay_alu instid0(VALU_DEP_1) | instskip(SKIP_1) | instid1(VALU_DEP_1)
	v_fma_mix_f32_bf16 v2, s2, v25, v24 op_sel:[0,0,1] op_sel_hi:[0,0,1]
	s_mov_b32 s22, exec_lo
                                        ; implicit-def: $vgpr26
	v_and_b32_e32 v24, 0x7f800000, v2
	s_delay_alu instid0(VALU_DEP_1)
	v_cmpx_ne_u32_e32 0x7f800000, v24
	s_xor_b32 s22, exec_lo, s22
; %bb.103:                              ;   in Loop: Header=BB143_4 Depth=1
	v_bfe_u32 v24, v2, 16, 1
	s_delay_alu instid0(VALU_DEP_1)
	v_add3_u32 v26, v2, v24, 0x7fff
                                        ; implicit-def: $vgpr2
; %bb.104:                              ;   in Loop: Header=BB143_4 Depth=1
	s_and_not1_saveexec_b32 s22, s22
; %bb.105:                              ;   in Loop: Header=BB143_4 Depth=1
	v_and_b32_e32 v24, 0xffff, v2
	v_or_b32_e32 v25, 0x10000, v2
	s_delay_alu instid0(VALU_DEP_2) | instskip(NEXT) | instid1(VALU_DEP_2)
	v_cmp_eq_u32_e32 vcc_lo, 0, v24
	v_cndmask_b32_e32 v26, v25, v2, vcc_lo
; %bb.106:                              ;   in Loop: Header=BB143_4 Depth=1
	s_or_b32 exec_lo, exec_lo, s22
	v_lshl_add_u64 v[24:25], s[8:9], 1, v[28:29]
	flat_store_d16_hi_b16 v[34:35], v26 offset:96
	v_lshl_add_u64 v[28:29], v[6:7], 1, v[24:25]
	flat_load_u16 v2, v[28:29]
	s_wait_loadcnt_dscnt 0x0
	v_lshlrev_b32_e32 v2, 16, v2
	s_delay_alu instid0(VALU_DEP_1) | instskip(SKIP_1) | instid1(VALU_DEP_1)
	v_mul_f32_e32 v2, s30, v2
	s_wait_xcnt 0x1
	v_and_b32_e32 v26, 0x7f800000, v2
	s_delay_alu instid0(VALU_DEP_1) | instskip(SKIP_2) | instid1(SALU_CYCLE_1)
	v_cmp_ne_u32_e32 vcc_lo, 0x7f800000, v26
                                        ; implicit-def: $vgpr26
	s_wait_xcnt 0x0
	s_and_saveexec_b32 s22, vcc_lo
	s_xor_b32 s22, exec_lo, s22
; %bb.107:                              ;   in Loop: Header=BB143_4 Depth=1
	v_bfe_u32 v26, v2, 16, 1
	s_delay_alu instid0(VALU_DEP_1)
	v_add3_u32 v26, v2, v26, 0x7fff
                                        ; implicit-def: $vgpr2
; %bb.108:                              ;   in Loop: Header=BB143_4 Depth=1
	s_and_not1_saveexec_b32 s22, s22
; %bb.109:                              ;   in Loop: Header=BB143_4 Depth=1
	v_and_b32_e32 v26, 0xffff, v2
	v_or_b32_e32 v27, 0x10000, v2
	s_delay_alu instid0(VALU_DEP_2) | instskip(NEXT) | instid1(VALU_DEP_2)
	v_cmp_eq_u32_e32 vcc_lo, 0, v26
	v_cndmask_b32_e32 v26, v27, v2, vcc_lo
; %bb.110:                              ;   in Loop: Header=BB143_4 Depth=1
	s_or_b32 exec_lo, exec_lo, s22
	s_delay_alu instid0(VALU_DEP_1) | instskip(NEXT) | instid1(VALU_DEP_1)
	v_fma_mix_f32_bf16 v2, s2, v22, v26 op_sel:[0,0,1] op_sel_hi:[0,0,1]
	v_and_b32_e32 v22, 0x7f800000, v2
	s_delay_alu instid0(VALU_DEP_1) | instskip(SKIP_1) | instid1(SALU_CYCLE_1)
	v_cmp_ne_u32_e32 vcc_lo, 0x7f800000, v22
                                        ; implicit-def: $vgpr22
	s_and_saveexec_b32 s22, vcc_lo
	s_xor_b32 s22, exec_lo, s22
; %bb.111:                              ;   in Loop: Header=BB143_4 Depth=1
	v_bfe_u32 v22, v2, 16, 1
	s_delay_alu instid0(VALU_DEP_1)
	v_add3_u32 v22, v2, v22, 0x7fff
                                        ; implicit-def: $vgpr2
; %bb.112:                              ;   in Loop: Header=BB143_4 Depth=1
	s_and_not1_saveexec_b32 s22, s22
; %bb.113:                              ;   in Loop: Header=BB143_4 Depth=1
	v_and_b32_e32 v22, 0xffff, v2
	v_or_b32_e32 v26, 0x10000, v2
	s_delay_alu instid0(VALU_DEP_2) | instskip(NEXT) | instid1(VALU_DEP_2)
	v_cmp_eq_u32_e32 vcc_lo, 0, v22
	v_cndmask_b32_e32 v22, v26, v2, vcc_lo
; %bb.114:                              ;   in Loop: Header=BB143_4 Depth=1
	s_or_b32 exec_lo, exec_lo, s22
	v_lshl_add_u64 v[26:27], s[6:7], 1, v[30:31]
	s_delay_alu instid0(VALU_DEP_1) | instskip(SKIP_4) | instid1(VALU_DEP_1)
	v_lshl_add_u64 v[30:31], v[6:7], 1, v[26:27]
	flat_store_d16_hi_b16 v[30:31], v22
	flat_load_u16 v2, v[28:29] offset:32
	s_wait_loadcnt_dscnt 0x0
	v_lshlrev_b32_e32 v2, 16, v2
	v_mul_f32_e32 v2, s30, v2
	s_wait_xcnt 0x1
	s_delay_alu instid0(VALU_DEP_1) | instskip(NEXT) | instid1(VALU_DEP_1)
	v_and_b32_e32 v22, 0x7f800000, v2
	v_cmp_ne_u32_e32 vcc_lo, 0x7f800000, v22
                                        ; implicit-def: $vgpr22
	s_wait_xcnt 0x0
	s_and_saveexec_b32 s22, vcc_lo
	s_delay_alu instid0(SALU_CYCLE_1)
	s_xor_b32 s22, exec_lo, s22
; %bb.115:                              ;   in Loop: Header=BB143_4 Depth=1
	v_bfe_u32 v22, v2, 16, 1
	s_delay_alu instid0(VALU_DEP_1)
	v_add3_u32 v22, v2, v22, 0x7fff
                                        ; implicit-def: $vgpr2
; %bb.116:                              ;   in Loop: Header=BB143_4 Depth=1
	s_and_not1_saveexec_b32 s22, s22
; %bb.117:                              ;   in Loop: Header=BB143_4 Depth=1
	v_and_b32_e32 v22, 0xffff, v2
	v_or_b32_e32 v32, 0x10000, v2
	s_delay_alu instid0(VALU_DEP_2) | instskip(NEXT) | instid1(VALU_DEP_2)
	v_cmp_eq_u32_e32 vcc_lo, 0, v22
	v_cndmask_b32_e32 v22, v32, v2, vcc_lo
; %bb.118:                              ;   in Loop: Header=BB143_4 Depth=1
	s_or_b32 exec_lo, exec_lo, s22
	s_delay_alu instid0(VALU_DEP_1) | instskip(NEXT) | instid1(VALU_DEP_1)
	v_fma_mix_f32_bf16 v2, s2, v23, v22 op_sel:[0,0,1] op_sel_hi:[0,0,1]
	v_and_b32_e32 v22, 0x7f800000, v2
	s_delay_alu instid0(VALU_DEP_1) | instskip(SKIP_1) | instid1(SALU_CYCLE_1)
	v_cmp_ne_u32_e32 vcc_lo, 0x7f800000, v22
                                        ; implicit-def: $vgpr22
	s_and_saveexec_b32 s22, vcc_lo
	s_xor_b32 s22, exec_lo, s22
; %bb.119:                              ;   in Loop: Header=BB143_4 Depth=1
	v_bfe_u32 v22, v2, 16, 1
	s_delay_alu instid0(VALU_DEP_1)
	v_add3_u32 v22, v2, v22, 0x7fff
                                        ; implicit-def: $vgpr2
; %bb.120:                              ;   in Loop: Header=BB143_4 Depth=1
	s_and_not1_saveexec_b32 s22, s22
; %bb.121:                              ;   in Loop: Header=BB143_4 Depth=1
	v_and_b32_e32 v22, 0xffff, v2
	v_or_b32_e32 v23, 0x10000, v2
	s_delay_alu instid0(VALU_DEP_2) | instskip(NEXT) | instid1(VALU_DEP_2)
	v_cmp_eq_u32_e32 vcc_lo, 0, v22
	v_cndmask_b32_e32 v22, v23, v2, vcc_lo
; %bb.122:                              ;   in Loop: Header=BB143_4 Depth=1
	s_or_b32 exec_lo, exec_lo, s22
	flat_store_d16_hi_b16 v[30:31], v22 offset:32
	flat_load_u16 v2, v[28:29] offset:64
	s_wait_loadcnt_dscnt 0x0
	v_lshlrev_b32_e32 v2, 16, v2
	s_delay_alu instid0(VALU_DEP_1) | instskip(SKIP_1) | instid1(VALU_DEP_1)
	v_mul_f32_e32 v2, s30, v2
	s_wait_xcnt 0x1
	v_and_b32_e32 v22, 0x7f800000, v2
	s_delay_alu instid0(VALU_DEP_1) | instskip(SKIP_2) | instid1(SALU_CYCLE_1)
	v_cmp_ne_u32_e32 vcc_lo, 0x7f800000, v22
                                        ; implicit-def: $vgpr22
	s_wait_xcnt 0x0
	s_and_saveexec_b32 s22, vcc_lo
	s_xor_b32 s22, exec_lo, s22
; %bb.123:                              ;   in Loop: Header=BB143_4 Depth=1
	v_bfe_u32 v22, v2, 16, 1
	s_delay_alu instid0(VALU_DEP_1)
	v_add3_u32 v22, v2, v22, 0x7fff
                                        ; implicit-def: $vgpr2
; %bb.124:                              ;   in Loop: Header=BB143_4 Depth=1
	s_and_not1_saveexec_b32 s22, s22
; %bb.125:                              ;   in Loop: Header=BB143_4 Depth=1
	v_and_b32_e32 v22, 0xffff, v2
	v_or_b32_e32 v23, 0x10000, v2
	s_delay_alu instid0(VALU_DEP_2) | instskip(NEXT) | instid1(VALU_DEP_2)
	v_cmp_eq_u32_e32 vcc_lo, 0, v22
	v_cndmask_b32_e32 v22, v23, v2, vcc_lo
; %bb.126:                              ;   in Loop: Header=BB143_4 Depth=1
	s_or_b32 exec_lo, exec_lo, s22
	s_delay_alu instid0(VALU_DEP_1) | instskip(NEXT) | instid1(VALU_DEP_1)
	v_fma_mix_f32_bf16 v2, s2, v20, v22 op_sel:[0,0,1] op_sel_hi:[0,0,1]
	v_and_b32_e32 v20, 0x7f800000, v2
	s_delay_alu instid0(VALU_DEP_1) | instskip(SKIP_1) | instid1(SALU_CYCLE_1)
	v_cmp_ne_u32_e32 vcc_lo, 0x7f800000, v20
                                        ; implicit-def: $vgpr20
	s_and_saveexec_b32 s22, vcc_lo
	s_xor_b32 s22, exec_lo, s22
; %bb.127:                              ;   in Loop: Header=BB143_4 Depth=1
	v_bfe_u32 v20, v2, 16, 1
	s_delay_alu instid0(VALU_DEP_1)
	v_add3_u32 v20, v2, v20, 0x7fff
                                        ; implicit-def: $vgpr2
; %bb.128:                              ;   in Loop: Header=BB143_4 Depth=1
	s_and_not1_saveexec_b32 s22, s22
; %bb.129:                              ;   in Loop: Header=BB143_4 Depth=1
	v_and_b32_e32 v20, 0xffff, v2
	v_or_b32_e32 v22, 0x10000, v2
	s_delay_alu instid0(VALU_DEP_2) | instskip(NEXT) | instid1(VALU_DEP_2)
	v_cmp_eq_u32_e32 vcc_lo, 0, v20
	v_cndmask_b32_e32 v20, v22, v2, vcc_lo
; %bb.130:                              ;   in Loop: Header=BB143_4 Depth=1
	s_or_b32 exec_lo, exec_lo, s22
	flat_store_d16_hi_b16 v[30:31], v20 offset:64
	flat_load_u16 v2, v[28:29] offset:96
	s_wait_loadcnt_dscnt 0x0
	v_lshlrev_b32_e32 v2, 16, v2
	s_delay_alu instid0(VALU_DEP_1) | instskip(SKIP_1) | instid1(VALU_DEP_1)
	v_mul_f32_e32 v2, s30, v2
	s_wait_xcnt 0x1
	v_and_b32_e32 v20, 0x7f800000, v2
	s_delay_alu instid0(VALU_DEP_1) | instskip(SKIP_2) | instid1(SALU_CYCLE_1)
	v_cmp_ne_u32_e32 vcc_lo, 0x7f800000, v20
                                        ; implicit-def: $vgpr20
	s_wait_xcnt 0x0
	s_and_saveexec_b32 s22, vcc_lo
	s_xor_b32 s22, exec_lo, s22
; %bb.131:                              ;   in Loop: Header=BB143_4 Depth=1
	v_bfe_u32 v20, v2, 16, 1
	s_delay_alu instid0(VALU_DEP_1)
	v_add3_u32 v20, v2, v20, 0x7fff
                                        ; implicit-def: $vgpr2
; %bb.132:                              ;   in Loop: Header=BB143_4 Depth=1
	s_and_not1_saveexec_b32 s22, s22
; %bb.133:                              ;   in Loop: Header=BB143_4 Depth=1
	v_and_b32_e32 v20, 0xffff, v2
	v_or_b32_e32 v22, 0x10000, v2
	s_delay_alu instid0(VALU_DEP_2) | instskip(NEXT) | instid1(VALU_DEP_2)
	v_cmp_eq_u32_e32 vcc_lo, 0, v20
	v_cndmask_b32_e32 v20, v22, v2, vcc_lo
; %bb.134:                              ;   in Loop: Header=BB143_4 Depth=1
	s_or_b32 exec_lo, exec_lo, s22
	s_delay_alu instid0(VALU_DEP_1) | instskip(SKIP_1) | instid1(VALU_DEP_1)
	v_fma_mix_f32_bf16 v2, s2, v21, v20 op_sel:[0,0,1] op_sel_hi:[0,0,1]
	s_mov_b32 s22, exec_lo
                                        ; implicit-def: $vgpr22
	v_and_b32_e32 v20, 0x7f800000, v2
	s_delay_alu instid0(VALU_DEP_1)
	v_cmpx_ne_u32_e32 0x7f800000, v20
	s_xor_b32 s22, exec_lo, s22
; %bb.135:                              ;   in Loop: Header=BB143_4 Depth=1
	v_bfe_u32 v20, v2, 16, 1
	s_delay_alu instid0(VALU_DEP_1)
	v_add3_u32 v22, v2, v20, 0x7fff
                                        ; implicit-def: $vgpr2
; %bb.136:                              ;   in Loop: Header=BB143_4 Depth=1
	s_and_not1_saveexec_b32 s22, s22
; %bb.137:                              ;   in Loop: Header=BB143_4 Depth=1
	v_and_b32_e32 v20, 0xffff, v2
	v_or_b32_e32 v21, 0x10000, v2
	s_delay_alu instid0(VALU_DEP_2) | instskip(NEXT) | instid1(VALU_DEP_2)
	v_cmp_eq_u32_e32 vcc_lo, 0, v20
	v_cndmask_b32_e32 v22, v21, v2, vcc_lo
; %bb.138:                              ;   in Loop: Header=BB143_4 Depth=1
	s_or_b32 exec_lo, exec_lo, s22
	v_lshl_add_u64 v[20:21], s[8:9], 1, v[24:25]
	flat_store_d16_hi_b16 v[30:31], v22 offset:96
	v_lshl_add_u64 v[24:25], v[6:7], 1, v[20:21]
	flat_load_u16 v2, v[24:25]
	s_wait_loadcnt_dscnt 0x0
	v_lshlrev_b32_e32 v2, 16, v2
	s_delay_alu instid0(VALU_DEP_1) | instskip(SKIP_1) | instid1(VALU_DEP_1)
	v_mul_f32_e32 v2, s30, v2
	s_wait_xcnt 0x1
	v_and_b32_e32 v22, 0x7f800000, v2
	s_delay_alu instid0(VALU_DEP_1) | instskip(SKIP_2) | instid1(SALU_CYCLE_1)
	v_cmp_ne_u32_e32 vcc_lo, 0x7f800000, v22
                                        ; implicit-def: $vgpr22
	s_wait_xcnt 0x0
	s_and_saveexec_b32 s22, vcc_lo
	s_xor_b32 s22, exec_lo, s22
; %bb.139:                              ;   in Loop: Header=BB143_4 Depth=1
	v_bfe_u32 v22, v2, 16, 1
	s_delay_alu instid0(VALU_DEP_1)
	v_add3_u32 v22, v2, v22, 0x7fff
                                        ; implicit-def: $vgpr2
; %bb.140:                              ;   in Loop: Header=BB143_4 Depth=1
	s_and_not1_saveexec_b32 s22, s22
; %bb.141:                              ;   in Loop: Header=BB143_4 Depth=1
	v_and_b32_e32 v22, 0xffff, v2
	v_or_b32_e32 v23, 0x10000, v2
	s_delay_alu instid0(VALU_DEP_2) | instskip(NEXT) | instid1(VALU_DEP_2)
	v_cmp_eq_u32_e32 vcc_lo, 0, v22
	v_cndmask_b32_e32 v22, v23, v2, vcc_lo
; %bb.142:                              ;   in Loop: Header=BB143_4 Depth=1
	s_or_b32 exec_lo, exec_lo, s22
	s_delay_alu instid0(VALU_DEP_1) | instskip(NEXT) | instid1(VALU_DEP_1)
	v_fma_mix_f32_bf16 v2, s2, v18, v22 op_sel:[0,0,1] op_sel_hi:[0,0,1]
	v_and_b32_e32 v18, 0x7f800000, v2
	s_delay_alu instid0(VALU_DEP_1) | instskip(SKIP_1) | instid1(SALU_CYCLE_1)
	v_cmp_ne_u32_e32 vcc_lo, 0x7f800000, v18
                                        ; implicit-def: $vgpr18
	s_and_saveexec_b32 s22, vcc_lo
	s_xor_b32 s22, exec_lo, s22
; %bb.143:                              ;   in Loop: Header=BB143_4 Depth=1
	v_bfe_u32 v18, v2, 16, 1
	s_delay_alu instid0(VALU_DEP_1)
	v_add3_u32 v18, v2, v18, 0x7fff
                                        ; implicit-def: $vgpr2
; %bb.144:                              ;   in Loop: Header=BB143_4 Depth=1
	s_and_not1_saveexec_b32 s22, s22
; %bb.145:                              ;   in Loop: Header=BB143_4 Depth=1
	v_and_b32_e32 v18, 0xffff, v2
	v_or_b32_e32 v22, 0x10000, v2
	s_delay_alu instid0(VALU_DEP_2) | instskip(NEXT) | instid1(VALU_DEP_2)
	v_cmp_eq_u32_e32 vcc_lo, 0, v18
	v_cndmask_b32_e32 v18, v22, v2, vcc_lo
; %bb.146:                              ;   in Loop: Header=BB143_4 Depth=1
	s_or_b32 exec_lo, exec_lo, s22
	v_lshl_add_u64 v[22:23], s[6:7], 1, v[26:27]
	s_delay_alu instid0(VALU_DEP_1) | instskip(SKIP_4) | instid1(VALU_DEP_1)
	v_lshl_add_u64 v[26:27], v[6:7], 1, v[22:23]
	flat_store_d16_hi_b16 v[26:27], v18
	flat_load_u16 v2, v[24:25] offset:32
	s_wait_loadcnt_dscnt 0x0
	v_lshlrev_b32_e32 v2, 16, v2
	v_mul_f32_e32 v2, s30, v2
	s_wait_xcnt 0x1
	s_delay_alu instid0(VALU_DEP_1) | instskip(NEXT) | instid1(VALU_DEP_1)
	v_and_b32_e32 v18, 0x7f800000, v2
	v_cmp_ne_u32_e32 vcc_lo, 0x7f800000, v18
                                        ; implicit-def: $vgpr18
	s_wait_xcnt 0x0
	s_and_saveexec_b32 s22, vcc_lo
	s_delay_alu instid0(SALU_CYCLE_1)
	s_xor_b32 s22, exec_lo, s22
; %bb.147:                              ;   in Loop: Header=BB143_4 Depth=1
	v_bfe_u32 v18, v2, 16, 1
	s_delay_alu instid0(VALU_DEP_1)
	v_add3_u32 v18, v2, v18, 0x7fff
                                        ; implicit-def: $vgpr2
; %bb.148:                              ;   in Loop: Header=BB143_4 Depth=1
	s_and_not1_saveexec_b32 s22, s22
; %bb.149:                              ;   in Loop: Header=BB143_4 Depth=1
	v_and_b32_e32 v18, 0xffff, v2
	v_or_b32_e32 v28, 0x10000, v2
	s_delay_alu instid0(VALU_DEP_2) | instskip(NEXT) | instid1(VALU_DEP_2)
	v_cmp_eq_u32_e32 vcc_lo, 0, v18
	v_cndmask_b32_e32 v18, v28, v2, vcc_lo
; %bb.150:                              ;   in Loop: Header=BB143_4 Depth=1
	s_or_b32 exec_lo, exec_lo, s22
	s_delay_alu instid0(VALU_DEP_1) | instskip(NEXT) | instid1(VALU_DEP_1)
	v_fma_mix_f32_bf16 v2, s2, v19, v18 op_sel:[0,0,1] op_sel_hi:[0,0,1]
	v_and_b32_e32 v18, 0x7f800000, v2
	s_delay_alu instid0(VALU_DEP_1) | instskip(SKIP_1) | instid1(SALU_CYCLE_1)
	v_cmp_ne_u32_e32 vcc_lo, 0x7f800000, v18
                                        ; implicit-def: $vgpr18
	s_and_saveexec_b32 s22, vcc_lo
	s_xor_b32 s22, exec_lo, s22
; %bb.151:                              ;   in Loop: Header=BB143_4 Depth=1
	v_bfe_u32 v18, v2, 16, 1
	s_delay_alu instid0(VALU_DEP_1)
	v_add3_u32 v18, v2, v18, 0x7fff
                                        ; implicit-def: $vgpr2
; %bb.152:                              ;   in Loop: Header=BB143_4 Depth=1
	s_and_not1_saveexec_b32 s22, s22
; %bb.153:                              ;   in Loop: Header=BB143_4 Depth=1
	v_and_b32_e32 v18, 0xffff, v2
	v_or_b32_e32 v19, 0x10000, v2
	s_delay_alu instid0(VALU_DEP_2) | instskip(NEXT) | instid1(VALU_DEP_2)
	v_cmp_eq_u32_e32 vcc_lo, 0, v18
	v_cndmask_b32_e32 v18, v19, v2, vcc_lo
; %bb.154:                              ;   in Loop: Header=BB143_4 Depth=1
	s_or_b32 exec_lo, exec_lo, s22
	flat_store_d16_hi_b16 v[26:27], v18 offset:32
	flat_load_u16 v2, v[24:25] offset:64
	s_wait_loadcnt_dscnt 0x0
	v_lshlrev_b32_e32 v2, 16, v2
	s_delay_alu instid0(VALU_DEP_1) | instskip(SKIP_1) | instid1(VALU_DEP_1)
	v_mul_f32_e32 v2, s30, v2
	s_wait_xcnt 0x1
	v_and_b32_e32 v18, 0x7f800000, v2
	s_delay_alu instid0(VALU_DEP_1) | instskip(SKIP_2) | instid1(SALU_CYCLE_1)
	v_cmp_ne_u32_e32 vcc_lo, 0x7f800000, v18
                                        ; implicit-def: $vgpr18
	s_wait_xcnt 0x0
	s_and_saveexec_b32 s22, vcc_lo
	s_xor_b32 s22, exec_lo, s22
; %bb.155:                              ;   in Loop: Header=BB143_4 Depth=1
	v_bfe_u32 v18, v2, 16, 1
	s_delay_alu instid0(VALU_DEP_1)
	v_add3_u32 v18, v2, v18, 0x7fff
                                        ; implicit-def: $vgpr2
; %bb.156:                              ;   in Loop: Header=BB143_4 Depth=1
	s_and_not1_saveexec_b32 s22, s22
; %bb.157:                              ;   in Loop: Header=BB143_4 Depth=1
	v_and_b32_e32 v18, 0xffff, v2
	v_or_b32_e32 v19, 0x10000, v2
	s_delay_alu instid0(VALU_DEP_2) | instskip(NEXT) | instid1(VALU_DEP_2)
	v_cmp_eq_u32_e32 vcc_lo, 0, v18
	v_cndmask_b32_e32 v18, v19, v2, vcc_lo
; %bb.158:                              ;   in Loop: Header=BB143_4 Depth=1
	s_or_b32 exec_lo, exec_lo, s22
	s_delay_alu instid0(VALU_DEP_1) | instskip(NEXT) | instid1(VALU_DEP_1)
	v_fma_mix_f32_bf16 v2, s2, v16, v18 op_sel:[0,0,1] op_sel_hi:[0,0,1]
	v_and_b32_e32 v16, 0x7f800000, v2
	s_delay_alu instid0(VALU_DEP_1) | instskip(SKIP_1) | instid1(SALU_CYCLE_1)
	v_cmp_ne_u32_e32 vcc_lo, 0x7f800000, v16
                                        ; implicit-def: $vgpr16
	s_and_saveexec_b32 s22, vcc_lo
	s_xor_b32 s22, exec_lo, s22
; %bb.159:                              ;   in Loop: Header=BB143_4 Depth=1
	v_bfe_u32 v16, v2, 16, 1
	s_delay_alu instid0(VALU_DEP_1)
	v_add3_u32 v16, v2, v16, 0x7fff
                                        ; implicit-def: $vgpr2
; %bb.160:                              ;   in Loop: Header=BB143_4 Depth=1
	s_and_not1_saveexec_b32 s22, s22
; %bb.161:                              ;   in Loop: Header=BB143_4 Depth=1
	v_and_b32_e32 v16, 0xffff, v2
	v_or_b32_e32 v18, 0x10000, v2
	s_delay_alu instid0(VALU_DEP_2) | instskip(NEXT) | instid1(VALU_DEP_2)
	v_cmp_eq_u32_e32 vcc_lo, 0, v16
	v_cndmask_b32_e32 v16, v18, v2, vcc_lo
; %bb.162:                              ;   in Loop: Header=BB143_4 Depth=1
	s_or_b32 exec_lo, exec_lo, s22
	flat_store_d16_hi_b16 v[26:27], v16 offset:64
	flat_load_u16 v2, v[24:25] offset:96
	s_wait_loadcnt_dscnt 0x0
	v_lshlrev_b32_e32 v2, 16, v2
	s_delay_alu instid0(VALU_DEP_1) | instskip(SKIP_1) | instid1(VALU_DEP_1)
	v_mul_f32_e32 v2, s30, v2
	s_wait_xcnt 0x1
	v_and_b32_e32 v16, 0x7f800000, v2
	s_delay_alu instid0(VALU_DEP_1) | instskip(SKIP_2) | instid1(SALU_CYCLE_1)
	v_cmp_ne_u32_e32 vcc_lo, 0x7f800000, v16
                                        ; implicit-def: $vgpr16
	s_wait_xcnt 0x0
	s_and_saveexec_b32 s22, vcc_lo
	s_xor_b32 s22, exec_lo, s22
; %bb.163:                              ;   in Loop: Header=BB143_4 Depth=1
	v_bfe_u32 v16, v2, 16, 1
	s_delay_alu instid0(VALU_DEP_1)
	v_add3_u32 v16, v2, v16, 0x7fff
                                        ; implicit-def: $vgpr2
; %bb.164:                              ;   in Loop: Header=BB143_4 Depth=1
	s_and_not1_saveexec_b32 s22, s22
; %bb.165:                              ;   in Loop: Header=BB143_4 Depth=1
	v_and_b32_e32 v16, 0xffff, v2
	v_or_b32_e32 v18, 0x10000, v2
	s_delay_alu instid0(VALU_DEP_2) | instskip(NEXT) | instid1(VALU_DEP_2)
	v_cmp_eq_u32_e32 vcc_lo, 0, v16
	v_cndmask_b32_e32 v16, v18, v2, vcc_lo
; %bb.166:                              ;   in Loop: Header=BB143_4 Depth=1
	s_or_b32 exec_lo, exec_lo, s22
	s_delay_alu instid0(VALU_DEP_1) | instskip(SKIP_1) | instid1(VALU_DEP_1)
	v_fma_mix_f32_bf16 v2, s2, v17, v16 op_sel:[0,0,1] op_sel_hi:[0,0,1]
	s_mov_b32 s22, exec_lo
                                        ; implicit-def: $vgpr18
	v_and_b32_e32 v16, 0x7f800000, v2
	s_delay_alu instid0(VALU_DEP_1)
	v_cmpx_ne_u32_e32 0x7f800000, v16
	s_xor_b32 s22, exec_lo, s22
; %bb.167:                              ;   in Loop: Header=BB143_4 Depth=1
	v_bfe_u32 v16, v2, 16, 1
	s_delay_alu instid0(VALU_DEP_1)
	v_add3_u32 v18, v2, v16, 0x7fff
                                        ; implicit-def: $vgpr2
; %bb.168:                              ;   in Loop: Header=BB143_4 Depth=1
	s_and_not1_saveexec_b32 s22, s22
; %bb.169:                              ;   in Loop: Header=BB143_4 Depth=1
	v_and_b32_e32 v16, 0xffff, v2
	v_or_b32_e32 v17, 0x10000, v2
	s_delay_alu instid0(VALU_DEP_2) | instskip(NEXT) | instid1(VALU_DEP_2)
	v_cmp_eq_u32_e32 vcc_lo, 0, v16
	v_cndmask_b32_e32 v18, v17, v2, vcc_lo
; %bb.170:                              ;   in Loop: Header=BB143_4 Depth=1
	s_or_b32 exec_lo, exec_lo, s22
	v_lshl_add_u64 v[16:17], s[8:9], 1, v[20:21]
	flat_store_d16_hi_b16 v[26:27], v18 offset:96
	v_lshl_add_u64 v[16:17], v[6:7], 1, v[16:17]
	flat_load_u16 v2, v[16:17]
	s_wait_loadcnt_dscnt 0x0
	v_lshlrev_b32_e32 v2, 16, v2
	s_delay_alu instid0(VALU_DEP_1) | instskip(SKIP_1) | instid1(VALU_DEP_1)
	v_mul_f32_e32 v2, s30, v2
	s_wait_xcnt 0x1
	v_and_b32_e32 v18, 0x7f800000, v2
	s_delay_alu instid0(VALU_DEP_1) | instskip(SKIP_2) | instid1(SALU_CYCLE_1)
	v_cmp_ne_u32_e32 vcc_lo, 0x7f800000, v18
                                        ; implicit-def: $vgpr18
	s_wait_xcnt 0x0
	s_and_saveexec_b32 s22, vcc_lo
	s_xor_b32 s22, exec_lo, s22
; %bb.171:                              ;   in Loop: Header=BB143_4 Depth=1
	v_bfe_u32 v18, v2, 16, 1
	s_delay_alu instid0(VALU_DEP_1)
	v_add3_u32 v18, v2, v18, 0x7fff
                                        ; implicit-def: $vgpr2
; %bb.172:                              ;   in Loop: Header=BB143_4 Depth=1
	s_and_not1_saveexec_b32 s22, s22
; %bb.173:                              ;   in Loop: Header=BB143_4 Depth=1
	v_and_b32_e32 v18, 0xffff, v2
	v_or_b32_e32 v19, 0x10000, v2
	s_delay_alu instid0(VALU_DEP_2) | instskip(NEXT) | instid1(VALU_DEP_2)
	v_cmp_eq_u32_e32 vcc_lo, 0, v18
	v_cndmask_b32_e32 v18, v19, v2, vcc_lo
; %bb.174:                              ;   in Loop: Header=BB143_4 Depth=1
	s_or_b32 exec_lo, exec_lo, s22
	s_delay_alu instid0(VALU_DEP_1) | instskip(NEXT) | instid1(VALU_DEP_1)
	v_fma_mix_f32_bf16 v2, s2, v14, v18 op_sel:[0,0,1] op_sel_hi:[0,0,1]
	v_and_b32_e32 v14, 0x7f800000, v2
	s_delay_alu instid0(VALU_DEP_1) | instskip(SKIP_1) | instid1(SALU_CYCLE_1)
	v_cmp_ne_u32_e32 vcc_lo, 0x7f800000, v14
                                        ; implicit-def: $vgpr14
	s_and_saveexec_b32 s22, vcc_lo
	s_xor_b32 s22, exec_lo, s22
; %bb.175:                              ;   in Loop: Header=BB143_4 Depth=1
	v_bfe_u32 v14, v2, 16, 1
	s_delay_alu instid0(VALU_DEP_1)
	v_add3_u32 v14, v2, v14, 0x7fff
                                        ; implicit-def: $vgpr2
; %bb.176:                              ;   in Loop: Header=BB143_4 Depth=1
	s_and_not1_saveexec_b32 s22, s22
; %bb.177:                              ;   in Loop: Header=BB143_4 Depth=1
	v_and_b32_e32 v14, 0xffff, v2
	v_or_b32_e32 v18, 0x10000, v2
	s_delay_alu instid0(VALU_DEP_2) | instskip(NEXT) | instid1(VALU_DEP_2)
	v_cmp_eq_u32_e32 vcc_lo, 0, v14
	v_cndmask_b32_e32 v14, v18, v2, vcc_lo
; %bb.178:                              ;   in Loop: Header=BB143_4 Depth=1
	s_or_b32 exec_lo, exec_lo, s22
	v_lshl_add_u64 v[18:19], s[6:7], 1, v[22:23]
	s_delay_alu instid0(VALU_DEP_1) | instskip(SKIP_4) | instid1(VALU_DEP_1)
	v_lshl_add_u64 v[18:19], v[6:7], 1, v[18:19]
	flat_store_d16_hi_b16 v[18:19], v14
	flat_load_u16 v2, v[16:17] offset:32
	s_wait_loadcnt_dscnt 0x0
	v_lshlrev_b32_e32 v2, 16, v2
	v_mul_f32_e32 v2, s30, v2
	s_wait_xcnt 0x1
	s_delay_alu instid0(VALU_DEP_1) | instskip(NEXT) | instid1(VALU_DEP_1)
	v_and_b32_e32 v14, 0x7f800000, v2
	v_cmp_ne_u32_e32 vcc_lo, 0x7f800000, v14
                                        ; implicit-def: $vgpr14
	s_wait_xcnt 0x0
	s_and_saveexec_b32 s22, vcc_lo
	s_delay_alu instid0(SALU_CYCLE_1)
	s_xor_b32 s22, exec_lo, s22
; %bb.179:                              ;   in Loop: Header=BB143_4 Depth=1
	v_bfe_u32 v14, v2, 16, 1
	s_delay_alu instid0(VALU_DEP_1)
	v_add3_u32 v14, v2, v14, 0x7fff
                                        ; implicit-def: $vgpr2
; %bb.180:                              ;   in Loop: Header=BB143_4 Depth=1
	s_and_not1_saveexec_b32 s22, s22
; %bb.181:                              ;   in Loop: Header=BB143_4 Depth=1
	v_and_b32_e32 v14, 0xffff, v2
	v_or_b32_e32 v20, 0x10000, v2
	s_delay_alu instid0(VALU_DEP_2) | instskip(NEXT) | instid1(VALU_DEP_2)
	v_cmp_eq_u32_e32 vcc_lo, 0, v14
	v_cndmask_b32_e32 v14, v20, v2, vcc_lo
; %bb.182:                              ;   in Loop: Header=BB143_4 Depth=1
	s_or_b32 exec_lo, exec_lo, s22
	s_delay_alu instid0(VALU_DEP_1) | instskip(NEXT) | instid1(VALU_DEP_1)
	v_fma_mix_f32_bf16 v2, s2, v15, v14 op_sel:[0,0,1] op_sel_hi:[0,0,1]
	v_and_b32_e32 v14, 0x7f800000, v2
	s_delay_alu instid0(VALU_DEP_1) | instskip(SKIP_1) | instid1(SALU_CYCLE_1)
	v_cmp_ne_u32_e32 vcc_lo, 0x7f800000, v14
                                        ; implicit-def: $vgpr14
	s_and_saveexec_b32 s22, vcc_lo
	s_xor_b32 s22, exec_lo, s22
; %bb.183:                              ;   in Loop: Header=BB143_4 Depth=1
	v_bfe_u32 v14, v2, 16, 1
	s_delay_alu instid0(VALU_DEP_1)
	v_add3_u32 v14, v2, v14, 0x7fff
                                        ; implicit-def: $vgpr2
; %bb.184:                              ;   in Loop: Header=BB143_4 Depth=1
	s_and_not1_saveexec_b32 s22, s22
; %bb.185:                              ;   in Loop: Header=BB143_4 Depth=1
	v_and_b32_e32 v14, 0xffff, v2
	v_or_b32_e32 v15, 0x10000, v2
	s_delay_alu instid0(VALU_DEP_2) | instskip(NEXT) | instid1(VALU_DEP_2)
	v_cmp_eq_u32_e32 vcc_lo, 0, v14
	v_cndmask_b32_e32 v14, v15, v2, vcc_lo
; %bb.186:                              ;   in Loop: Header=BB143_4 Depth=1
	s_or_b32 exec_lo, exec_lo, s22
	flat_store_d16_hi_b16 v[18:19], v14 offset:32
	flat_load_u16 v2, v[16:17] offset:64
	s_wait_loadcnt_dscnt 0x0
	v_lshlrev_b32_e32 v2, 16, v2
	s_delay_alu instid0(VALU_DEP_1) | instskip(SKIP_1) | instid1(VALU_DEP_1)
	v_mul_f32_e32 v2, s30, v2
	s_wait_xcnt 0x1
	v_and_b32_e32 v14, 0x7f800000, v2
	s_delay_alu instid0(VALU_DEP_1) | instskip(SKIP_2) | instid1(SALU_CYCLE_1)
	v_cmp_ne_u32_e32 vcc_lo, 0x7f800000, v14
                                        ; implicit-def: $vgpr14
	s_wait_xcnt 0x0
	s_and_saveexec_b32 s22, vcc_lo
	s_xor_b32 s22, exec_lo, s22
; %bb.187:                              ;   in Loop: Header=BB143_4 Depth=1
	v_bfe_u32 v14, v2, 16, 1
	s_delay_alu instid0(VALU_DEP_1)
	v_add3_u32 v14, v2, v14, 0x7fff
                                        ; implicit-def: $vgpr2
; %bb.188:                              ;   in Loop: Header=BB143_4 Depth=1
	s_and_not1_saveexec_b32 s22, s22
; %bb.189:                              ;   in Loop: Header=BB143_4 Depth=1
	v_and_b32_e32 v14, 0xffff, v2
	v_or_b32_e32 v15, 0x10000, v2
	s_delay_alu instid0(VALU_DEP_2) | instskip(NEXT) | instid1(VALU_DEP_2)
	v_cmp_eq_u32_e32 vcc_lo, 0, v14
	v_cndmask_b32_e32 v14, v15, v2, vcc_lo
; %bb.190:                              ;   in Loop: Header=BB143_4 Depth=1
	s_or_b32 exec_lo, exec_lo, s22
	s_delay_alu instid0(VALU_DEP_1) | instskip(NEXT) | instid1(VALU_DEP_1)
	v_fma_mix_f32_bf16 v2, s2, v12, v14 op_sel:[0,0,1] op_sel_hi:[0,0,1]
	v_and_b32_e32 v12, 0x7f800000, v2
	s_delay_alu instid0(VALU_DEP_1) | instskip(SKIP_1) | instid1(SALU_CYCLE_1)
	v_cmp_ne_u32_e32 vcc_lo, 0x7f800000, v12
                                        ; implicit-def: $vgpr12
	s_and_saveexec_b32 s22, vcc_lo
	s_xor_b32 s22, exec_lo, s22
; %bb.191:                              ;   in Loop: Header=BB143_4 Depth=1
	v_bfe_u32 v12, v2, 16, 1
	s_delay_alu instid0(VALU_DEP_1)
	v_add3_u32 v12, v2, v12, 0x7fff
                                        ; implicit-def: $vgpr2
; %bb.192:                              ;   in Loop: Header=BB143_4 Depth=1
	s_and_not1_saveexec_b32 s22, s22
; %bb.193:                              ;   in Loop: Header=BB143_4 Depth=1
	v_and_b32_e32 v12, 0xffff, v2
	v_or_b32_e32 v14, 0x10000, v2
	s_delay_alu instid0(VALU_DEP_2) | instskip(NEXT) | instid1(VALU_DEP_2)
	v_cmp_eq_u32_e32 vcc_lo, 0, v12
	v_cndmask_b32_e32 v12, v14, v2, vcc_lo
; %bb.194:                              ;   in Loop: Header=BB143_4 Depth=1
	s_or_b32 exec_lo, exec_lo, s22
	flat_store_d16_hi_b16 v[18:19], v12 offset:64
	flat_load_u16 v2, v[16:17] offset:96
	s_wait_loadcnt_dscnt 0x0
	v_lshlrev_b32_e32 v2, 16, v2
	s_delay_alu instid0(VALU_DEP_1) | instskip(SKIP_1) | instid1(VALU_DEP_1)
	v_mul_f32_e32 v2, s30, v2
	s_wait_xcnt 0x1
	v_and_b32_e32 v12, 0x7f800000, v2
	s_delay_alu instid0(VALU_DEP_1) | instskip(SKIP_2) | instid1(SALU_CYCLE_1)
	v_cmp_ne_u32_e32 vcc_lo, 0x7f800000, v12
                                        ; implicit-def: $vgpr12
	s_wait_xcnt 0x0
	s_and_saveexec_b32 s22, vcc_lo
	s_xor_b32 s22, exec_lo, s22
; %bb.195:                              ;   in Loop: Header=BB143_4 Depth=1
	v_bfe_u32 v12, v2, 16, 1
	s_delay_alu instid0(VALU_DEP_1)
	v_add3_u32 v12, v2, v12, 0x7fff
                                        ; implicit-def: $vgpr2
; %bb.196:                              ;   in Loop: Header=BB143_4 Depth=1
	s_and_not1_saveexec_b32 s22, s22
; %bb.197:                              ;   in Loop: Header=BB143_4 Depth=1
	v_and_b32_e32 v12, 0xffff, v2
	v_or_b32_e32 v14, 0x10000, v2
	s_delay_alu instid0(VALU_DEP_2) | instskip(NEXT) | instid1(VALU_DEP_2)
	v_cmp_eq_u32_e32 vcc_lo, 0, v12
	v_cndmask_b32_e32 v12, v14, v2, vcc_lo
; %bb.198:                              ;   in Loop: Header=BB143_4 Depth=1
	s_or_b32 exec_lo, exec_lo, s22
	s_delay_alu instid0(VALU_DEP_1) | instskip(NEXT) | instid1(VALU_DEP_1)
	v_fma_mix_f32_bf16 v2, s2, v13, v12 op_sel:[0,0,1] op_sel_hi:[0,0,1]
	v_and_b32_e32 v12, 0x7f800000, v2
	s_delay_alu instid0(VALU_DEP_1) | instskip(SKIP_1) | instid1(SALU_CYCLE_1)
	v_cmp_ne_u32_e32 vcc_lo, 0x7f800000, v12
                                        ; implicit-def: $vgpr12
	s_and_saveexec_b32 s22, vcc_lo
	s_xor_b32 s22, exec_lo, s22
; %bb.199:                              ;   in Loop: Header=BB143_4 Depth=1
	v_bfe_u32 v12, v2, 16, 1
	s_delay_alu instid0(VALU_DEP_1)
	v_add3_u32 v12, v2, v12, 0x7fff
                                        ; implicit-def: $vgpr2
; %bb.200:                              ;   in Loop: Header=BB143_4 Depth=1
	s_and_not1_saveexec_b32 s22, s22
	s_cbranch_execz .LBB143_2
; %bb.201:                              ;   in Loop: Header=BB143_4 Depth=1
	v_and_b32_e32 v12, 0xffff, v2
	v_or_b32_e32 v13, 0x10000, v2
	s_delay_alu instid0(VALU_DEP_2) | instskip(NEXT) | instid1(VALU_DEP_2)
	v_cmp_eq_u32_e32 vcc_lo, 0, v12
	v_cndmask_b32_e32 v12, v13, v2, vcc_lo
	s_branch .LBB143_2
.LBB143_202:
	s_sendmsg sendmsg(MSG_DEALLOC_VGPRS)
	s_endpgm
	.section	.rodata,"a",@progbits
	.p2align	6, 0x0
	.amdhsa_kernel _ZN12_GLOBAL__N_127rocblas_gemm_batched_kernelIfLi16ELi16ELi64ELi64ELi4ELi64ELi4ELi4ELi64ELc84ELc84EKPK16rocblas_bfloat16S4_KPS1_EEvlllT_PT11_llS9_llS7_PT12_llPT13_lli
		.amdhsa_group_segment_fixed_size 2048
		.amdhsa_private_segment_fixed_size 0
		.amdhsa_kernarg_size 140
		.amdhsa_user_sgpr_count 2
		.amdhsa_user_sgpr_dispatch_ptr 0
		.amdhsa_user_sgpr_queue_ptr 0
		.amdhsa_user_sgpr_kernarg_segment_ptr 1
		.amdhsa_user_sgpr_dispatch_id 0
		.amdhsa_user_sgpr_kernarg_preload_length 0
		.amdhsa_user_sgpr_kernarg_preload_offset 0
		.amdhsa_user_sgpr_private_segment_size 0
		.amdhsa_wavefront_size32 1
		.amdhsa_uses_dynamic_stack 0
		.amdhsa_enable_private_segment 0
		.amdhsa_system_sgpr_workgroup_id_x 1
		.amdhsa_system_sgpr_workgroup_id_y 1
		.amdhsa_system_sgpr_workgroup_id_z 1
		.amdhsa_system_sgpr_workgroup_info 0
		.amdhsa_system_vgpr_workitem_id 1
		.amdhsa_next_free_vgpr 74
		.amdhsa_next_free_sgpr 38
		.amdhsa_named_barrier_count 0
		.amdhsa_reserve_vcc 1
		.amdhsa_float_round_mode_32 0
		.amdhsa_float_round_mode_16_64 0
		.amdhsa_float_denorm_mode_32 3
		.amdhsa_float_denorm_mode_16_64 3
		.amdhsa_fp16_overflow 0
		.amdhsa_memory_ordered 1
		.amdhsa_forward_progress 1
		.amdhsa_inst_pref_size 55
		.amdhsa_round_robin_scheduling 0
		.amdhsa_exception_fp_ieee_invalid_op 0
		.amdhsa_exception_fp_denorm_src 0
		.amdhsa_exception_fp_ieee_div_zero 0
		.amdhsa_exception_fp_ieee_overflow 0
		.amdhsa_exception_fp_ieee_underflow 0
		.amdhsa_exception_fp_ieee_inexact 0
		.amdhsa_exception_int_div_zero 0
	.end_amdhsa_kernel
	.section	.text._ZN12_GLOBAL__N_127rocblas_gemm_batched_kernelIfLi16ELi16ELi64ELi64ELi4ELi64ELi4ELi4ELi64ELc84ELc84EKPK16rocblas_bfloat16S4_KPS1_EEvlllT_PT11_llS9_llS7_PT12_llPT13_lli,"axG",@progbits,_ZN12_GLOBAL__N_127rocblas_gemm_batched_kernelIfLi16ELi16ELi64ELi64ELi4ELi64ELi4ELi4ELi64ELc84ELc84EKPK16rocblas_bfloat16S4_KPS1_EEvlllT_PT11_llS9_llS7_PT12_llPT13_lli,comdat
.Lfunc_end143:
	.size	_ZN12_GLOBAL__N_127rocblas_gemm_batched_kernelIfLi16ELi16ELi64ELi64ELi4ELi64ELi4ELi4ELi64ELc84ELc84EKPK16rocblas_bfloat16S4_KPS1_EEvlllT_PT11_llS9_llS7_PT12_llPT13_lli, .Lfunc_end143-_ZN12_GLOBAL__N_127rocblas_gemm_batched_kernelIfLi16ELi16ELi64ELi64ELi4ELi64ELi4ELi4ELi64ELc84ELc84EKPK16rocblas_bfloat16S4_KPS1_EEvlllT_PT11_llS9_llS7_PT12_llPT13_lli
                                        ; -- End function
	.set _ZN12_GLOBAL__N_127rocblas_gemm_batched_kernelIfLi16ELi16ELi64ELi64ELi4ELi64ELi4ELi4ELi64ELc84ELc84EKPK16rocblas_bfloat16S4_KPS1_EEvlllT_PT11_llS9_llS7_PT12_llPT13_lli.num_vgpr, 74
	.set _ZN12_GLOBAL__N_127rocblas_gemm_batched_kernelIfLi16ELi16ELi64ELi64ELi4ELi64ELi4ELi4ELi64ELc84ELc84EKPK16rocblas_bfloat16S4_KPS1_EEvlllT_PT11_llS9_llS7_PT12_llPT13_lli.num_agpr, 0
	.set _ZN12_GLOBAL__N_127rocblas_gemm_batched_kernelIfLi16ELi16ELi64ELi64ELi4ELi64ELi4ELi4ELi64ELc84ELc84EKPK16rocblas_bfloat16S4_KPS1_EEvlllT_PT11_llS9_llS7_PT12_llPT13_lli.numbered_sgpr, 38
	.set _ZN12_GLOBAL__N_127rocblas_gemm_batched_kernelIfLi16ELi16ELi64ELi64ELi4ELi64ELi4ELi4ELi64ELc84ELc84EKPK16rocblas_bfloat16S4_KPS1_EEvlllT_PT11_llS9_llS7_PT12_llPT13_lli.num_named_barrier, 0
	.set _ZN12_GLOBAL__N_127rocblas_gemm_batched_kernelIfLi16ELi16ELi64ELi64ELi4ELi64ELi4ELi4ELi64ELc84ELc84EKPK16rocblas_bfloat16S4_KPS1_EEvlllT_PT11_llS9_llS7_PT12_llPT13_lli.private_seg_size, 0
	.set _ZN12_GLOBAL__N_127rocblas_gemm_batched_kernelIfLi16ELi16ELi64ELi64ELi4ELi64ELi4ELi4ELi64ELc84ELc84EKPK16rocblas_bfloat16S4_KPS1_EEvlllT_PT11_llS9_llS7_PT12_llPT13_lli.uses_vcc, 1
	.set _ZN12_GLOBAL__N_127rocblas_gemm_batched_kernelIfLi16ELi16ELi64ELi64ELi4ELi64ELi4ELi4ELi64ELc84ELc84EKPK16rocblas_bfloat16S4_KPS1_EEvlllT_PT11_llS9_llS7_PT12_llPT13_lli.uses_flat_scratch, 0
	.set _ZN12_GLOBAL__N_127rocblas_gemm_batched_kernelIfLi16ELi16ELi64ELi64ELi4ELi64ELi4ELi4ELi64ELc84ELc84EKPK16rocblas_bfloat16S4_KPS1_EEvlllT_PT11_llS9_llS7_PT12_llPT13_lli.has_dyn_sized_stack, 0
	.set _ZN12_GLOBAL__N_127rocblas_gemm_batched_kernelIfLi16ELi16ELi64ELi64ELi4ELi64ELi4ELi4ELi64ELc84ELc84EKPK16rocblas_bfloat16S4_KPS1_EEvlllT_PT11_llS9_llS7_PT12_llPT13_lli.has_recursion, 0
	.set _ZN12_GLOBAL__N_127rocblas_gemm_batched_kernelIfLi16ELi16ELi64ELi64ELi4ELi64ELi4ELi4ELi64ELc84ELc84EKPK16rocblas_bfloat16S4_KPS1_EEvlllT_PT11_llS9_llS7_PT12_llPT13_lli.has_indirect_call, 0
	.section	.AMDGPU.csdata,"",@progbits
; Kernel info:
; codeLenInByte = 7004
; TotalNumSgprs: 40
; NumVgprs: 74
; ScratchSize: 0
; MemoryBound: 0
; FloatMode: 240
; IeeeMode: 1
; LDSByteSize: 2048 bytes/workgroup (compile time only)
; SGPRBlocks: 0
; VGPRBlocks: 4
; NumSGPRsForWavesPerEU: 40
; NumVGPRsForWavesPerEU: 74
; NamedBarCnt: 0
; Occupancy: 12
; WaveLimiterHint : 1
; COMPUTE_PGM_RSRC2:SCRATCH_EN: 0
; COMPUTE_PGM_RSRC2:USER_SGPR: 2
; COMPUTE_PGM_RSRC2:TRAP_HANDLER: 0
; COMPUTE_PGM_RSRC2:TGID_X_EN: 1
; COMPUTE_PGM_RSRC2:TGID_Y_EN: 1
; COMPUTE_PGM_RSRC2:TGID_Z_EN: 1
; COMPUTE_PGM_RSRC2:TIDIG_COMP_CNT: 1
	.section	.text._ZN12_GLOBAL__N_127rocblas_gemm_batched_kernelIfLi16ELi16ELi64ELi64ELi4ELi64ELi4ELi4ELi64ELc67ELc67EKPK16rocblas_bfloat16S4_KPS1_EEvlllT_PT11_llS9_llS7_PT12_llPT13_lli,"axG",@progbits,_ZN12_GLOBAL__N_127rocblas_gemm_batched_kernelIfLi16ELi16ELi64ELi64ELi4ELi64ELi4ELi4ELi64ELc67ELc67EKPK16rocblas_bfloat16S4_KPS1_EEvlllT_PT11_llS9_llS7_PT12_llPT13_lli,comdat
	.globl	_ZN12_GLOBAL__N_127rocblas_gemm_batched_kernelIfLi16ELi16ELi64ELi64ELi4ELi64ELi4ELi4ELi64ELc67ELc67EKPK16rocblas_bfloat16S4_KPS1_EEvlllT_PT11_llS9_llS7_PT12_llPT13_lli ; -- Begin function _ZN12_GLOBAL__N_127rocblas_gemm_batched_kernelIfLi16ELi16ELi64ELi64ELi4ELi64ELi4ELi4ELi64ELc67ELc67EKPK16rocblas_bfloat16S4_KPS1_EEvlllT_PT11_llS9_llS7_PT12_llPT13_lli
	.p2align	8
	.type	_ZN12_GLOBAL__N_127rocblas_gemm_batched_kernelIfLi16ELi16ELi64ELi64ELi4ELi64ELi4ELi4ELi64ELc67ELc67EKPK16rocblas_bfloat16S4_KPS1_EEvlllT_PT11_llS9_llS7_PT12_llPT13_lli,@function
_ZN12_GLOBAL__N_127rocblas_gemm_batched_kernelIfLi16ELi16ELi64ELi64ELi4ELi64ELi4ELi4ELi64ELc67ELc67EKPK16rocblas_bfloat16S4_KPS1_EEvlllT_PT11_llS9_llS7_PT12_llPT13_lli: ; @_ZN12_GLOBAL__N_127rocblas_gemm_batched_kernelIfLi16ELi16ELi64ELi64ELi4ELi64ELi4ELi4ELi64ELc67ELc67EKPK16rocblas_bfloat16S4_KPS1_EEvlllT_PT11_llS9_llS7_PT12_llPT13_lli
; %bb.0:
	s_load_b32 s3, s[0:1], 0x88
	s_bfe_u32 s2, ttmp6, 0x40014
	s_lshr_b32 s4, ttmp7, 16
	s_add_co_i32 s2, s2, 1
	s_bfe_u32 s6, ttmp6, 0x40008
	s_mul_i32 s5, s4, s2
	s_getreg_b32 s2, hwreg(HW_REG_IB_STS2, 6, 4)
	s_add_co_i32 s6, s6, s5
	s_cmp_eq_u32 s2, 0
	s_mov_b32 s29, 0
	s_cselect_b32 s28, s4, s6
	s_wait_kmcnt 0x0
	s_cmp_ge_i32 s28, s3
	s_cbranch_scc1 .LBB144_202
; %bb.1:
	v_bfe_u32 v2, v0, 10, 10
	v_and_b32_e32 v6, 0x3ff, v0
	s_bfe_u32 s31, ttmp6, 0x4000c
	s_bfe_u32 s33, ttmp6, 0x40010
	s_clause 0x2
	s_load_b256 s[4:11], s[0:1], 0x20
	s_load_b128 s[24:27], s[0:1], 0x40
	s_load_b128 s[20:23], s[0:1], 0x78
	v_dual_mov_b32 v3, 0 :: v_dual_lshlrev_b32 v14, 4, v2
	s_add_co_i32 s31, s31, 1
	s_and_b32 s34, ttmp7, 0xffff
	s_add_co_i32 s33, s33, 1
	s_and_b32 s30, ttmp6, 15
	s_mul_i32 s31, ttmp9, s31
	s_mul_i32 s33, s34, s33
	s_bfe_u32 s35, ttmp6, 0x40004
	v_dual_add_nc_u32 v15, v14, v6 :: v_dual_bitop2_b32 v17, 3, v0 bitop3:0x40
	s_add_co_i32 s30, s30, s31
	s_add_co_i32 s35, s35, s33
	s_cmp_eq_u32 s2, 0
	s_delay_alu instid0(VALU_DEP_1)
	v_dual_lshrrev_b32 v8, 2, v15 :: v_dual_bitop2_b32 v16, 63, v15 bitop3:0x40
	s_cselect_b32 s30, ttmp9, s30
	s_cselect_b32 s2, s34, s35
	s_ashr_i32 s31, s30, 31
	s_load_b256 s[12:19], s[0:1], 0x58
	s_lshl_b64 s[34:35], s[30:31], 6
	v_dual_mov_b32 v9, v3 :: v_dual_mov_b32 v7, v3
	v_dual_mov_b32 v1, s35 :: v_dual_bitop2_b32 v0, s34, v16 bitop3:0x54
	s_lshl_b32 s36, s2, 6
	s_wait_kmcnt 0x0
	s_delay_alu instid0(VALU_DEP_2)
	v_mad_nc_u64_u32 v[12:13], s24, v17, v[8:9]
	s_mov_b32 s37, s29
	s_load_b32 s30, s[0:1], 0x50
	v_mul_u64_e32 v[10:11], s[6:7], v[0:1]
	v_add_nc_u64_e32 v[4:5], s[36:37], v[2:3]
	s_wait_xcnt 0x0
	s_load_b96 s[0:2], s[0:1], 0x10
	v_dual_lshlrev_b32 v2, 2, v17 :: v_dual_lshlrev_b32 v36, 2, v6
	v_dual_lshrrev_b32 v15, 6, v15 :: v_dual_lshlrev_b32 v9, 2, v16
	v_add_nc_u64_e32 v[6:7], s[34:35], v[6:7]
	s_delay_alu instid0(VALU_DEP_4)
	v_mul_u64_e32 v[0:1], s[20:21], v[4:5]
	v_mad_u32 v13, s25, v17, v13
	v_mul_u64_e32 v[4:5], s[14:15], v[4:5]
	v_lshl_or_b32 v2, v8, 4, v2
	v_lshl_or_b32 v38, v15, 8, v9
	v_add_nc_u32_e32 v37, 0x400, v14
	s_delay_alu instid0(VALU_DEP_3)
	v_add_nc_u32_e32 v39, 0x400, v2
	v_lshlrev_b32_e32 v2, 1, v15
	s_wait_kmcnt 0x0
	s_cmp_eq_f32 s30, 0
	v_add_nc_u64_e32 v[12:13], s[36:37], v[12:13]
	s_cselect_b32 s31, -1, 0
	s_lshl_b64 s[6:7], s[8:9], 1
	s_lshl_b64 s[8:9], s[14:15], 4
	;; [unrolled: 1-line block ×3, first 2 shown]
	s_delay_alu instid0(VALU_DEP_1) | instskip(SKIP_3) | instid1(VALU_DEP_2)
	v_lshlrev_b64_e32 v[8:9], 1, v[12:13]
	s_lshl_b64 s[16:17], s[16:17], 1
	v_lshl_add_u64 v[10:11], v[10:11], 1, s[6:7]
	s_lshl_b64 s[6:7], s[20:21], 4
	v_lshl_add_u64 v[8:9], s[26:27], 1, v[8:9]
	v_cmp_gt_i64_e64 s26, s[0:1], 0
	s_lshl_b64 s[20:21], s[22:23], 1
	v_add_nc_u64_e32 v[10:11], v[10:11], v[2:3]
	s_branch .LBB144_4
.LBB144_2:                              ;   in Loop: Header=BB144_4 Depth=1
	s_or_b32 exec_lo, exec_lo, s22
	flat_store_d16_hi_b16 v[18:19], v12 offset:96
.LBB144_3:                              ;   in Loop: Header=BB144_4 Depth=1
	s_add_co_i32 s28, s28, 0x10000
	s_delay_alu instid0(SALU_CYCLE_1)
	s_cmp_lt_i32 s28, s3
	s_cbranch_scc0 .LBB144_202
.LBB144_4:                              ; =>This Loop Header: Depth=1
                                        ;     Child Loop BB144_6 Depth 2
	s_wait_xcnt 0x0
	v_dual_mov_b32 v2, s28 :: v_dual_mov_b32 v27, 0
	v_dual_mov_b32 v26, 0 :: v_dual_mov_b32 v25, 0
	;; [unrolled: 1-line block ×3, first 2 shown]
	s_clause 0x1
	global_load_b64 v[28:29], v2, s[12:13] scale_offset
	global_load_b64 v[30:31], v2, s[18:19] scale_offset
	v_dual_mov_b32 v22, 0 :: v_dual_mov_b32 v21, 0
	s_wait_xcnt 0x2
	v_dual_mov_b32 v20, 0 :: v_dual_mov_b32 v19, 0
	v_dual_mov_b32 v18, 0 :: v_dual_mov_b32 v17, 0
	;; [unrolled: 1-line block ×4, first 2 shown]
	v_mov_b32_e32 v12, 0
	s_and_not1_b32 vcc_lo, exec_lo, s26
	s_cbranch_vccnz .LBB144_7
; %bb.5:                                ;   in Loop: Header=BB144_4 Depth=1
	s_lshl_b64 s[22:23], s[28:29], 3
	v_mov_b32_e32 v12, 0
	s_add_nc_u64 s[24:25], s[10:11], s[22:23]
	s_add_nc_u64 s[22:23], s[4:5], s[22:23]
	s_clause 0x1
	global_load_b64 v[26:27], v3, s[24:25]
	global_load_b64 v[34:35], v3, s[22:23]
	s_wait_xcnt 0x0
	s_mov_b64 s[22:23], 0
	v_dual_mov_b32 v13, v12 :: v_dual_mov_b32 v14, v12
	v_dual_mov_b32 v15, v12 :: v_dual_mov_b32 v16, v12
	;; [unrolled: 1-line block ×6, first 2 shown]
	v_mov_b32_e32 v25, v12
	s_wait_loadcnt 0x1
	v_add_nc_u64_e32 v[32:33], v[26:27], v[8:9]
	s_wait_loadcnt 0x0
	v_add_nc_u64_e32 v[34:35], v[34:35], v[10:11]
	v_dual_mov_b32 v26, v12 :: v_dual_mov_b32 v27, v12
.LBB144_6:                              ;   Parent Loop BB144_4 Depth=1
                                        ; =>  This Inner Loop Header: Depth=2
	flat_load_u16 v2, v[34:35]
	flat_load_u16 v40, v[32:33]
	s_add_nc_u64 s[22:23], s[22:23], 4
	s_wait_xcnt 0x0
	v_add_nc_u64_e32 v[32:33], s[14:15], v[32:33]
	v_cmp_lt_i64_e64 s24, s[22:23], s[0:1]
	v_add_nc_u64_e32 v[34:35], 8, v[34:35]
	s_and_b32 vcc_lo, exec_lo, s24
	s_wait_loadcnt_dscnt 0x0
	v_dual_lshlrev_b32 v2, 16, v2 :: v_dual_lshlrev_b32 v40, 16, v40
	ds_store_b32 v38, v2
	ds_store_b32 v39, v40
	s_wait_dscnt 0x0
	s_barrier_signal -1
	s_barrier_wait -1
	ds_load_b128 v[40:43], v37
	ds_load_2addr_b32 v[56:57], v36 offset1:16
	ds_load_2addr_b32 v[58:59], v36 offset0:32 offset1:48
	ds_load_b128 v[44:47], v37 offset:256
	ds_load_b128 v[48:51], v37 offset:512
	;; [unrolled: 1-line block ×3, first 2 shown]
	ds_load_2addr_b32 v[60:61], v36 offset0:64 offset1:80
	ds_load_2addr_b32 v[62:63], v36 offset0:96 offset1:112
	;; [unrolled: 1-line block ×6, first 2 shown]
	s_wait_dscnt 0x0
	s_barrier_signal -1
	s_barrier_wait -1
	v_mov_b32_e32 v2, v43
	v_pk_fma_f32 v[26:27], v[56:57], v[40:41], v[26:27] op_sel_hi:[1,0,1]
	v_pk_fma_f32 v[24:25], v[58:59], v[40:41], v[24:25] op_sel_hi:[1,0,1]
	;; [unrolled: 1-line block ×8, first 2 shown]
	v_pk_fma_f32 v[26:27], v[60:61], v[40:41], v[26:27] op_sel:[0,1,0]
	v_pk_fma_f32 v[24:25], v[62:63], v[40:41], v[24:25] op_sel:[0,1,0]
	;; [unrolled: 1-line block ×8, first 2 shown]
	v_dual_mov_b32 v56, v47 :: v_dual_mov_b32 v58, v51
	v_mov_b32_e32 v72, v55
	v_pk_fma_f32 v[26:27], v[64:65], v[42:43], v[26:27] op_sel_hi:[1,0,1]
	v_pk_fma_f32 v[24:25], v[66:67], v[42:43], v[24:25] op_sel_hi:[1,0,1]
	;; [unrolled: 1-line block ×16, first 2 shown]
	s_cbranch_vccnz .LBB144_6
.LBB144_7:                              ;   in Loop: Header=BB144_4 Depth=1
	s_wait_loadcnt 0x0
	v_add_nc_u64_e32 v[30:31], s[20:21], v[30:31]
	s_and_not1_b32 vcc_lo, exec_lo, s31
	s_cbranch_vccnz .LBB144_73
; %bb.8:                                ;   in Loop: Header=BB144_4 Depth=1
	v_mul_f32_e32 v32, s2, v26
	s_wait_xcnt 0x0
	s_delay_alu instid0(VALU_DEP_1) | instskip(NEXT) | instid1(VALU_DEP_1)
	v_and_b32_e32 v2, 0x7f800000, v32
	v_cmp_ne_u32_e32 vcc_lo, 0x7f800000, v2
                                        ; implicit-def: $vgpr2
	s_and_saveexec_b32 s22, vcc_lo
	s_delay_alu instid0(SALU_CYCLE_1)
	s_xor_b32 s22, exec_lo, s22
; %bb.9:                                ;   in Loop: Header=BB144_4 Depth=1
	v_bfe_u32 v2, v32, 16, 1
	s_delay_alu instid0(VALU_DEP_1)
	v_add3_u32 v2, v32, v2, 0x7fff
                                        ; implicit-def: $vgpr32
; %bb.10:                               ;   in Loop: Header=BB144_4 Depth=1
	s_and_not1_saveexec_b32 s22, s22
; %bb.11:                               ;   in Loop: Header=BB144_4 Depth=1
	v_and_b32_e32 v2, 0xffff, v32
	v_or_b32_e32 v33, 0x10000, v32
	s_delay_alu instid0(VALU_DEP_2) | instskip(NEXT) | instid1(VALU_DEP_2)
	v_cmp_eq_u32_e32 vcc_lo, 0, v2
	v_cndmask_b32_e32 v2, v33, v32, vcc_lo
; %bb.12:                               ;   in Loop: Header=BB144_4 Depth=1
	s_or_b32 exec_lo, exec_lo, s22
	v_mul_f32_e32 v40, s2, v27
	v_lshl_add_u64 v[32:33], v[0:1], 1, v[30:31]
	s_delay_alu instid0(VALU_DEP_2) | instskip(NEXT) | instid1(VALU_DEP_2)
	v_and_b32_e32 v41, 0x7f800000, v40
	v_lshl_add_u64 v[34:35], v[6:7], 1, v[32:33]
	s_delay_alu instid0(VALU_DEP_2) | instskip(SKIP_3) | instid1(SALU_CYCLE_1)
	v_cmp_ne_u32_e32 vcc_lo, 0x7f800000, v41
	flat_store_d16_hi_b16 v[34:35], v2
                                        ; implicit-def: $vgpr41
	s_wait_xcnt 0x0
	s_and_saveexec_b32 s22, vcc_lo
	s_xor_b32 s22, exec_lo, s22
; %bb.13:                               ;   in Loop: Header=BB144_4 Depth=1
	v_bfe_u32 v2, v40, 16, 1
	s_delay_alu instid0(VALU_DEP_1)
	v_add3_u32 v41, v40, v2, 0x7fff
                                        ; implicit-def: $vgpr40
; %bb.14:                               ;   in Loop: Header=BB144_4 Depth=1
	s_and_not1_saveexec_b32 s22, s22
; %bb.15:                               ;   in Loop: Header=BB144_4 Depth=1
	v_and_b32_e32 v2, 0xffff, v40
	v_or_b32_e32 v41, 0x10000, v40
	s_delay_alu instid0(VALU_DEP_2) | instskip(NEXT) | instid1(VALU_DEP_2)
	v_cmp_eq_u32_e32 vcc_lo, 0, v2
	v_cndmask_b32_e32 v41, v41, v40, vcc_lo
; %bb.16:                               ;   in Loop: Header=BB144_4 Depth=1
	s_or_b32 exec_lo, exec_lo, s22
	v_mul_f32_e32 v2, s2, v24
	flat_store_d16_hi_b16 v[34:35], v41 offset:32
	v_and_b32_e32 v40, 0x7f800000, v2
	s_delay_alu instid0(VALU_DEP_1) | instskip(SKIP_2) | instid1(SALU_CYCLE_1)
	v_cmp_ne_u32_e32 vcc_lo, 0x7f800000, v40
                                        ; implicit-def: $vgpr40
	s_wait_xcnt 0x0
	s_and_saveexec_b32 s22, vcc_lo
	s_xor_b32 s22, exec_lo, s22
; %bb.17:                               ;   in Loop: Header=BB144_4 Depth=1
	v_bfe_u32 v40, v2, 16, 1
	s_delay_alu instid0(VALU_DEP_1)
	v_add3_u32 v40, v2, v40, 0x7fff
                                        ; implicit-def: $vgpr2
; %bb.18:                               ;   in Loop: Header=BB144_4 Depth=1
	s_and_not1_saveexec_b32 s22, s22
; %bb.19:                               ;   in Loop: Header=BB144_4 Depth=1
	v_and_b32_e32 v40, 0xffff, v2
	v_or_b32_e32 v41, 0x10000, v2
	s_delay_alu instid0(VALU_DEP_2) | instskip(NEXT) | instid1(VALU_DEP_2)
	v_cmp_eq_u32_e32 vcc_lo, 0, v40
	v_cndmask_b32_e32 v40, v41, v2, vcc_lo
; %bb.20:                               ;   in Loop: Header=BB144_4 Depth=1
	s_or_b32 exec_lo, exec_lo, s22
	v_mul_f32_e32 v2, s2, v25
	flat_store_d16_hi_b16 v[34:35], v40 offset:64
	v_and_b32_e32 v41, 0x7f800000, v2
	s_delay_alu instid0(VALU_DEP_1) | instskip(SKIP_2) | instid1(SALU_CYCLE_1)
	v_cmp_ne_u32_e32 vcc_lo, 0x7f800000, v41
                                        ; implicit-def: $vgpr41
	s_wait_xcnt 0x0
	s_and_saveexec_b32 s22, vcc_lo
	s_xor_b32 s22, exec_lo, s22
; %bb.21:                               ;   in Loop: Header=BB144_4 Depth=1
	v_bfe_u32 v40, v2, 16, 1
	s_delay_alu instid0(VALU_DEP_1)
	v_add3_u32 v41, v2, v40, 0x7fff
                                        ; implicit-def: $vgpr2
; %bb.22:                               ;   in Loop: Header=BB144_4 Depth=1
	s_and_not1_saveexec_b32 s22, s22
; %bb.23:                               ;   in Loop: Header=BB144_4 Depth=1
	v_and_b32_e32 v40, 0xffff, v2
	v_or_b32_e32 v41, 0x10000, v2
	s_delay_alu instid0(VALU_DEP_2) | instskip(NEXT) | instid1(VALU_DEP_2)
	v_cmp_eq_u32_e32 vcc_lo, 0, v40
	v_cndmask_b32_e32 v41, v41, v2, vcc_lo
; %bb.24:                               ;   in Loop: Header=BB144_4 Depth=1
	s_or_b32 exec_lo, exec_lo, s22
	v_mul_f32_e32 v40, s2, v22
	flat_store_d16_hi_b16 v[34:35], v41 offset:96
	v_and_b32_e32 v2, 0x7f800000, v40
	s_delay_alu instid0(VALU_DEP_1) | instskip(SKIP_2) | instid1(SALU_CYCLE_1)
	v_cmp_ne_u32_e32 vcc_lo, 0x7f800000, v2
                                        ; implicit-def: $vgpr2
	s_wait_xcnt 0x0
	s_and_saveexec_b32 s22, vcc_lo
	s_xor_b32 s22, exec_lo, s22
; %bb.25:                               ;   in Loop: Header=BB144_4 Depth=1
	v_bfe_u32 v2, v40, 16, 1
	s_delay_alu instid0(VALU_DEP_1)
	v_add3_u32 v2, v40, v2, 0x7fff
                                        ; implicit-def: $vgpr40
; %bb.26:                               ;   in Loop: Header=BB144_4 Depth=1
	s_and_not1_saveexec_b32 s22, s22
; %bb.27:                               ;   in Loop: Header=BB144_4 Depth=1
	v_and_b32_e32 v2, 0xffff, v40
	v_or_b32_e32 v34, 0x10000, v40
	s_delay_alu instid0(VALU_DEP_2) | instskip(NEXT) | instid1(VALU_DEP_2)
	v_cmp_eq_u32_e32 vcc_lo, 0, v2
	v_cndmask_b32_e32 v2, v34, v40, vcc_lo
; %bb.28:                               ;   in Loop: Header=BB144_4 Depth=1
	s_or_b32 exec_lo, exec_lo, s22
	v_mul_f32_e32 v40, s2, v23
	v_lshl_add_u64 v[32:33], s[6:7], 1, v[32:33]
	s_delay_alu instid0(VALU_DEP_2) | instskip(NEXT) | instid1(VALU_DEP_2)
	v_and_b32_e32 v41, 0x7f800000, v40
	v_lshl_add_u64 v[34:35], v[6:7], 1, v[32:33]
	s_delay_alu instid0(VALU_DEP_2) | instskip(SKIP_3) | instid1(SALU_CYCLE_1)
	v_cmp_ne_u32_e32 vcc_lo, 0x7f800000, v41
	flat_store_d16_hi_b16 v[34:35], v2
                                        ; implicit-def: $vgpr41
	s_wait_xcnt 0x0
	s_and_saveexec_b32 s22, vcc_lo
	s_xor_b32 s22, exec_lo, s22
; %bb.29:                               ;   in Loop: Header=BB144_4 Depth=1
	v_bfe_u32 v2, v40, 16, 1
	s_delay_alu instid0(VALU_DEP_1)
	v_add3_u32 v41, v40, v2, 0x7fff
                                        ; implicit-def: $vgpr40
; %bb.30:                               ;   in Loop: Header=BB144_4 Depth=1
	s_and_not1_saveexec_b32 s22, s22
; %bb.31:                               ;   in Loop: Header=BB144_4 Depth=1
	v_and_b32_e32 v2, 0xffff, v40
	v_or_b32_e32 v41, 0x10000, v40
	s_delay_alu instid0(VALU_DEP_2) | instskip(NEXT) | instid1(VALU_DEP_2)
	v_cmp_eq_u32_e32 vcc_lo, 0, v2
	v_cndmask_b32_e32 v41, v41, v40, vcc_lo
; %bb.32:                               ;   in Loop: Header=BB144_4 Depth=1
	s_or_b32 exec_lo, exec_lo, s22
	v_mul_f32_e32 v2, s2, v20
	flat_store_d16_hi_b16 v[34:35], v41 offset:32
	v_and_b32_e32 v40, 0x7f800000, v2
	s_delay_alu instid0(VALU_DEP_1) | instskip(SKIP_2) | instid1(SALU_CYCLE_1)
	v_cmp_ne_u32_e32 vcc_lo, 0x7f800000, v40
                                        ; implicit-def: $vgpr40
	s_wait_xcnt 0x0
	s_and_saveexec_b32 s22, vcc_lo
	s_xor_b32 s22, exec_lo, s22
; %bb.33:                               ;   in Loop: Header=BB144_4 Depth=1
	v_bfe_u32 v40, v2, 16, 1
	s_delay_alu instid0(VALU_DEP_1)
	v_add3_u32 v40, v2, v40, 0x7fff
                                        ; implicit-def: $vgpr2
; %bb.34:                               ;   in Loop: Header=BB144_4 Depth=1
	s_and_not1_saveexec_b32 s22, s22
; %bb.35:                               ;   in Loop: Header=BB144_4 Depth=1
	v_and_b32_e32 v40, 0xffff, v2
	v_or_b32_e32 v41, 0x10000, v2
	s_delay_alu instid0(VALU_DEP_2) | instskip(NEXT) | instid1(VALU_DEP_2)
	v_cmp_eq_u32_e32 vcc_lo, 0, v40
	v_cndmask_b32_e32 v40, v41, v2, vcc_lo
; %bb.36:                               ;   in Loop: Header=BB144_4 Depth=1
	s_or_b32 exec_lo, exec_lo, s22
	v_mul_f32_e32 v2, s2, v21
	flat_store_d16_hi_b16 v[34:35], v40 offset:64
	v_and_b32_e32 v41, 0x7f800000, v2
	s_delay_alu instid0(VALU_DEP_1) | instskip(SKIP_2) | instid1(SALU_CYCLE_1)
	v_cmp_ne_u32_e32 vcc_lo, 0x7f800000, v41
                                        ; implicit-def: $vgpr41
	s_wait_xcnt 0x0
	s_and_saveexec_b32 s22, vcc_lo
	s_xor_b32 s22, exec_lo, s22
; %bb.37:                               ;   in Loop: Header=BB144_4 Depth=1
	v_bfe_u32 v40, v2, 16, 1
	s_delay_alu instid0(VALU_DEP_1)
	v_add3_u32 v41, v2, v40, 0x7fff
                                        ; implicit-def: $vgpr2
; %bb.38:                               ;   in Loop: Header=BB144_4 Depth=1
	s_and_not1_saveexec_b32 s22, s22
; %bb.39:                               ;   in Loop: Header=BB144_4 Depth=1
	v_and_b32_e32 v40, 0xffff, v2
	v_or_b32_e32 v41, 0x10000, v2
	s_delay_alu instid0(VALU_DEP_2) | instskip(NEXT) | instid1(VALU_DEP_2)
	v_cmp_eq_u32_e32 vcc_lo, 0, v40
	v_cndmask_b32_e32 v41, v41, v2, vcc_lo
; %bb.40:                               ;   in Loop: Header=BB144_4 Depth=1
	s_or_b32 exec_lo, exec_lo, s22
	v_mul_f32_e32 v40, s2, v18
	flat_store_d16_hi_b16 v[34:35], v41 offset:96
	v_and_b32_e32 v2, 0x7f800000, v40
	s_delay_alu instid0(VALU_DEP_1) | instskip(SKIP_2) | instid1(SALU_CYCLE_1)
	v_cmp_ne_u32_e32 vcc_lo, 0x7f800000, v2
                                        ; implicit-def: $vgpr2
	s_wait_xcnt 0x0
	s_and_saveexec_b32 s22, vcc_lo
	s_xor_b32 s22, exec_lo, s22
; %bb.41:                               ;   in Loop: Header=BB144_4 Depth=1
	v_bfe_u32 v2, v40, 16, 1
	s_delay_alu instid0(VALU_DEP_1)
	v_add3_u32 v2, v40, v2, 0x7fff
                                        ; implicit-def: $vgpr40
; %bb.42:                               ;   in Loop: Header=BB144_4 Depth=1
	s_and_not1_saveexec_b32 s22, s22
; %bb.43:                               ;   in Loop: Header=BB144_4 Depth=1
	v_and_b32_e32 v2, 0xffff, v40
	v_or_b32_e32 v34, 0x10000, v40
	s_delay_alu instid0(VALU_DEP_2) | instskip(NEXT) | instid1(VALU_DEP_2)
	v_cmp_eq_u32_e32 vcc_lo, 0, v2
	v_cndmask_b32_e32 v2, v34, v40, vcc_lo
; %bb.44:                               ;   in Loop: Header=BB144_4 Depth=1
	s_or_b32 exec_lo, exec_lo, s22
	v_mul_f32_e32 v40, s2, v19
	v_lshl_add_u64 v[32:33], s[6:7], 1, v[32:33]
	s_delay_alu instid0(VALU_DEP_2) | instskip(NEXT) | instid1(VALU_DEP_2)
	v_and_b32_e32 v41, 0x7f800000, v40
	v_lshl_add_u64 v[34:35], v[6:7], 1, v[32:33]
	s_delay_alu instid0(VALU_DEP_2) | instskip(SKIP_3) | instid1(SALU_CYCLE_1)
	v_cmp_ne_u32_e32 vcc_lo, 0x7f800000, v41
	flat_store_d16_hi_b16 v[34:35], v2
                                        ; implicit-def: $vgpr41
	s_wait_xcnt 0x0
	s_and_saveexec_b32 s22, vcc_lo
	s_xor_b32 s22, exec_lo, s22
; %bb.45:                               ;   in Loop: Header=BB144_4 Depth=1
	v_bfe_u32 v2, v40, 16, 1
	s_delay_alu instid0(VALU_DEP_1)
	v_add3_u32 v41, v40, v2, 0x7fff
                                        ; implicit-def: $vgpr40
; %bb.46:                               ;   in Loop: Header=BB144_4 Depth=1
	s_and_not1_saveexec_b32 s22, s22
; %bb.47:                               ;   in Loop: Header=BB144_4 Depth=1
	v_and_b32_e32 v2, 0xffff, v40
	v_or_b32_e32 v41, 0x10000, v40
	s_delay_alu instid0(VALU_DEP_2) | instskip(NEXT) | instid1(VALU_DEP_2)
	v_cmp_eq_u32_e32 vcc_lo, 0, v2
	v_cndmask_b32_e32 v41, v41, v40, vcc_lo
; %bb.48:                               ;   in Loop: Header=BB144_4 Depth=1
	s_or_b32 exec_lo, exec_lo, s22
	v_mul_f32_e32 v2, s2, v16
	flat_store_d16_hi_b16 v[34:35], v41 offset:32
	v_and_b32_e32 v40, 0x7f800000, v2
	s_delay_alu instid0(VALU_DEP_1) | instskip(SKIP_2) | instid1(SALU_CYCLE_1)
	v_cmp_ne_u32_e32 vcc_lo, 0x7f800000, v40
                                        ; implicit-def: $vgpr40
	s_wait_xcnt 0x0
	s_and_saveexec_b32 s22, vcc_lo
	s_xor_b32 s22, exec_lo, s22
; %bb.49:                               ;   in Loop: Header=BB144_4 Depth=1
	v_bfe_u32 v40, v2, 16, 1
	s_delay_alu instid0(VALU_DEP_1)
	v_add3_u32 v40, v2, v40, 0x7fff
                                        ; implicit-def: $vgpr2
; %bb.50:                               ;   in Loop: Header=BB144_4 Depth=1
	s_and_not1_saveexec_b32 s22, s22
; %bb.51:                               ;   in Loop: Header=BB144_4 Depth=1
	v_and_b32_e32 v40, 0xffff, v2
	v_or_b32_e32 v41, 0x10000, v2
	s_delay_alu instid0(VALU_DEP_2) | instskip(NEXT) | instid1(VALU_DEP_2)
	v_cmp_eq_u32_e32 vcc_lo, 0, v40
	v_cndmask_b32_e32 v40, v41, v2, vcc_lo
; %bb.52:                               ;   in Loop: Header=BB144_4 Depth=1
	s_or_b32 exec_lo, exec_lo, s22
	v_mul_f32_e32 v2, s2, v17
	flat_store_d16_hi_b16 v[34:35], v40 offset:64
	v_and_b32_e32 v41, 0x7f800000, v2
	s_delay_alu instid0(VALU_DEP_1) | instskip(SKIP_2) | instid1(SALU_CYCLE_1)
	v_cmp_ne_u32_e32 vcc_lo, 0x7f800000, v41
                                        ; implicit-def: $vgpr41
	s_wait_xcnt 0x0
	s_and_saveexec_b32 s22, vcc_lo
	s_xor_b32 s22, exec_lo, s22
; %bb.53:                               ;   in Loop: Header=BB144_4 Depth=1
	v_bfe_u32 v40, v2, 16, 1
	s_delay_alu instid0(VALU_DEP_1)
	v_add3_u32 v41, v2, v40, 0x7fff
                                        ; implicit-def: $vgpr2
; %bb.54:                               ;   in Loop: Header=BB144_4 Depth=1
	s_and_not1_saveexec_b32 s22, s22
; %bb.55:                               ;   in Loop: Header=BB144_4 Depth=1
	v_and_b32_e32 v40, 0xffff, v2
	v_or_b32_e32 v41, 0x10000, v2
	s_delay_alu instid0(VALU_DEP_2) | instskip(NEXT) | instid1(VALU_DEP_2)
	v_cmp_eq_u32_e32 vcc_lo, 0, v40
	v_cndmask_b32_e32 v41, v41, v2, vcc_lo
; %bb.56:                               ;   in Loop: Header=BB144_4 Depth=1
	s_or_b32 exec_lo, exec_lo, s22
	v_mul_f32_e32 v40, s2, v14
	flat_store_d16_hi_b16 v[34:35], v41 offset:96
	v_and_b32_e32 v2, 0x7f800000, v40
	s_delay_alu instid0(VALU_DEP_1) | instskip(SKIP_2) | instid1(SALU_CYCLE_1)
	v_cmp_ne_u32_e32 vcc_lo, 0x7f800000, v2
                                        ; implicit-def: $vgpr2
	s_wait_xcnt 0x0
	s_and_saveexec_b32 s22, vcc_lo
	s_xor_b32 s22, exec_lo, s22
; %bb.57:                               ;   in Loop: Header=BB144_4 Depth=1
	v_bfe_u32 v2, v40, 16, 1
	s_delay_alu instid0(VALU_DEP_1)
	v_add3_u32 v2, v40, v2, 0x7fff
                                        ; implicit-def: $vgpr40
; %bb.58:                               ;   in Loop: Header=BB144_4 Depth=1
	s_and_not1_saveexec_b32 s22, s22
; %bb.59:                               ;   in Loop: Header=BB144_4 Depth=1
	v_and_b32_e32 v2, 0xffff, v40
	v_or_b32_e32 v34, 0x10000, v40
	s_delay_alu instid0(VALU_DEP_2) | instskip(NEXT) | instid1(VALU_DEP_2)
	v_cmp_eq_u32_e32 vcc_lo, 0, v2
	v_cndmask_b32_e32 v2, v34, v40, vcc_lo
; %bb.60:                               ;   in Loop: Header=BB144_4 Depth=1
	s_or_b32 exec_lo, exec_lo, s22
	v_mul_f32_e32 v34, s2, v15
	v_lshl_add_u64 v[32:33], s[6:7], 1, v[32:33]
	s_delay_alu instid0(VALU_DEP_2) | instskip(NEXT) | instid1(VALU_DEP_2)
	v_and_b32_e32 v35, 0x7f800000, v34
	v_lshl_add_u64 v[32:33], v[6:7], 1, v[32:33]
	s_delay_alu instid0(VALU_DEP_2) | instskip(SKIP_3) | instid1(SALU_CYCLE_1)
	v_cmp_ne_u32_e32 vcc_lo, 0x7f800000, v35
	flat_store_d16_hi_b16 v[32:33], v2
                                        ; implicit-def: $vgpr35
	s_wait_xcnt 0x0
	s_and_saveexec_b32 s22, vcc_lo
	s_xor_b32 s22, exec_lo, s22
; %bb.61:                               ;   in Loop: Header=BB144_4 Depth=1
	v_bfe_u32 v2, v34, 16, 1
	s_delay_alu instid0(VALU_DEP_1)
	v_add3_u32 v35, v34, v2, 0x7fff
                                        ; implicit-def: $vgpr34
; %bb.62:                               ;   in Loop: Header=BB144_4 Depth=1
	s_and_not1_saveexec_b32 s22, s22
; %bb.63:                               ;   in Loop: Header=BB144_4 Depth=1
	v_and_b32_e32 v2, 0xffff, v34
	v_or_b32_e32 v35, 0x10000, v34
	s_delay_alu instid0(VALU_DEP_2) | instskip(NEXT) | instid1(VALU_DEP_2)
	v_cmp_eq_u32_e32 vcc_lo, 0, v2
	v_cndmask_b32_e32 v35, v35, v34, vcc_lo
; %bb.64:                               ;   in Loop: Header=BB144_4 Depth=1
	s_or_b32 exec_lo, exec_lo, s22
	v_mul_f32_e32 v2, s2, v12
	flat_store_d16_hi_b16 v[32:33], v35 offset:32
	v_and_b32_e32 v34, 0x7f800000, v2
	s_delay_alu instid0(VALU_DEP_1) | instskip(SKIP_2) | instid1(SALU_CYCLE_1)
	v_cmp_ne_u32_e32 vcc_lo, 0x7f800000, v34
                                        ; implicit-def: $vgpr34
	s_wait_xcnt 0x0
	s_and_saveexec_b32 s22, vcc_lo
	s_xor_b32 s22, exec_lo, s22
; %bb.65:                               ;   in Loop: Header=BB144_4 Depth=1
	v_bfe_u32 v34, v2, 16, 1
	s_delay_alu instid0(VALU_DEP_1)
	v_add3_u32 v34, v2, v34, 0x7fff
                                        ; implicit-def: $vgpr2
; %bb.66:                               ;   in Loop: Header=BB144_4 Depth=1
	s_and_not1_saveexec_b32 s22, s22
; %bb.67:                               ;   in Loop: Header=BB144_4 Depth=1
	v_and_b32_e32 v34, 0xffff, v2
	v_or_b32_e32 v35, 0x10000, v2
	s_delay_alu instid0(VALU_DEP_2) | instskip(NEXT) | instid1(VALU_DEP_2)
	v_cmp_eq_u32_e32 vcc_lo, 0, v34
	v_cndmask_b32_e32 v34, v35, v2, vcc_lo
; %bb.68:                               ;   in Loop: Header=BB144_4 Depth=1
	s_or_b32 exec_lo, exec_lo, s22
	v_mul_f32_e32 v2, s2, v13
	s_mov_b32 s22, exec_lo
	flat_store_d16_hi_b16 v[32:33], v34 offset:64
                                        ; implicit-def: $vgpr34
	v_and_b32_e32 v35, 0x7f800000, v2
	s_wait_xcnt 0x0
	s_delay_alu instid0(VALU_DEP_1)
	v_cmpx_ne_u32_e32 0x7f800000, v35
	s_xor_b32 s22, exec_lo, s22
; %bb.69:                               ;   in Loop: Header=BB144_4 Depth=1
	v_bfe_u32 v34, v2, 16, 1
	s_delay_alu instid0(VALU_DEP_1)
	v_add3_u32 v34, v2, v34, 0x7fff
                                        ; implicit-def: $vgpr2
; %bb.70:                               ;   in Loop: Header=BB144_4 Depth=1
	s_and_not1_saveexec_b32 s22, s22
; %bb.71:                               ;   in Loop: Header=BB144_4 Depth=1
	v_and_b32_e32 v34, 0xffff, v2
	v_or_b32_e32 v35, 0x10000, v2
	s_delay_alu instid0(VALU_DEP_2) | instskip(NEXT) | instid1(VALU_DEP_2)
	v_cmp_eq_u32_e32 vcc_lo, 0, v34
	v_cndmask_b32_e32 v34, v35, v2, vcc_lo
; %bb.72:                               ;   in Loop: Header=BB144_4 Depth=1
	s_or_b32 exec_lo, exec_lo, s22
	flat_store_d16_hi_b16 v[32:33], v34 offset:96
	s_branch .LBB144_3
.LBB144_73:                             ;   in Loop: Header=BB144_4 Depth=1
	s_cbranch_execz .LBB144_3
; %bb.74:                               ;   in Loop: Header=BB144_4 Depth=1
	v_add_nc_u64_e32 v[28:29], s[16:17], v[28:29]
	s_delay_alu instid0(VALU_DEP_1) | instskip(SKIP_1) | instid1(VALU_DEP_1)
	v_lshl_add_u64 v[28:29], v[4:5], 1, v[28:29]
	s_wait_xcnt 0x0
	v_lshl_add_u64 v[32:33], v[6:7], 1, v[28:29]
	flat_load_u16 v2, v[32:33]
	s_wait_loadcnt_dscnt 0x0
	v_lshlrev_b32_e32 v2, 16, v2
	s_delay_alu instid0(VALU_DEP_1) | instskip(NEXT) | instid1(VALU_DEP_1)
	v_mul_f32_e32 v2, s30, v2
	v_and_b32_e32 v34, 0x7f800000, v2
	s_delay_alu instid0(VALU_DEP_1) | instskip(SKIP_2) | instid1(SALU_CYCLE_1)
	v_cmp_ne_u32_e32 vcc_lo, 0x7f800000, v34
                                        ; implicit-def: $vgpr34
	s_wait_xcnt 0x0
	s_and_saveexec_b32 s22, vcc_lo
	s_xor_b32 s22, exec_lo, s22
; %bb.75:                               ;   in Loop: Header=BB144_4 Depth=1
	v_bfe_u32 v34, v2, 16, 1
	s_delay_alu instid0(VALU_DEP_1)
	v_add3_u32 v34, v2, v34, 0x7fff
                                        ; implicit-def: $vgpr2
; %bb.76:                               ;   in Loop: Header=BB144_4 Depth=1
	s_and_not1_saveexec_b32 s22, s22
; %bb.77:                               ;   in Loop: Header=BB144_4 Depth=1
	v_and_b32_e32 v34, 0xffff, v2
	v_or_b32_e32 v35, 0x10000, v2
	s_delay_alu instid0(VALU_DEP_2) | instskip(NEXT) | instid1(VALU_DEP_2)
	v_cmp_eq_u32_e32 vcc_lo, 0, v34
	v_cndmask_b32_e32 v34, v35, v2, vcc_lo
; %bb.78:                               ;   in Loop: Header=BB144_4 Depth=1
	s_or_b32 exec_lo, exec_lo, s22
	s_delay_alu instid0(VALU_DEP_1) | instskip(NEXT) | instid1(VALU_DEP_1)
	v_fma_mix_f32_bf16 v2, s2, v26, v34 op_sel:[0,0,1] op_sel_hi:[0,0,1]
	v_and_b32_e32 v26, 0x7f800000, v2
	s_delay_alu instid0(VALU_DEP_1) | instskip(SKIP_1) | instid1(SALU_CYCLE_1)
	v_cmp_ne_u32_e32 vcc_lo, 0x7f800000, v26
                                        ; implicit-def: $vgpr26
	s_and_saveexec_b32 s22, vcc_lo
	s_xor_b32 s22, exec_lo, s22
; %bb.79:                               ;   in Loop: Header=BB144_4 Depth=1
	v_bfe_u32 v26, v2, 16, 1
	s_delay_alu instid0(VALU_DEP_1)
	v_add3_u32 v26, v2, v26, 0x7fff
                                        ; implicit-def: $vgpr2
; %bb.80:                               ;   in Loop: Header=BB144_4 Depth=1
	s_and_not1_saveexec_b32 s22, s22
; %bb.81:                               ;   in Loop: Header=BB144_4 Depth=1
	v_and_b32_e32 v26, 0xffff, v2
	v_or_b32_e32 v34, 0x10000, v2
	s_delay_alu instid0(VALU_DEP_2) | instskip(NEXT) | instid1(VALU_DEP_2)
	v_cmp_eq_u32_e32 vcc_lo, 0, v26
	v_cndmask_b32_e32 v26, v34, v2, vcc_lo
; %bb.82:                               ;   in Loop: Header=BB144_4 Depth=1
	s_or_b32 exec_lo, exec_lo, s22
	v_lshl_add_u64 v[30:31], v[0:1], 1, v[30:31]
	s_delay_alu instid0(VALU_DEP_1) | instskip(SKIP_4) | instid1(VALU_DEP_1)
	v_lshl_add_u64 v[34:35], v[6:7], 1, v[30:31]
	flat_store_d16_hi_b16 v[34:35], v26
	flat_load_u16 v2, v[32:33] offset:32
	s_wait_loadcnt_dscnt 0x0
	v_lshlrev_b32_e32 v2, 16, v2
	v_mul_f32_e32 v2, s30, v2
	s_wait_xcnt 0x1
	s_delay_alu instid0(VALU_DEP_1) | instskip(NEXT) | instid1(VALU_DEP_1)
	v_and_b32_e32 v26, 0x7f800000, v2
	v_cmp_ne_u32_e32 vcc_lo, 0x7f800000, v26
                                        ; implicit-def: $vgpr26
	s_wait_xcnt 0x0
	s_and_saveexec_b32 s22, vcc_lo
	s_delay_alu instid0(SALU_CYCLE_1)
	s_xor_b32 s22, exec_lo, s22
; %bb.83:                               ;   in Loop: Header=BB144_4 Depth=1
	v_bfe_u32 v26, v2, 16, 1
	s_delay_alu instid0(VALU_DEP_1)
	v_add3_u32 v26, v2, v26, 0x7fff
                                        ; implicit-def: $vgpr2
; %bb.84:                               ;   in Loop: Header=BB144_4 Depth=1
	s_and_not1_saveexec_b32 s22, s22
; %bb.85:                               ;   in Loop: Header=BB144_4 Depth=1
	v_and_b32_e32 v26, 0xffff, v2
	v_or_b32_e32 v40, 0x10000, v2
	s_delay_alu instid0(VALU_DEP_2) | instskip(NEXT) | instid1(VALU_DEP_2)
	v_cmp_eq_u32_e32 vcc_lo, 0, v26
	v_cndmask_b32_e32 v26, v40, v2, vcc_lo
; %bb.86:                               ;   in Loop: Header=BB144_4 Depth=1
	s_or_b32 exec_lo, exec_lo, s22
	s_delay_alu instid0(VALU_DEP_1) | instskip(NEXT) | instid1(VALU_DEP_1)
	v_fma_mix_f32_bf16 v2, s2, v27, v26 op_sel:[0,0,1] op_sel_hi:[0,0,1]
	v_and_b32_e32 v26, 0x7f800000, v2
	s_delay_alu instid0(VALU_DEP_1) | instskip(SKIP_1) | instid1(SALU_CYCLE_1)
	v_cmp_ne_u32_e32 vcc_lo, 0x7f800000, v26
                                        ; implicit-def: $vgpr26
	s_and_saveexec_b32 s22, vcc_lo
	s_xor_b32 s22, exec_lo, s22
; %bb.87:                               ;   in Loop: Header=BB144_4 Depth=1
	v_bfe_u32 v26, v2, 16, 1
	s_delay_alu instid0(VALU_DEP_1)
	v_add3_u32 v26, v2, v26, 0x7fff
                                        ; implicit-def: $vgpr2
; %bb.88:                               ;   in Loop: Header=BB144_4 Depth=1
	s_and_not1_saveexec_b32 s22, s22
; %bb.89:                               ;   in Loop: Header=BB144_4 Depth=1
	v_and_b32_e32 v26, 0xffff, v2
	v_or_b32_e32 v27, 0x10000, v2
	s_delay_alu instid0(VALU_DEP_2) | instskip(NEXT) | instid1(VALU_DEP_2)
	v_cmp_eq_u32_e32 vcc_lo, 0, v26
	v_cndmask_b32_e32 v26, v27, v2, vcc_lo
; %bb.90:                               ;   in Loop: Header=BB144_4 Depth=1
	s_or_b32 exec_lo, exec_lo, s22
	flat_store_d16_hi_b16 v[34:35], v26 offset:32
	flat_load_u16 v2, v[32:33] offset:64
	s_wait_loadcnt_dscnt 0x0
	v_lshlrev_b32_e32 v2, 16, v2
	s_delay_alu instid0(VALU_DEP_1) | instskip(SKIP_1) | instid1(VALU_DEP_1)
	v_mul_f32_e32 v2, s30, v2
	s_wait_xcnt 0x1
	v_and_b32_e32 v26, 0x7f800000, v2
	s_delay_alu instid0(VALU_DEP_1) | instskip(SKIP_2) | instid1(SALU_CYCLE_1)
	v_cmp_ne_u32_e32 vcc_lo, 0x7f800000, v26
                                        ; implicit-def: $vgpr26
	s_wait_xcnt 0x0
	s_and_saveexec_b32 s22, vcc_lo
	s_xor_b32 s22, exec_lo, s22
; %bb.91:                               ;   in Loop: Header=BB144_4 Depth=1
	v_bfe_u32 v26, v2, 16, 1
	s_delay_alu instid0(VALU_DEP_1)
	v_add3_u32 v26, v2, v26, 0x7fff
                                        ; implicit-def: $vgpr2
; %bb.92:                               ;   in Loop: Header=BB144_4 Depth=1
	s_and_not1_saveexec_b32 s22, s22
; %bb.93:                               ;   in Loop: Header=BB144_4 Depth=1
	v_and_b32_e32 v26, 0xffff, v2
	v_or_b32_e32 v27, 0x10000, v2
	s_delay_alu instid0(VALU_DEP_2) | instskip(NEXT) | instid1(VALU_DEP_2)
	v_cmp_eq_u32_e32 vcc_lo, 0, v26
	v_cndmask_b32_e32 v26, v27, v2, vcc_lo
; %bb.94:                               ;   in Loop: Header=BB144_4 Depth=1
	s_or_b32 exec_lo, exec_lo, s22
	s_delay_alu instid0(VALU_DEP_1) | instskip(NEXT) | instid1(VALU_DEP_1)
	v_fma_mix_f32_bf16 v2, s2, v24, v26 op_sel:[0,0,1] op_sel_hi:[0,0,1]
	v_and_b32_e32 v24, 0x7f800000, v2
	s_delay_alu instid0(VALU_DEP_1) | instskip(SKIP_1) | instid1(SALU_CYCLE_1)
	v_cmp_ne_u32_e32 vcc_lo, 0x7f800000, v24
                                        ; implicit-def: $vgpr24
	s_and_saveexec_b32 s22, vcc_lo
	s_xor_b32 s22, exec_lo, s22
; %bb.95:                               ;   in Loop: Header=BB144_4 Depth=1
	v_bfe_u32 v24, v2, 16, 1
	s_delay_alu instid0(VALU_DEP_1)
	v_add3_u32 v24, v2, v24, 0x7fff
                                        ; implicit-def: $vgpr2
; %bb.96:                               ;   in Loop: Header=BB144_4 Depth=1
	s_and_not1_saveexec_b32 s22, s22
; %bb.97:                               ;   in Loop: Header=BB144_4 Depth=1
	v_and_b32_e32 v24, 0xffff, v2
	v_or_b32_e32 v26, 0x10000, v2
	s_delay_alu instid0(VALU_DEP_2) | instskip(NEXT) | instid1(VALU_DEP_2)
	v_cmp_eq_u32_e32 vcc_lo, 0, v24
	v_cndmask_b32_e32 v24, v26, v2, vcc_lo
; %bb.98:                               ;   in Loop: Header=BB144_4 Depth=1
	s_or_b32 exec_lo, exec_lo, s22
	flat_store_d16_hi_b16 v[34:35], v24 offset:64
	flat_load_u16 v2, v[32:33] offset:96
	s_wait_loadcnt_dscnt 0x0
	v_lshlrev_b32_e32 v2, 16, v2
	s_delay_alu instid0(VALU_DEP_1) | instskip(SKIP_1) | instid1(VALU_DEP_1)
	v_mul_f32_e32 v2, s30, v2
	s_wait_xcnt 0x1
	v_and_b32_e32 v24, 0x7f800000, v2
	s_delay_alu instid0(VALU_DEP_1) | instskip(SKIP_2) | instid1(SALU_CYCLE_1)
	v_cmp_ne_u32_e32 vcc_lo, 0x7f800000, v24
                                        ; implicit-def: $vgpr24
	s_wait_xcnt 0x0
	s_and_saveexec_b32 s22, vcc_lo
	s_xor_b32 s22, exec_lo, s22
; %bb.99:                               ;   in Loop: Header=BB144_4 Depth=1
	v_bfe_u32 v24, v2, 16, 1
	s_delay_alu instid0(VALU_DEP_1)
	v_add3_u32 v24, v2, v24, 0x7fff
                                        ; implicit-def: $vgpr2
; %bb.100:                              ;   in Loop: Header=BB144_4 Depth=1
	s_and_not1_saveexec_b32 s22, s22
; %bb.101:                              ;   in Loop: Header=BB144_4 Depth=1
	v_and_b32_e32 v24, 0xffff, v2
	v_or_b32_e32 v26, 0x10000, v2
	s_delay_alu instid0(VALU_DEP_2) | instskip(NEXT) | instid1(VALU_DEP_2)
	v_cmp_eq_u32_e32 vcc_lo, 0, v24
	v_cndmask_b32_e32 v24, v26, v2, vcc_lo
; %bb.102:                              ;   in Loop: Header=BB144_4 Depth=1
	s_or_b32 exec_lo, exec_lo, s22
	s_delay_alu instid0(VALU_DEP_1) | instskip(SKIP_1) | instid1(VALU_DEP_1)
	v_fma_mix_f32_bf16 v2, s2, v25, v24 op_sel:[0,0,1] op_sel_hi:[0,0,1]
	s_mov_b32 s22, exec_lo
                                        ; implicit-def: $vgpr26
	v_and_b32_e32 v24, 0x7f800000, v2
	s_delay_alu instid0(VALU_DEP_1)
	v_cmpx_ne_u32_e32 0x7f800000, v24
	s_xor_b32 s22, exec_lo, s22
; %bb.103:                              ;   in Loop: Header=BB144_4 Depth=1
	v_bfe_u32 v24, v2, 16, 1
	s_delay_alu instid0(VALU_DEP_1)
	v_add3_u32 v26, v2, v24, 0x7fff
                                        ; implicit-def: $vgpr2
; %bb.104:                              ;   in Loop: Header=BB144_4 Depth=1
	s_and_not1_saveexec_b32 s22, s22
; %bb.105:                              ;   in Loop: Header=BB144_4 Depth=1
	v_and_b32_e32 v24, 0xffff, v2
	v_or_b32_e32 v25, 0x10000, v2
	s_delay_alu instid0(VALU_DEP_2) | instskip(NEXT) | instid1(VALU_DEP_2)
	v_cmp_eq_u32_e32 vcc_lo, 0, v24
	v_cndmask_b32_e32 v26, v25, v2, vcc_lo
; %bb.106:                              ;   in Loop: Header=BB144_4 Depth=1
	s_or_b32 exec_lo, exec_lo, s22
	v_lshl_add_u64 v[24:25], s[8:9], 1, v[28:29]
	flat_store_d16_hi_b16 v[34:35], v26 offset:96
	v_lshl_add_u64 v[28:29], v[6:7], 1, v[24:25]
	flat_load_u16 v2, v[28:29]
	s_wait_loadcnt_dscnt 0x0
	v_lshlrev_b32_e32 v2, 16, v2
	s_delay_alu instid0(VALU_DEP_1) | instskip(SKIP_1) | instid1(VALU_DEP_1)
	v_mul_f32_e32 v2, s30, v2
	s_wait_xcnt 0x1
	v_and_b32_e32 v26, 0x7f800000, v2
	s_delay_alu instid0(VALU_DEP_1) | instskip(SKIP_2) | instid1(SALU_CYCLE_1)
	v_cmp_ne_u32_e32 vcc_lo, 0x7f800000, v26
                                        ; implicit-def: $vgpr26
	s_wait_xcnt 0x0
	s_and_saveexec_b32 s22, vcc_lo
	s_xor_b32 s22, exec_lo, s22
; %bb.107:                              ;   in Loop: Header=BB144_4 Depth=1
	v_bfe_u32 v26, v2, 16, 1
	s_delay_alu instid0(VALU_DEP_1)
	v_add3_u32 v26, v2, v26, 0x7fff
                                        ; implicit-def: $vgpr2
; %bb.108:                              ;   in Loop: Header=BB144_4 Depth=1
	s_and_not1_saveexec_b32 s22, s22
; %bb.109:                              ;   in Loop: Header=BB144_4 Depth=1
	v_and_b32_e32 v26, 0xffff, v2
	v_or_b32_e32 v27, 0x10000, v2
	s_delay_alu instid0(VALU_DEP_2) | instskip(NEXT) | instid1(VALU_DEP_2)
	v_cmp_eq_u32_e32 vcc_lo, 0, v26
	v_cndmask_b32_e32 v26, v27, v2, vcc_lo
; %bb.110:                              ;   in Loop: Header=BB144_4 Depth=1
	s_or_b32 exec_lo, exec_lo, s22
	s_delay_alu instid0(VALU_DEP_1) | instskip(NEXT) | instid1(VALU_DEP_1)
	v_fma_mix_f32_bf16 v2, s2, v22, v26 op_sel:[0,0,1] op_sel_hi:[0,0,1]
	v_and_b32_e32 v22, 0x7f800000, v2
	s_delay_alu instid0(VALU_DEP_1) | instskip(SKIP_1) | instid1(SALU_CYCLE_1)
	v_cmp_ne_u32_e32 vcc_lo, 0x7f800000, v22
                                        ; implicit-def: $vgpr22
	s_and_saveexec_b32 s22, vcc_lo
	s_xor_b32 s22, exec_lo, s22
; %bb.111:                              ;   in Loop: Header=BB144_4 Depth=1
	v_bfe_u32 v22, v2, 16, 1
	s_delay_alu instid0(VALU_DEP_1)
	v_add3_u32 v22, v2, v22, 0x7fff
                                        ; implicit-def: $vgpr2
; %bb.112:                              ;   in Loop: Header=BB144_4 Depth=1
	s_and_not1_saveexec_b32 s22, s22
; %bb.113:                              ;   in Loop: Header=BB144_4 Depth=1
	v_and_b32_e32 v22, 0xffff, v2
	v_or_b32_e32 v26, 0x10000, v2
	s_delay_alu instid0(VALU_DEP_2) | instskip(NEXT) | instid1(VALU_DEP_2)
	v_cmp_eq_u32_e32 vcc_lo, 0, v22
	v_cndmask_b32_e32 v22, v26, v2, vcc_lo
; %bb.114:                              ;   in Loop: Header=BB144_4 Depth=1
	s_or_b32 exec_lo, exec_lo, s22
	v_lshl_add_u64 v[26:27], s[6:7], 1, v[30:31]
	s_delay_alu instid0(VALU_DEP_1) | instskip(SKIP_4) | instid1(VALU_DEP_1)
	v_lshl_add_u64 v[30:31], v[6:7], 1, v[26:27]
	flat_store_d16_hi_b16 v[30:31], v22
	flat_load_u16 v2, v[28:29] offset:32
	s_wait_loadcnt_dscnt 0x0
	v_lshlrev_b32_e32 v2, 16, v2
	v_mul_f32_e32 v2, s30, v2
	s_wait_xcnt 0x1
	s_delay_alu instid0(VALU_DEP_1) | instskip(NEXT) | instid1(VALU_DEP_1)
	v_and_b32_e32 v22, 0x7f800000, v2
	v_cmp_ne_u32_e32 vcc_lo, 0x7f800000, v22
                                        ; implicit-def: $vgpr22
	s_wait_xcnt 0x0
	s_and_saveexec_b32 s22, vcc_lo
	s_delay_alu instid0(SALU_CYCLE_1)
	s_xor_b32 s22, exec_lo, s22
; %bb.115:                              ;   in Loop: Header=BB144_4 Depth=1
	v_bfe_u32 v22, v2, 16, 1
	s_delay_alu instid0(VALU_DEP_1)
	v_add3_u32 v22, v2, v22, 0x7fff
                                        ; implicit-def: $vgpr2
; %bb.116:                              ;   in Loop: Header=BB144_4 Depth=1
	s_and_not1_saveexec_b32 s22, s22
; %bb.117:                              ;   in Loop: Header=BB144_4 Depth=1
	v_and_b32_e32 v22, 0xffff, v2
	v_or_b32_e32 v32, 0x10000, v2
	s_delay_alu instid0(VALU_DEP_2) | instskip(NEXT) | instid1(VALU_DEP_2)
	v_cmp_eq_u32_e32 vcc_lo, 0, v22
	v_cndmask_b32_e32 v22, v32, v2, vcc_lo
; %bb.118:                              ;   in Loop: Header=BB144_4 Depth=1
	s_or_b32 exec_lo, exec_lo, s22
	s_delay_alu instid0(VALU_DEP_1) | instskip(NEXT) | instid1(VALU_DEP_1)
	v_fma_mix_f32_bf16 v2, s2, v23, v22 op_sel:[0,0,1] op_sel_hi:[0,0,1]
	v_and_b32_e32 v22, 0x7f800000, v2
	s_delay_alu instid0(VALU_DEP_1) | instskip(SKIP_1) | instid1(SALU_CYCLE_1)
	v_cmp_ne_u32_e32 vcc_lo, 0x7f800000, v22
                                        ; implicit-def: $vgpr22
	s_and_saveexec_b32 s22, vcc_lo
	s_xor_b32 s22, exec_lo, s22
; %bb.119:                              ;   in Loop: Header=BB144_4 Depth=1
	v_bfe_u32 v22, v2, 16, 1
	s_delay_alu instid0(VALU_DEP_1)
	v_add3_u32 v22, v2, v22, 0x7fff
                                        ; implicit-def: $vgpr2
; %bb.120:                              ;   in Loop: Header=BB144_4 Depth=1
	s_and_not1_saveexec_b32 s22, s22
; %bb.121:                              ;   in Loop: Header=BB144_4 Depth=1
	v_and_b32_e32 v22, 0xffff, v2
	v_or_b32_e32 v23, 0x10000, v2
	s_delay_alu instid0(VALU_DEP_2) | instskip(NEXT) | instid1(VALU_DEP_2)
	v_cmp_eq_u32_e32 vcc_lo, 0, v22
	v_cndmask_b32_e32 v22, v23, v2, vcc_lo
; %bb.122:                              ;   in Loop: Header=BB144_4 Depth=1
	s_or_b32 exec_lo, exec_lo, s22
	flat_store_d16_hi_b16 v[30:31], v22 offset:32
	flat_load_u16 v2, v[28:29] offset:64
	s_wait_loadcnt_dscnt 0x0
	v_lshlrev_b32_e32 v2, 16, v2
	s_delay_alu instid0(VALU_DEP_1) | instskip(SKIP_1) | instid1(VALU_DEP_1)
	v_mul_f32_e32 v2, s30, v2
	s_wait_xcnt 0x1
	v_and_b32_e32 v22, 0x7f800000, v2
	s_delay_alu instid0(VALU_DEP_1) | instskip(SKIP_2) | instid1(SALU_CYCLE_1)
	v_cmp_ne_u32_e32 vcc_lo, 0x7f800000, v22
                                        ; implicit-def: $vgpr22
	s_wait_xcnt 0x0
	s_and_saveexec_b32 s22, vcc_lo
	s_xor_b32 s22, exec_lo, s22
; %bb.123:                              ;   in Loop: Header=BB144_4 Depth=1
	v_bfe_u32 v22, v2, 16, 1
	s_delay_alu instid0(VALU_DEP_1)
	v_add3_u32 v22, v2, v22, 0x7fff
                                        ; implicit-def: $vgpr2
; %bb.124:                              ;   in Loop: Header=BB144_4 Depth=1
	s_and_not1_saveexec_b32 s22, s22
; %bb.125:                              ;   in Loop: Header=BB144_4 Depth=1
	v_and_b32_e32 v22, 0xffff, v2
	v_or_b32_e32 v23, 0x10000, v2
	s_delay_alu instid0(VALU_DEP_2) | instskip(NEXT) | instid1(VALU_DEP_2)
	v_cmp_eq_u32_e32 vcc_lo, 0, v22
	v_cndmask_b32_e32 v22, v23, v2, vcc_lo
; %bb.126:                              ;   in Loop: Header=BB144_4 Depth=1
	s_or_b32 exec_lo, exec_lo, s22
	s_delay_alu instid0(VALU_DEP_1) | instskip(NEXT) | instid1(VALU_DEP_1)
	v_fma_mix_f32_bf16 v2, s2, v20, v22 op_sel:[0,0,1] op_sel_hi:[0,0,1]
	v_and_b32_e32 v20, 0x7f800000, v2
	s_delay_alu instid0(VALU_DEP_1) | instskip(SKIP_1) | instid1(SALU_CYCLE_1)
	v_cmp_ne_u32_e32 vcc_lo, 0x7f800000, v20
                                        ; implicit-def: $vgpr20
	s_and_saveexec_b32 s22, vcc_lo
	s_xor_b32 s22, exec_lo, s22
; %bb.127:                              ;   in Loop: Header=BB144_4 Depth=1
	v_bfe_u32 v20, v2, 16, 1
	s_delay_alu instid0(VALU_DEP_1)
	v_add3_u32 v20, v2, v20, 0x7fff
                                        ; implicit-def: $vgpr2
; %bb.128:                              ;   in Loop: Header=BB144_4 Depth=1
	s_and_not1_saveexec_b32 s22, s22
; %bb.129:                              ;   in Loop: Header=BB144_4 Depth=1
	v_and_b32_e32 v20, 0xffff, v2
	v_or_b32_e32 v22, 0x10000, v2
	s_delay_alu instid0(VALU_DEP_2) | instskip(NEXT) | instid1(VALU_DEP_2)
	v_cmp_eq_u32_e32 vcc_lo, 0, v20
	v_cndmask_b32_e32 v20, v22, v2, vcc_lo
; %bb.130:                              ;   in Loop: Header=BB144_4 Depth=1
	s_or_b32 exec_lo, exec_lo, s22
	flat_store_d16_hi_b16 v[30:31], v20 offset:64
	flat_load_u16 v2, v[28:29] offset:96
	s_wait_loadcnt_dscnt 0x0
	v_lshlrev_b32_e32 v2, 16, v2
	s_delay_alu instid0(VALU_DEP_1) | instskip(SKIP_1) | instid1(VALU_DEP_1)
	v_mul_f32_e32 v2, s30, v2
	s_wait_xcnt 0x1
	v_and_b32_e32 v20, 0x7f800000, v2
	s_delay_alu instid0(VALU_DEP_1) | instskip(SKIP_2) | instid1(SALU_CYCLE_1)
	v_cmp_ne_u32_e32 vcc_lo, 0x7f800000, v20
                                        ; implicit-def: $vgpr20
	s_wait_xcnt 0x0
	s_and_saveexec_b32 s22, vcc_lo
	s_xor_b32 s22, exec_lo, s22
; %bb.131:                              ;   in Loop: Header=BB144_4 Depth=1
	v_bfe_u32 v20, v2, 16, 1
	s_delay_alu instid0(VALU_DEP_1)
	v_add3_u32 v20, v2, v20, 0x7fff
                                        ; implicit-def: $vgpr2
; %bb.132:                              ;   in Loop: Header=BB144_4 Depth=1
	s_and_not1_saveexec_b32 s22, s22
; %bb.133:                              ;   in Loop: Header=BB144_4 Depth=1
	v_and_b32_e32 v20, 0xffff, v2
	v_or_b32_e32 v22, 0x10000, v2
	s_delay_alu instid0(VALU_DEP_2) | instskip(NEXT) | instid1(VALU_DEP_2)
	v_cmp_eq_u32_e32 vcc_lo, 0, v20
	v_cndmask_b32_e32 v20, v22, v2, vcc_lo
; %bb.134:                              ;   in Loop: Header=BB144_4 Depth=1
	s_or_b32 exec_lo, exec_lo, s22
	s_delay_alu instid0(VALU_DEP_1) | instskip(SKIP_1) | instid1(VALU_DEP_1)
	v_fma_mix_f32_bf16 v2, s2, v21, v20 op_sel:[0,0,1] op_sel_hi:[0,0,1]
	s_mov_b32 s22, exec_lo
                                        ; implicit-def: $vgpr22
	v_and_b32_e32 v20, 0x7f800000, v2
	s_delay_alu instid0(VALU_DEP_1)
	v_cmpx_ne_u32_e32 0x7f800000, v20
	s_xor_b32 s22, exec_lo, s22
; %bb.135:                              ;   in Loop: Header=BB144_4 Depth=1
	v_bfe_u32 v20, v2, 16, 1
	s_delay_alu instid0(VALU_DEP_1)
	v_add3_u32 v22, v2, v20, 0x7fff
                                        ; implicit-def: $vgpr2
; %bb.136:                              ;   in Loop: Header=BB144_4 Depth=1
	s_and_not1_saveexec_b32 s22, s22
; %bb.137:                              ;   in Loop: Header=BB144_4 Depth=1
	v_and_b32_e32 v20, 0xffff, v2
	v_or_b32_e32 v21, 0x10000, v2
	s_delay_alu instid0(VALU_DEP_2) | instskip(NEXT) | instid1(VALU_DEP_2)
	v_cmp_eq_u32_e32 vcc_lo, 0, v20
	v_cndmask_b32_e32 v22, v21, v2, vcc_lo
; %bb.138:                              ;   in Loop: Header=BB144_4 Depth=1
	s_or_b32 exec_lo, exec_lo, s22
	v_lshl_add_u64 v[20:21], s[8:9], 1, v[24:25]
	flat_store_d16_hi_b16 v[30:31], v22 offset:96
	v_lshl_add_u64 v[24:25], v[6:7], 1, v[20:21]
	flat_load_u16 v2, v[24:25]
	s_wait_loadcnt_dscnt 0x0
	v_lshlrev_b32_e32 v2, 16, v2
	s_delay_alu instid0(VALU_DEP_1) | instskip(SKIP_1) | instid1(VALU_DEP_1)
	v_mul_f32_e32 v2, s30, v2
	s_wait_xcnt 0x1
	v_and_b32_e32 v22, 0x7f800000, v2
	s_delay_alu instid0(VALU_DEP_1) | instskip(SKIP_2) | instid1(SALU_CYCLE_1)
	v_cmp_ne_u32_e32 vcc_lo, 0x7f800000, v22
                                        ; implicit-def: $vgpr22
	s_wait_xcnt 0x0
	s_and_saveexec_b32 s22, vcc_lo
	s_xor_b32 s22, exec_lo, s22
; %bb.139:                              ;   in Loop: Header=BB144_4 Depth=1
	v_bfe_u32 v22, v2, 16, 1
	s_delay_alu instid0(VALU_DEP_1)
	v_add3_u32 v22, v2, v22, 0x7fff
                                        ; implicit-def: $vgpr2
; %bb.140:                              ;   in Loop: Header=BB144_4 Depth=1
	s_and_not1_saveexec_b32 s22, s22
; %bb.141:                              ;   in Loop: Header=BB144_4 Depth=1
	v_and_b32_e32 v22, 0xffff, v2
	v_or_b32_e32 v23, 0x10000, v2
	s_delay_alu instid0(VALU_DEP_2) | instskip(NEXT) | instid1(VALU_DEP_2)
	v_cmp_eq_u32_e32 vcc_lo, 0, v22
	v_cndmask_b32_e32 v22, v23, v2, vcc_lo
; %bb.142:                              ;   in Loop: Header=BB144_4 Depth=1
	s_or_b32 exec_lo, exec_lo, s22
	s_delay_alu instid0(VALU_DEP_1) | instskip(NEXT) | instid1(VALU_DEP_1)
	v_fma_mix_f32_bf16 v2, s2, v18, v22 op_sel:[0,0,1] op_sel_hi:[0,0,1]
	v_and_b32_e32 v18, 0x7f800000, v2
	s_delay_alu instid0(VALU_DEP_1) | instskip(SKIP_1) | instid1(SALU_CYCLE_1)
	v_cmp_ne_u32_e32 vcc_lo, 0x7f800000, v18
                                        ; implicit-def: $vgpr18
	s_and_saveexec_b32 s22, vcc_lo
	s_xor_b32 s22, exec_lo, s22
; %bb.143:                              ;   in Loop: Header=BB144_4 Depth=1
	v_bfe_u32 v18, v2, 16, 1
	s_delay_alu instid0(VALU_DEP_1)
	v_add3_u32 v18, v2, v18, 0x7fff
                                        ; implicit-def: $vgpr2
; %bb.144:                              ;   in Loop: Header=BB144_4 Depth=1
	s_and_not1_saveexec_b32 s22, s22
; %bb.145:                              ;   in Loop: Header=BB144_4 Depth=1
	v_and_b32_e32 v18, 0xffff, v2
	v_or_b32_e32 v22, 0x10000, v2
	s_delay_alu instid0(VALU_DEP_2) | instskip(NEXT) | instid1(VALU_DEP_2)
	v_cmp_eq_u32_e32 vcc_lo, 0, v18
	v_cndmask_b32_e32 v18, v22, v2, vcc_lo
; %bb.146:                              ;   in Loop: Header=BB144_4 Depth=1
	s_or_b32 exec_lo, exec_lo, s22
	v_lshl_add_u64 v[22:23], s[6:7], 1, v[26:27]
	s_delay_alu instid0(VALU_DEP_1) | instskip(SKIP_4) | instid1(VALU_DEP_1)
	v_lshl_add_u64 v[26:27], v[6:7], 1, v[22:23]
	flat_store_d16_hi_b16 v[26:27], v18
	flat_load_u16 v2, v[24:25] offset:32
	s_wait_loadcnt_dscnt 0x0
	v_lshlrev_b32_e32 v2, 16, v2
	v_mul_f32_e32 v2, s30, v2
	s_wait_xcnt 0x1
	s_delay_alu instid0(VALU_DEP_1) | instskip(NEXT) | instid1(VALU_DEP_1)
	v_and_b32_e32 v18, 0x7f800000, v2
	v_cmp_ne_u32_e32 vcc_lo, 0x7f800000, v18
                                        ; implicit-def: $vgpr18
	s_wait_xcnt 0x0
	s_and_saveexec_b32 s22, vcc_lo
	s_delay_alu instid0(SALU_CYCLE_1)
	s_xor_b32 s22, exec_lo, s22
; %bb.147:                              ;   in Loop: Header=BB144_4 Depth=1
	v_bfe_u32 v18, v2, 16, 1
	s_delay_alu instid0(VALU_DEP_1)
	v_add3_u32 v18, v2, v18, 0x7fff
                                        ; implicit-def: $vgpr2
; %bb.148:                              ;   in Loop: Header=BB144_4 Depth=1
	s_and_not1_saveexec_b32 s22, s22
; %bb.149:                              ;   in Loop: Header=BB144_4 Depth=1
	v_and_b32_e32 v18, 0xffff, v2
	v_or_b32_e32 v28, 0x10000, v2
	s_delay_alu instid0(VALU_DEP_2) | instskip(NEXT) | instid1(VALU_DEP_2)
	v_cmp_eq_u32_e32 vcc_lo, 0, v18
	v_cndmask_b32_e32 v18, v28, v2, vcc_lo
; %bb.150:                              ;   in Loop: Header=BB144_4 Depth=1
	s_or_b32 exec_lo, exec_lo, s22
	s_delay_alu instid0(VALU_DEP_1) | instskip(NEXT) | instid1(VALU_DEP_1)
	v_fma_mix_f32_bf16 v2, s2, v19, v18 op_sel:[0,0,1] op_sel_hi:[0,0,1]
	v_and_b32_e32 v18, 0x7f800000, v2
	s_delay_alu instid0(VALU_DEP_1) | instskip(SKIP_1) | instid1(SALU_CYCLE_1)
	v_cmp_ne_u32_e32 vcc_lo, 0x7f800000, v18
                                        ; implicit-def: $vgpr18
	s_and_saveexec_b32 s22, vcc_lo
	s_xor_b32 s22, exec_lo, s22
; %bb.151:                              ;   in Loop: Header=BB144_4 Depth=1
	v_bfe_u32 v18, v2, 16, 1
	s_delay_alu instid0(VALU_DEP_1)
	v_add3_u32 v18, v2, v18, 0x7fff
                                        ; implicit-def: $vgpr2
; %bb.152:                              ;   in Loop: Header=BB144_4 Depth=1
	s_and_not1_saveexec_b32 s22, s22
; %bb.153:                              ;   in Loop: Header=BB144_4 Depth=1
	v_and_b32_e32 v18, 0xffff, v2
	v_or_b32_e32 v19, 0x10000, v2
	s_delay_alu instid0(VALU_DEP_2) | instskip(NEXT) | instid1(VALU_DEP_2)
	v_cmp_eq_u32_e32 vcc_lo, 0, v18
	v_cndmask_b32_e32 v18, v19, v2, vcc_lo
; %bb.154:                              ;   in Loop: Header=BB144_4 Depth=1
	s_or_b32 exec_lo, exec_lo, s22
	flat_store_d16_hi_b16 v[26:27], v18 offset:32
	flat_load_u16 v2, v[24:25] offset:64
	s_wait_loadcnt_dscnt 0x0
	v_lshlrev_b32_e32 v2, 16, v2
	s_delay_alu instid0(VALU_DEP_1) | instskip(SKIP_1) | instid1(VALU_DEP_1)
	v_mul_f32_e32 v2, s30, v2
	s_wait_xcnt 0x1
	v_and_b32_e32 v18, 0x7f800000, v2
	s_delay_alu instid0(VALU_DEP_1) | instskip(SKIP_2) | instid1(SALU_CYCLE_1)
	v_cmp_ne_u32_e32 vcc_lo, 0x7f800000, v18
                                        ; implicit-def: $vgpr18
	s_wait_xcnt 0x0
	s_and_saveexec_b32 s22, vcc_lo
	s_xor_b32 s22, exec_lo, s22
; %bb.155:                              ;   in Loop: Header=BB144_4 Depth=1
	v_bfe_u32 v18, v2, 16, 1
	s_delay_alu instid0(VALU_DEP_1)
	v_add3_u32 v18, v2, v18, 0x7fff
                                        ; implicit-def: $vgpr2
; %bb.156:                              ;   in Loop: Header=BB144_4 Depth=1
	s_and_not1_saveexec_b32 s22, s22
; %bb.157:                              ;   in Loop: Header=BB144_4 Depth=1
	v_and_b32_e32 v18, 0xffff, v2
	v_or_b32_e32 v19, 0x10000, v2
	s_delay_alu instid0(VALU_DEP_2) | instskip(NEXT) | instid1(VALU_DEP_2)
	v_cmp_eq_u32_e32 vcc_lo, 0, v18
	v_cndmask_b32_e32 v18, v19, v2, vcc_lo
; %bb.158:                              ;   in Loop: Header=BB144_4 Depth=1
	s_or_b32 exec_lo, exec_lo, s22
	s_delay_alu instid0(VALU_DEP_1) | instskip(NEXT) | instid1(VALU_DEP_1)
	v_fma_mix_f32_bf16 v2, s2, v16, v18 op_sel:[0,0,1] op_sel_hi:[0,0,1]
	v_and_b32_e32 v16, 0x7f800000, v2
	s_delay_alu instid0(VALU_DEP_1) | instskip(SKIP_1) | instid1(SALU_CYCLE_1)
	v_cmp_ne_u32_e32 vcc_lo, 0x7f800000, v16
                                        ; implicit-def: $vgpr16
	s_and_saveexec_b32 s22, vcc_lo
	s_xor_b32 s22, exec_lo, s22
; %bb.159:                              ;   in Loop: Header=BB144_4 Depth=1
	v_bfe_u32 v16, v2, 16, 1
	s_delay_alu instid0(VALU_DEP_1)
	v_add3_u32 v16, v2, v16, 0x7fff
                                        ; implicit-def: $vgpr2
; %bb.160:                              ;   in Loop: Header=BB144_4 Depth=1
	s_and_not1_saveexec_b32 s22, s22
; %bb.161:                              ;   in Loop: Header=BB144_4 Depth=1
	v_and_b32_e32 v16, 0xffff, v2
	v_or_b32_e32 v18, 0x10000, v2
	s_delay_alu instid0(VALU_DEP_2) | instskip(NEXT) | instid1(VALU_DEP_2)
	v_cmp_eq_u32_e32 vcc_lo, 0, v16
	v_cndmask_b32_e32 v16, v18, v2, vcc_lo
; %bb.162:                              ;   in Loop: Header=BB144_4 Depth=1
	s_or_b32 exec_lo, exec_lo, s22
	flat_store_d16_hi_b16 v[26:27], v16 offset:64
	flat_load_u16 v2, v[24:25] offset:96
	s_wait_loadcnt_dscnt 0x0
	v_lshlrev_b32_e32 v2, 16, v2
	s_delay_alu instid0(VALU_DEP_1) | instskip(SKIP_1) | instid1(VALU_DEP_1)
	v_mul_f32_e32 v2, s30, v2
	s_wait_xcnt 0x1
	v_and_b32_e32 v16, 0x7f800000, v2
	s_delay_alu instid0(VALU_DEP_1) | instskip(SKIP_2) | instid1(SALU_CYCLE_1)
	v_cmp_ne_u32_e32 vcc_lo, 0x7f800000, v16
                                        ; implicit-def: $vgpr16
	s_wait_xcnt 0x0
	s_and_saveexec_b32 s22, vcc_lo
	s_xor_b32 s22, exec_lo, s22
; %bb.163:                              ;   in Loop: Header=BB144_4 Depth=1
	v_bfe_u32 v16, v2, 16, 1
	s_delay_alu instid0(VALU_DEP_1)
	v_add3_u32 v16, v2, v16, 0x7fff
                                        ; implicit-def: $vgpr2
; %bb.164:                              ;   in Loop: Header=BB144_4 Depth=1
	s_and_not1_saveexec_b32 s22, s22
; %bb.165:                              ;   in Loop: Header=BB144_4 Depth=1
	v_and_b32_e32 v16, 0xffff, v2
	v_or_b32_e32 v18, 0x10000, v2
	s_delay_alu instid0(VALU_DEP_2) | instskip(NEXT) | instid1(VALU_DEP_2)
	v_cmp_eq_u32_e32 vcc_lo, 0, v16
	v_cndmask_b32_e32 v16, v18, v2, vcc_lo
; %bb.166:                              ;   in Loop: Header=BB144_4 Depth=1
	s_or_b32 exec_lo, exec_lo, s22
	s_delay_alu instid0(VALU_DEP_1) | instskip(SKIP_1) | instid1(VALU_DEP_1)
	v_fma_mix_f32_bf16 v2, s2, v17, v16 op_sel:[0,0,1] op_sel_hi:[0,0,1]
	s_mov_b32 s22, exec_lo
                                        ; implicit-def: $vgpr18
	v_and_b32_e32 v16, 0x7f800000, v2
	s_delay_alu instid0(VALU_DEP_1)
	v_cmpx_ne_u32_e32 0x7f800000, v16
	s_xor_b32 s22, exec_lo, s22
; %bb.167:                              ;   in Loop: Header=BB144_4 Depth=1
	v_bfe_u32 v16, v2, 16, 1
	s_delay_alu instid0(VALU_DEP_1)
	v_add3_u32 v18, v2, v16, 0x7fff
                                        ; implicit-def: $vgpr2
; %bb.168:                              ;   in Loop: Header=BB144_4 Depth=1
	s_and_not1_saveexec_b32 s22, s22
; %bb.169:                              ;   in Loop: Header=BB144_4 Depth=1
	v_and_b32_e32 v16, 0xffff, v2
	v_or_b32_e32 v17, 0x10000, v2
	s_delay_alu instid0(VALU_DEP_2) | instskip(NEXT) | instid1(VALU_DEP_2)
	v_cmp_eq_u32_e32 vcc_lo, 0, v16
	v_cndmask_b32_e32 v18, v17, v2, vcc_lo
; %bb.170:                              ;   in Loop: Header=BB144_4 Depth=1
	s_or_b32 exec_lo, exec_lo, s22
	v_lshl_add_u64 v[16:17], s[8:9], 1, v[20:21]
	flat_store_d16_hi_b16 v[26:27], v18 offset:96
	v_lshl_add_u64 v[16:17], v[6:7], 1, v[16:17]
	flat_load_u16 v2, v[16:17]
	s_wait_loadcnt_dscnt 0x0
	v_lshlrev_b32_e32 v2, 16, v2
	s_delay_alu instid0(VALU_DEP_1) | instskip(SKIP_1) | instid1(VALU_DEP_1)
	v_mul_f32_e32 v2, s30, v2
	s_wait_xcnt 0x1
	v_and_b32_e32 v18, 0x7f800000, v2
	s_delay_alu instid0(VALU_DEP_1) | instskip(SKIP_2) | instid1(SALU_CYCLE_1)
	v_cmp_ne_u32_e32 vcc_lo, 0x7f800000, v18
                                        ; implicit-def: $vgpr18
	s_wait_xcnt 0x0
	s_and_saveexec_b32 s22, vcc_lo
	s_xor_b32 s22, exec_lo, s22
; %bb.171:                              ;   in Loop: Header=BB144_4 Depth=1
	v_bfe_u32 v18, v2, 16, 1
	s_delay_alu instid0(VALU_DEP_1)
	v_add3_u32 v18, v2, v18, 0x7fff
                                        ; implicit-def: $vgpr2
; %bb.172:                              ;   in Loop: Header=BB144_4 Depth=1
	s_and_not1_saveexec_b32 s22, s22
; %bb.173:                              ;   in Loop: Header=BB144_4 Depth=1
	v_and_b32_e32 v18, 0xffff, v2
	v_or_b32_e32 v19, 0x10000, v2
	s_delay_alu instid0(VALU_DEP_2) | instskip(NEXT) | instid1(VALU_DEP_2)
	v_cmp_eq_u32_e32 vcc_lo, 0, v18
	v_cndmask_b32_e32 v18, v19, v2, vcc_lo
; %bb.174:                              ;   in Loop: Header=BB144_4 Depth=1
	s_or_b32 exec_lo, exec_lo, s22
	s_delay_alu instid0(VALU_DEP_1) | instskip(NEXT) | instid1(VALU_DEP_1)
	v_fma_mix_f32_bf16 v2, s2, v14, v18 op_sel:[0,0,1] op_sel_hi:[0,0,1]
	v_and_b32_e32 v14, 0x7f800000, v2
	s_delay_alu instid0(VALU_DEP_1) | instskip(SKIP_1) | instid1(SALU_CYCLE_1)
	v_cmp_ne_u32_e32 vcc_lo, 0x7f800000, v14
                                        ; implicit-def: $vgpr14
	s_and_saveexec_b32 s22, vcc_lo
	s_xor_b32 s22, exec_lo, s22
; %bb.175:                              ;   in Loop: Header=BB144_4 Depth=1
	v_bfe_u32 v14, v2, 16, 1
	s_delay_alu instid0(VALU_DEP_1)
	v_add3_u32 v14, v2, v14, 0x7fff
                                        ; implicit-def: $vgpr2
; %bb.176:                              ;   in Loop: Header=BB144_4 Depth=1
	s_and_not1_saveexec_b32 s22, s22
; %bb.177:                              ;   in Loop: Header=BB144_4 Depth=1
	v_and_b32_e32 v14, 0xffff, v2
	v_or_b32_e32 v18, 0x10000, v2
	s_delay_alu instid0(VALU_DEP_2) | instskip(NEXT) | instid1(VALU_DEP_2)
	v_cmp_eq_u32_e32 vcc_lo, 0, v14
	v_cndmask_b32_e32 v14, v18, v2, vcc_lo
; %bb.178:                              ;   in Loop: Header=BB144_4 Depth=1
	s_or_b32 exec_lo, exec_lo, s22
	v_lshl_add_u64 v[18:19], s[6:7], 1, v[22:23]
	s_delay_alu instid0(VALU_DEP_1) | instskip(SKIP_4) | instid1(VALU_DEP_1)
	v_lshl_add_u64 v[18:19], v[6:7], 1, v[18:19]
	flat_store_d16_hi_b16 v[18:19], v14
	flat_load_u16 v2, v[16:17] offset:32
	s_wait_loadcnt_dscnt 0x0
	v_lshlrev_b32_e32 v2, 16, v2
	v_mul_f32_e32 v2, s30, v2
	s_wait_xcnt 0x1
	s_delay_alu instid0(VALU_DEP_1) | instskip(NEXT) | instid1(VALU_DEP_1)
	v_and_b32_e32 v14, 0x7f800000, v2
	v_cmp_ne_u32_e32 vcc_lo, 0x7f800000, v14
                                        ; implicit-def: $vgpr14
	s_wait_xcnt 0x0
	s_and_saveexec_b32 s22, vcc_lo
	s_delay_alu instid0(SALU_CYCLE_1)
	s_xor_b32 s22, exec_lo, s22
; %bb.179:                              ;   in Loop: Header=BB144_4 Depth=1
	v_bfe_u32 v14, v2, 16, 1
	s_delay_alu instid0(VALU_DEP_1)
	v_add3_u32 v14, v2, v14, 0x7fff
                                        ; implicit-def: $vgpr2
; %bb.180:                              ;   in Loop: Header=BB144_4 Depth=1
	s_and_not1_saveexec_b32 s22, s22
; %bb.181:                              ;   in Loop: Header=BB144_4 Depth=1
	v_and_b32_e32 v14, 0xffff, v2
	v_or_b32_e32 v20, 0x10000, v2
	s_delay_alu instid0(VALU_DEP_2) | instskip(NEXT) | instid1(VALU_DEP_2)
	v_cmp_eq_u32_e32 vcc_lo, 0, v14
	v_cndmask_b32_e32 v14, v20, v2, vcc_lo
; %bb.182:                              ;   in Loop: Header=BB144_4 Depth=1
	s_or_b32 exec_lo, exec_lo, s22
	s_delay_alu instid0(VALU_DEP_1) | instskip(NEXT) | instid1(VALU_DEP_1)
	v_fma_mix_f32_bf16 v2, s2, v15, v14 op_sel:[0,0,1] op_sel_hi:[0,0,1]
	v_and_b32_e32 v14, 0x7f800000, v2
	s_delay_alu instid0(VALU_DEP_1) | instskip(SKIP_1) | instid1(SALU_CYCLE_1)
	v_cmp_ne_u32_e32 vcc_lo, 0x7f800000, v14
                                        ; implicit-def: $vgpr14
	s_and_saveexec_b32 s22, vcc_lo
	s_xor_b32 s22, exec_lo, s22
; %bb.183:                              ;   in Loop: Header=BB144_4 Depth=1
	v_bfe_u32 v14, v2, 16, 1
	s_delay_alu instid0(VALU_DEP_1)
	v_add3_u32 v14, v2, v14, 0x7fff
                                        ; implicit-def: $vgpr2
; %bb.184:                              ;   in Loop: Header=BB144_4 Depth=1
	s_and_not1_saveexec_b32 s22, s22
; %bb.185:                              ;   in Loop: Header=BB144_4 Depth=1
	v_and_b32_e32 v14, 0xffff, v2
	v_or_b32_e32 v15, 0x10000, v2
	s_delay_alu instid0(VALU_DEP_2) | instskip(NEXT) | instid1(VALU_DEP_2)
	v_cmp_eq_u32_e32 vcc_lo, 0, v14
	v_cndmask_b32_e32 v14, v15, v2, vcc_lo
; %bb.186:                              ;   in Loop: Header=BB144_4 Depth=1
	s_or_b32 exec_lo, exec_lo, s22
	flat_store_d16_hi_b16 v[18:19], v14 offset:32
	flat_load_u16 v2, v[16:17] offset:64
	s_wait_loadcnt_dscnt 0x0
	v_lshlrev_b32_e32 v2, 16, v2
	s_delay_alu instid0(VALU_DEP_1) | instskip(SKIP_1) | instid1(VALU_DEP_1)
	v_mul_f32_e32 v2, s30, v2
	s_wait_xcnt 0x1
	v_and_b32_e32 v14, 0x7f800000, v2
	s_delay_alu instid0(VALU_DEP_1) | instskip(SKIP_2) | instid1(SALU_CYCLE_1)
	v_cmp_ne_u32_e32 vcc_lo, 0x7f800000, v14
                                        ; implicit-def: $vgpr14
	s_wait_xcnt 0x0
	s_and_saveexec_b32 s22, vcc_lo
	s_xor_b32 s22, exec_lo, s22
; %bb.187:                              ;   in Loop: Header=BB144_4 Depth=1
	v_bfe_u32 v14, v2, 16, 1
	s_delay_alu instid0(VALU_DEP_1)
	v_add3_u32 v14, v2, v14, 0x7fff
                                        ; implicit-def: $vgpr2
; %bb.188:                              ;   in Loop: Header=BB144_4 Depth=1
	s_and_not1_saveexec_b32 s22, s22
; %bb.189:                              ;   in Loop: Header=BB144_4 Depth=1
	v_and_b32_e32 v14, 0xffff, v2
	v_or_b32_e32 v15, 0x10000, v2
	s_delay_alu instid0(VALU_DEP_2) | instskip(NEXT) | instid1(VALU_DEP_2)
	v_cmp_eq_u32_e32 vcc_lo, 0, v14
	v_cndmask_b32_e32 v14, v15, v2, vcc_lo
; %bb.190:                              ;   in Loop: Header=BB144_4 Depth=1
	s_or_b32 exec_lo, exec_lo, s22
	s_delay_alu instid0(VALU_DEP_1) | instskip(NEXT) | instid1(VALU_DEP_1)
	v_fma_mix_f32_bf16 v2, s2, v12, v14 op_sel:[0,0,1] op_sel_hi:[0,0,1]
	v_and_b32_e32 v12, 0x7f800000, v2
	s_delay_alu instid0(VALU_DEP_1) | instskip(SKIP_1) | instid1(SALU_CYCLE_1)
	v_cmp_ne_u32_e32 vcc_lo, 0x7f800000, v12
                                        ; implicit-def: $vgpr12
	s_and_saveexec_b32 s22, vcc_lo
	s_xor_b32 s22, exec_lo, s22
; %bb.191:                              ;   in Loop: Header=BB144_4 Depth=1
	v_bfe_u32 v12, v2, 16, 1
	s_delay_alu instid0(VALU_DEP_1)
	v_add3_u32 v12, v2, v12, 0x7fff
                                        ; implicit-def: $vgpr2
; %bb.192:                              ;   in Loop: Header=BB144_4 Depth=1
	s_and_not1_saveexec_b32 s22, s22
; %bb.193:                              ;   in Loop: Header=BB144_4 Depth=1
	v_and_b32_e32 v12, 0xffff, v2
	v_or_b32_e32 v14, 0x10000, v2
	s_delay_alu instid0(VALU_DEP_2) | instskip(NEXT) | instid1(VALU_DEP_2)
	v_cmp_eq_u32_e32 vcc_lo, 0, v12
	v_cndmask_b32_e32 v12, v14, v2, vcc_lo
; %bb.194:                              ;   in Loop: Header=BB144_4 Depth=1
	s_or_b32 exec_lo, exec_lo, s22
	flat_store_d16_hi_b16 v[18:19], v12 offset:64
	flat_load_u16 v2, v[16:17] offset:96
	s_wait_loadcnt_dscnt 0x0
	v_lshlrev_b32_e32 v2, 16, v2
	s_delay_alu instid0(VALU_DEP_1) | instskip(SKIP_1) | instid1(VALU_DEP_1)
	v_mul_f32_e32 v2, s30, v2
	s_wait_xcnt 0x1
	v_and_b32_e32 v12, 0x7f800000, v2
	s_delay_alu instid0(VALU_DEP_1) | instskip(SKIP_2) | instid1(SALU_CYCLE_1)
	v_cmp_ne_u32_e32 vcc_lo, 0x7f800000, v12
                                        ; implicit-def: $vgpr12
	s_wait_xcnt 0x0
	s_and_saveexec_b32 s22, vcc_lo
	s_xor_b32 s22, exec_lo, s22
; %bb.195:                              ;   in Loop: Header=BB144_4 Depth=1
	v_bfe_u32 v12, v2, 16, 1
	s_delay_alu instid0(VALU_DEP_1)
	v_add3_u32 v12, v2, v12, 0x7fff
                                        ; implicit-def: $vgpr2
; %bb.196:                              ;   in Loop: Header=BB144_4 Depth=1
	s_and_not1_saveexec_b32 s22, s22
; %bb.197:                              ;   in Loop: Header=BB144_4 Depth=1
	v_and_b32_e32 v12, 0xffff, v2
	v_or_b32_e32 v14, 0x10000, v2
	s_delay_alu instid0(VALU_DEP_2) | instskip(NEXT) | instid1(VALU_DEP_2)
	v_cmp_eq_u32_e32 vcc_lo, 0, v12
	v_cndmask_b32_e32 v12, v14, v2, vcc_lo
; %bb.198:                              ;   in Loop: Header=BB144_4 Depth=1
	s_or_b32 exec_lo, exec_lo, s22
	s_delay_alu instid0(VALU_DEP_1) | instskip(NEXT) | instid1(VALU_DEP_1)
	v_fma_mix_f32_bf16 v2, s2, v13, v12 op_sel:[0,0,1] op_sel_hi:[0,0,1]
	v_and_b32_e32 v12, 0x7f800000, v2
	s_delay_alu instid0(VALU_DEP_1) | instskip(SKIP_1) | instid1(SALU_CYCLE_1)
	v_cmp_ne_u32_e32 vcc_lo, 0x7f800000, v12
                                        ; implicit-def: $vgpr12
	s_and_saveexec_b32 s22, vcc_lo
	s_xor_b32 s22, exec_lo, s22
; %bb.199:                              ;   in Loop: Header=BB144_4 Depth=1
	v_bfe_u32 v12, v2, 16, 1
	s_delay_alu instid0(VALU_DEP_1)
	v_add3_u32 v12, v2, v12, 0x7fff
                                        ; implicit-def: $vgpr2
; %bb.200:                              ;   in Loop: Header=BB144_4 Depth=1
	s_and_not1_saveexec_b32 s22, s22
	s_cbranch_execz .LBB144_2
; %bb.201:                              ;   in Loop: Header=BB144_4 Depth=1
	v_and_b32_e32 v12, 0xffff, v2
	v_or_b32_e32 v13, 0x10000, v2
	s_delay_alu instid0(VALU_DEP_2) | instskip(NEXT) | instid1(VALU_DEP_2)
	v_cmp_eq_u32_e32 vcc_lo, 0, v12
	v_cndmask_b32_e32 v12, v13, v2, vcc_lo
	s_branch .LBB144_2
.LBB144_202:
	s_sendmsg sendmsg(MSG_DEALLOC_VGPRS)
	s_endpgm
	.section	.rodata,"a",@progbits
	.p2align	6, 0x0
	.amdhsa_kernel _ZN12_GLOBAL__N_127rocblas_gemm_batched_kernelIfLi16ELi16ELi64ELi64ELi4ELi64ELi4ELi4ELi64ELc67ELc67EKPK16rocblas_bfloat16S4_KPS1_EEvlllT_PT11_llS9_llS7_PT12_llPT13_lli
		.amdhsa_group_segment_fixed_size 2048
		.amdhsa_private_segment_fixed_size 0
		.amdhsa_kernarg_size 140
		.amdhsa_user_sgpr_count 2
		.amdhsa_user_sgpr_dispatch_ptr 0
		.amdhsa_user_sgpr_queue_ptr 0
		.amdhsa_user_sgpr_kernarg_segment_ptr 1
		.amdhsa_user_sgpr_dispatch_id 0
		.amdhsa_user_sgpr_kernarg_preload_length 0
		.amdhsa_user_sgpr_kernarg_preload_offset 0
		.amdhsa_user_sgpr_private_segment_size 0
		.amdhsa_wavefront_size32 1
		.amdhsa_uses_dynamic_stack 0
		.amdhsa_enable_private_segment 0
		.amdhsa_system_sgpr_workgroup_id_x 1
		.amdhsa_system_sgpr_workgroup_id_y 1
		.amdhsa_system_sgpr_workgroup_id_z 1
		.amdhsa_system_sgpr_workgroup_info 0
		.amdhsa_system_vgpr_workitem_id 1
		.amdhsa_next_free_vgpr 74
		.amdhsa_next_free_sgpr 38
		.amdhsa_named_barrier_count 0
		.amdhsa_reserve_vcc 1
		.amdhsa_float_round_mode_32 0
		.amdhsa_float_round_mode_16_64 0
		.amdhsa_float_denorm_mode_32 3
		.amdhsa_float_denorm_mode_16_64 3
		.amdhsa_fp16_overflow 0
		.amdhsa_memory_ordered 1
		.amdhsa_forward_progress 1
		.amdhsa_inst_pref_size 55
		.amdhsa_round_robin_scheduling 0
		.amdhsa_exception_fp_ieee_invalid_op 0
		.amdhsa_exception_fp_denorm_src 0
		.amdhsa_exception_fp_ieee_div_zero 0
		.amdhsa_exception_fp_ieee_overflow 0
		.amdhsa_exception_fp_ieee_underflow 0
		.amdhsa_exception_fp_ieee_inexact 0
		.amdhsa_exception_int_div_zero 0
	.end_amdhsa_kernel
	.section	.text._ZN12_GLOBAL__N_127rocblas_gemm_batched_kernelIfLi16ELi16ELi64ELi64ELi4ELi64ELi4ELi4ELi64ELc67ELc67EKPK16rocblas_bfloat16S4_KPS1_EEvlllT_PT11_llS9_llS7_PT12_llPT13_lli,"axG",@progbits,_ZN12_GLOBAL__N_127rocblas_gemm_batched_kernelIfLi16ELi16ELi64ELi64ELi4ELi64ELi4ELi4ELi64ELc67ELc67EKPK16rocblas_bfloat16S4_KPS1_EEvlllT_PT11_llS9_llS7_PT12_llPT13_lli,comdat
.Lfunc_end144:
	.size	_ZN12_GLOBAL__N_127rocblas_gemm_batched_kernelIfLi16ELi16ELi64ELi64ELi4ELi64ELi4ELi4ELi64ELc67ELc67EKPK16rocblas_bfloat16S4_KPS1_EEvlllT_PT11_llS9_llS7_PT12_llPT13_lli, .Lfunc_end144-_ZN12_GLOBAL__N_127rocblas_gemm_batched_kernelIfLi16ELi16ELi64ELi64ELi4ELi64ELi4ELi4ELi64ELc67ELc67EKPK16rocblas_bfloat16S4_KPS1_EEvlllT_PT11_llS9_llS7_PT12_llPT13_lli
                                        ; -- End function
	.set _ZN12_GLOBAL__N_127rocblas_gemm_batched_kernelIfLi16ELi16ELi64ELi64ELi4ELi64ELi4ELi4ELi64ELc67ELc67EKPK16rocblas_bfloat16S4_KPS1_EEvlllT_PT11_llS9_llS7_PT12_llPT13_lli.num_vgpr, 74
	.set _ZN12_GLOBAL__N_127rocblas_gemm_batched_kernelIfLi16ELi16ELi64ELi64ELi4ELi64ELi4ELi4ELi64ELc67ELc67EKPK16rocblas_bfloat16S4_KPS1_EEvlllT_PT11_llS9_llS7_PT12_llPT13_lli.num_agpr, 0
	.set _ZN12_GLOBAL__N_127rocblas_gemm_batched_kernelIfLi16ELi16ELi64ELi64ELi4ELi64ELi4ELi4ELi64ELc67ELc67EKPK16rocblas_bfloat16S4_KPS1_EEvlllT_PT11_llS9_llS7_PT12_llPT13_lli.numbered_sgpr, 38
	.set _ZN12_GLOBAL__N_127rocblas_gemm_batched_kernelIfLi16ELi16ELi64ELi64ELi4ELi64ELi4ELi4ELi64ELc67ELc67EKPK16rocblas_bfloat16S4_KPS1_EEvlllT_PT11_llS9_llS7_PT12_llPT13_lli.num_named_barrier, 0
	.set _ZN12_GLOBAL__N_127rocblas_gemm_batched_kernelIfLi16ELi16ELi64ELi64ELi4ELi64ELi4ELi4ELi64ELc67ELc67EKPK16rocblas_bfloat16S4_KPS1_EEvlllT_PT11_llS9_llS7_PT12_llPT13_lli.private_seg_size, 0
	.set _ZN12_GLOBAL__N_127rocblas_gemm_batched_kernelIfLi16ELi16ELi64ELi64ELi4ELi64ELi4ELi4ELi64ELc67ELc67EKPK16rocblas_bfloat16S4_KPS1_EEvlllT_PT11_llS9_llS7_PT12_llPT13_lli.uses_vcc, 1
	.set _ZN12_GLOBAL__N_127rocblas_gemm_batched_kernelIfLi16ELi16ELi64ELi64ELi4ELi64ELi4ELi4ELi64ELc67ELc67EKPK16rocblas_bfloat16S4_KPS1_EEvlllT_PT11_llS9_llS7_PT12_llPT13_lli.uses_flat_scratch, 0
	.set _ZN12_GLOBAL__N_127rocblas_gemm_batched_kernelIfLi16ELi16ELi64ELi64ELi4ELi64ELi4ELi4ELi64ELc67ELc67EKPK16rocblas_bfloat16S4_KPS1_EEvlllT_PT11_llS9_llS7_PT12_llPT13_lli.has_dyn_sized_stack, 0
	.set _ZN12_GLOBAL__N_127rocblas_gemm_batched_kernelIfLi16ELi16ELi64ELi64ELi4ELi64ELi4ELi4ELi64ELc67ELc67EKPK16rocblas_bfloat16S4_KPS1_EEvlllT_PT11_llS9_llS7_PT12_llPT13_lli.has_recursion, 0
	.set _ZN12_GLOBAL__N_127rocblas_gemm_batched_kernelIfLi16ELi16ELi64ELi64ELi4ELi64ELi4ELi4ELi64ELc67ELc67EKPK16rocblas_bfloat16S4_KPS1_EEvlllT_PT11_llS9_llS7_PT12_llPT13_lli.has_indirect_call, 0
	.section	.AMDGPU.csdata,"",@progbits
; Kernel info:
; codeLenInByte = 7004
; TotalNumSgprs: 40
; NumVgprs: 74
; ScratchSize: 0
; MemoryBound: 0
; FloatMode: 240
; IeeeMode: 1
; LDSByteSize: 2048 bytes/workgroup (compile time only)
; SGPRBlocks: 0
; VGPRBlocks: 4
; NumSGPRsForWavesPerEU: 40
; NumVGPRsForWavesPerEU: 74
; NamedBarCnt: 0
; Occupancy: 12
; WaveLimiterHint : 1
; COMPUTE_PGM_RSRC2:SCRATCH_EN: 0
; COMPUTE_PGM_RSRC2:USER_SGPR: 2
; COMPUTE_PGM_RSRC2:TRAP_HANDLER: 0
; COMPUTE_PGM_RSRC2:TGID_X_EN: 1
; COMPUTE_PGM_RSRC2:TGID_Y_EN: 1
; COMPUTE_PGM_RSRC2:TGID_Z_EN: 1
; COMPUTE_PGM_RSRC2:TIDIG_COMP_CNT: 1
	.section	.text._ZN12_GLOBAL__N_127rocblas_gemm_batched_kernelIfLi16ELi16ELi64ELi64ELi4ELi64ELi4ELi4ELi64ELc67ELc78EKPK16rocblas_bfloat16S4_KPS1_EEvlllT_PT11_llS9_llS7_PT12_llPT13_lli,"axG",@progbits,_ZN12_GLOBAL__N_127rocblas_gemm_batched_kernelIfLi16ELi16ELi64ELi64ELi4ELi64ELi4ELi4ELi64ELc67ELc78EKPK16rocblas_bfloat16S4_KPS1_EEvlllT_PT11_llS9_llS7_PT12_llPT13_lli,comdat
	.globl	_ZN12_GLOBAL__N_127rocblas_gemm_batched_kernelIfLi16ELi16ELi64ELi64ELi4ELi64ELi4ELi4ELi64ELc67ELc78EKPK16rocblas_bfloat16S4_KPS1_EEvlllT_PT11_llS9_llS7_PT12_llPT13_lli ; -- Begin function _ZN12_GLOBAL__N_127rocblas_gemm_batched_kernelIfLi16ELi16ELi64ELi64ELi4ELi64ELi4ELi4ELi64ELc67ELc78EKPK16rocblas_bfloat16S4_KPS1_EEvlllT_PT11_llS9_llS7_PT12_llPT13_lli
	.p2align	8
	.type	_ZN12_GLOBAL__N_127rocblas_gemm_batched_kernelIfLi16ELi16ELi64ELi64ELi4ELi64ELi4ELi4ELi64ELc67ELc78EKPK16rocblas_bfloat16S4_KPS1_EEvlllT_PT11_llS9_llS7_PT12_llPT13_lli,@function
_ZN12_GLOBAL__N_127rocblas_gemm_batched_kernelIfLi16ELi16ELi64ELi64ELi4ELi64ELi4ELi4ELi64ELc67ELc78EKPK16rocblas_bfloat16S4_KPS1_EEvlllT_PT11_llS9_llS7_PT12_llPT13_lli: ; @_ZN12_GLOBAL__N_127rocblas_gemm_batched_kernelIfLi16ELi16ELi64ELi64ELi4ELi64ELi4ELi4ELi64ELc67ELc78EKPK16rocblas_bfloat16S4_KPS1_EEvlllT_PT11_llS9_llS7_PT12_llPT13_lli
; %bb.0:
	s_load_b32 s3, s[0:1], 0x88
	s_bfe_u32 s2, ttmp6, 0x40014
	s_lshr_b32 s4, ttmp7, 16
	s_add_co_i32 s2, s2, 1
	s_bfe_u32 s6, ttmp6, 0x40008
	s_mul_i32 s5, s4, s2
	s_getreg_b32 s2, hwreg(HW_REG_IB_STS2, 6, 4)
	s_add_co_i32 s6, s6, s5
	s_cmp_eq_u32 s2, 0
	s_mov_b32 s29, 0
	s_cselect_b32 s28, s4, s6
	s_wait_kmcnt 0x0
	s_cmp_ge_i32 s28, s3
	s_cbranch_scc1 .LBB145_202
; %bb.1:
	v_bfe_u32 v2, v0, 10, 10
	v_and_b32_e32 v8, 0x3ff, v0
	s_bfe_u32 s13, ttmp6, 0x4000c
	s_bfe_u32 s15, ttmp6, 0x40010
	s_clause 0x2
	s_load_b256 s[4:11], s[0:1], 0x20
	s_load_b128 s[20:23], s[0:1], 0x40
	s_load_b32 s30, s[0:1], 0x50
	v_dual_mov_b32 v3, 0 :: v_dual_lshlrev_b32 v16, 4, v2
	s_and_b32 s14, ttmp7, 0xffff
	s_add_co_i32 s13, s13, 1
	s_add_co_i32 s15, s15, 1
	s_delay_alu instid0(VALU_DEP_1)
	v_dual_add_nc_u32 v1, v16, v8 :: v_dual_mov_b32 v11, v3
	s_and_b32 s12, ttmp6, 15
	s_mul_i32 s13, ttmp9, s13
	s_mul_i32 s15, s14, s15
	s_bfe_u32 s16, ttmp6, 0x40004
	s_add_co_i32 s12, s12, s13
	s_add_co_i32 s16, s16, s15
	s_cmp_eq_u32 s2, 0
	v_dual_lshrrev_b32 v10, 2, v1 :: v_dual_bitop2_b32 v17, 63, v1 bitop3:0x40
	s_cselect_b32 s2, s14, s16
	s_cselect_b32 s12, ttmp9, s12
	s_lshl_b32 s34, s2, 6
	s_mov_b32 s35, s29
	s_ashr_i32 s13, s12, 31
	v_add_nc_u64_e32 v[4:5], s[34:35], v[10:11]
	s_load_b128 s[24:27], s[0:1], 0x78
	s_lshl_b64 s[36:37], s[12:13], 6
	s_load_b256 s[12:19], s[0:1], 0x58
	v_dual_mov_b32 v7, s37 :: v_dual_bitop2_b32 v6, s36, v17 bitop3:0x54
	v_dual_mov_b32 v9, v3 :: v_dual_bitop2_b32 v0, 3, v0 bitop3:0x40
	s_wait_kmcnt 0x0
	v_mul_u64_e32 v[12:13], s[20:21], v[4:5]
	s_load_b96 s[0:2], s[0:1], 0x10
	v_mul_u64_e32 v[14:15], s[6:7], v[6:7]
	v_add_nc_u64_e32 v[6:7], s[34:35], v[2:3]
	s_cmp_eq_f32 s30, 0
	v_dual_lshlrev_b32 v2, 2, v0 :: v_dual_lshrrev_b32 v18, 6, v1
	v_lshlrev_b32_e32 v11, 2, v17
	s_cselect_b32 s31, -1, 0
	s_lshl_b64 s[6:7], s[22:23], 1
	s_delay_alu instid0(VALU_DEP_2)
	v_lshl_or_b32 v10, v10, 4, v2
	v_lshlrev_b32_e32 v2, 1, v0
	v_lshl_or_b32 v36, v18, 8, v11
	v_mul_u64_e32 v[4:5], s[24:25], v[6:7]
	v_add_nc_u32_e32 v39, 0x400, v16
	v_mul_u64_e32 v[6:7], s[14:15], v[6:7]
	v_add_nc_u32_e32 v37, 0x400, v10
	s_lshl_b64 s[16:17], s[16:17], 1
	v_lshlrev_b32_e32 v38, 2, v8
	v_add_nc_u64_e32 v[8:9], s[36:37], v[8:9]
	s_wait_kmcnt 0x0
	v_cmp_gt_i64_e64 s22, s[0:1], 0
	v_lshl_add_u64 v[0:1], v[12:13], 1, s[6:7]
	s_lshl_b64 s[6:7], s[8:9], 1
	s_lshl_b64 s[8:9], s[14:15], 4
	v_lshl_add_u64 v[10:11], v[14:15], 1, s[6:7]
	s_lshl_b64 s[6:7], s[24:25], 4
	v_add_nc_u64_e32 v[0:1], v[0:1], v[2:3]
	v_lshlrev_b32_e32 v2, 1, v18
	s_lshl_b64 s[14:15], s[26:27], 1
	s_delay_alu instid0(VALU_DEP_1)
	v_add_nc_u64_e32 v[10:11], v[10:11], v[2:3]
	s_branch .LBB145_4
.LBB145_2:                              ;   in Loop: Header=BB145_4 Depth=1
	s_or_b32 exec_lo, exec_lo, s20
	flat_store_d16_hi_b16 v[18:19], v12 offset:96
.LBB145_3:                              ;   in Loop: Header=BB145_4 Depth=1
	s_add_co_i32 s28, s28, 0x10000
	s_delay_alu instid0(SALU_CYCLE_1)
	s_cmp_lt_i32 s28, s3
	s_cbranch_scc0 .LBB145_202
.LBB145_4:                              ; =>This Loop Header: Depth=1
                                        ;     Child Loop BB145_6 Depth 2
	s_wait_xcnt 0x0
	v_dual_mov_b32 v2, s28 :: v_dual_mov_b32 v27, 0
	v_dual_mov_b32 v26, 0 :: v_dual_mov_b32 v25, 0
	;; [unrolled: 1-line block ×3, first 2 shown]
	s_clause 0x1
	global_load_b64 v[28:29], v2, s[12:13] scale_offset
	global_load_b64 v[30:31], v2, s[18:19] scale_offset
	v_dual_mov_b32 v22, 0 :: v_dual_mov_b32 v21, 0
	s_wait_xcnt 0x2
	v_dual_mov_b32 v20, 0 :: v_dual_mov_b32 v19, 0
	v_dual_mov_b32 v18, 0 :: v_dual_mov_b32 v17, 0
	;; [unrolled: 1-line block ×4, first 2 shown]
	v_mov_b32_e32 v12, 0
	s_and_not1_b32 vcc_lo, exec_lo, s22
	s_cbranch_vccnz .LBB145_7
; %bb.5:                                ;   in Loop: Header=BB145_4 Depth=1
	s_lshl_b64 s[20:21], s[28:29], 3
	v_mov_b32_e32 v12, 0
	s_add_nc_u64 s[24:25], s[10:11], s[20:21]
	s_add_nc_u64 s[20:21], s[4:5], s[20:21]
	s_clause 0x1
	global_load_b64 v[26:27], v3, s[24:25]
	global_load_b64 v[34:35], v3, s[20:21]
	s_wait_xcnt 0x0
	s_mov_b64 s[20:21], 0
	v_dual_mov_b32 v13, v12 :: v_dual_mov_b32 v14, v12
	v_dual_mov_b32 v15, v12 :: v_dual_mov_b32 v16, v12
	;; [unrolled: 1-line block ×6, first 2 shown]
	v_mov_b32_e32 v25, v12
	s_wait_loadcnt 0x1
	v_add_nc_u64_e32 v[32:33], v[26:27], v[0:1]
	s_wait_loadcnt 0x0
	v_add_nc_u64_e32 v[34:35], v[34:35], v[10:11]
	v_dual_mov_b32 v26, v12 :: v_dual_mov_b32 v27, v12
.LBB145_6:                              ;   Parent Loop BB145_4 Depth=1
                                        ; =>  This Inner Loop Header: Depth=2
	flat_load_u16 v2, v[34:35]
	flat_load_u16 v40, v[32:33]
	s_add_nc_u64 s[20:21], s[20:21], 4
	s_wait_xcnt 0x0
	v_add_nc_u64_e32 v[32:33], 8, v[32:33]
	v_cmp_lt_i64_e64 s23, s[20:21], s[0:1]
	v_add_nc_u64_e32 v[34:35], 8, v[34:35]
	s_and_b32 vcc_lo, exec_lo, s23
	s_wait_loadcnt_dscnt 0x0
	v_dual_lshlrev_b32 v2, 16, v2 :: v_dual_lshlrev_b32 v40, 16, v40
	ds_store_b32 v36, v2
	ds_store_b32 v37, v40
	s_wait_dscnt 0x0
	s_barrier_signal -1
	s_barrier_wait -1
	ds_load_b128 v[40:43], v39
	ds_load_2addr_b32 v[56:57], v38 offset1:16
	ds_load_2addr_b32 v[58:59], v38 offset0:32 offset1:48
	ds_load_b128 v[44:47], v39 offset:256
	ds_load_b128 v[48:51], v39 offset:512
	;; [unrolled: 1-line block ×3, first 2 shown]
	ds_load_2addr_b32 v[60:61], v38 offset0:64 offset1:80
	ds_load_2addr_b32 v[62:63], v38 offset0:96 offset1:112
	;; [unrolled: 1-line block ×6, first 2 shown]
	s_wait_dscnt 0x0
	s_barrier_signal -1
	s_barrier_wait -1
	v_mov_b32_e32 v2, v43
	v_pk_fma_f32 v[26:27], v[56:57], v[40:41], v[26:27] op_sel_hi:[1,0,1]
	v_pk_fma_f32 v[24:25], v[58:59], v[40:41], v[24:25] op_sel_hi:[1,0,1]
	;; [unrolled: 1-line block ×8, first 2 shown]
	v_pk_fma_f32 v[26:27], v[60:61], v[40:41], v[26:27] op_sel:[0,1,0]
	v_pk_fma_f32 v[24:25], v[62:63], v[40:41], v[24:25] op_sel:[0,1,0]
	;; [unrolled: 1-line block ×8, first 2 shown]
	v_dual_mov_b32 v56, v47 :: v_dual_mov_b32 v58, v51
	v_mov_b32_e32 v72, v55
	v_pk_fma_f32 v[26:27], v[64:65], v[42:43], v[26:27] op_sel_hi:[1,0,1]
	v_pk_fma_f32 v[24:25], v[66:67], v[42:43], v[24:25] op_sel_hi:[1,0,1]
	;; [unrolled: 1-line block ×16, first 2 shown]
	s_cbranch_vccnz .LBB145_6
.LBB145_7:                              ;   in Loop: Header=BB145_4 Depth=1
	s_wait_loadcnt 0x0
	v_add_nc_u64_e32 v[30:31], s[14:15], v[30:31]
	s_and_not1_b32 vcc_lo, exec_lo, s31
	s_cbranch_vccnz .LBB145_73
; %bb.8:                                ;   in Loop: Header=BB145_4 Depth=1
	v_mul_f32_e32 v32, s2, v26
	s_wait_xcnt 0x0
	s_delay_alu instid0(VALU_DEP_1) | instskip(NEXT) | instid1(VALU_DEP_1)
	v_and_b32_e32 v2, 0x7f800000, v32
	v_cmp_ne_u32_e32 vcc_lo, 0x7f800000, v2
                                        ; implicit-def: $vgpr2
	s_and_saveexec_b32 s20, vcc_lo
	s_delay_alu instid0(SALU_CYCLE_1)
	s_xor_b32 s20, exec_lo, s20
; %bb.9:                                ;   in Loop: Header=BB145_4 Depth=1
	v_bfe_u32 v2, v32, 16, 1
	s_delay_alu instid0(VALU_DEP_1)
	v_add3_u32 v2, v32, v2, 0x7fff
                                        ; implicit-def: $vgpr32
; %bb.10:                               ;   in Loop: Header=BB145_4 Depth=1
	s_and_not1_saveexec_b32 s20, s20
; %bb.11:                               ;   in Loop: Header=BB145_4 Depth=1
	v_and_b32_e32 v2, 0xffff, v32
	v_or_b32_e32 v33, 0x10000, v32
	s_delay_alu instid0(VALU_DEP_2) | instskip(NEXT) | instid1(VALU_DEP_2)
	v_cmp_eq_u32_e32 vcc_lo, 0, v2
	v_cndmask_b32_e32 v2, v33, v32, vcc_lo
; %bb.12:                               ;   in Loop: Header=BB145_4 Depth=1
	s_or_b32 exec_lo, exec_lo, s20
	v_mul_f32_e32 v40, s2, v27
	v_lshl_add_u64 v[32:33], v[4:5], 1, v[30:31]
	s_delay_alu instid0(VALU_DEP_2) | instskip(NEXT) | instid1(VALU_DEP_2)
	v_and_b32_e32 v41, 0x7f800000, v40
	v_lshl_add_u64 v[34:35], v[8:9], 1, v[32:33]
	s_delay_alu instid0(VALU_DEP_2) | instskip(SKIP_3) | instid1(SALU_CYCLE_1)
	v_cmp_ne_u32_e32 vcc_lo, 0x7f800000, v41
	flat_store_d16_hi_b16 v[34:35], v2
                                        ; implicit-def: $vgpr41
	s_wait_xcnt 0x0
	s_and_saveexec_b32 s20, vcc_lo
	s_xor_b32 s20, exec_lo, s20
; %bb.13:                               ;   in Loop: Header=BB145_4 Depth=1
	v_bfe_u32 v2, v40, 16, 1
	s_delay_alu instid0(VALU_DEP_1)
	v_add3_u32 v41, v40, v2, 0x7fff
                                        ; implicit-def: $vgpr40
; %bb.14:                               ;   in Loop: Header=BB145_4 Depth=1
	s_and_not1_saveexec_b32 s20, s20
; %bb.15:                               ;   in Loop: Header=BB145_4 Depth=1
	v_and_b32_e32 v2, 0xffff, v40
	v_or_b32_e32 v41, 0x10000, v40
	s_delay_alu instid0(VALU_DEP_2) | instskip(NEXT) | instid1(VALU_DEP_2)
	v_cmp_eq_u32_e32 vcc_lo, 0, v2
	v_cndmask_b32_e32 v41, v41, v40, vcc_lo
; %bb.16:                               ;   in Loop: Header=BB145_4 Depth=1
	s_or_b32 exec_lo, exec_lo, s20
	v_mul_f32_e32 v2, s2, v24
	flat_store_d16_hi_b16 v[34:35], v41 offset:32
	v_and_b32_e32 v40, 0x7f800000, v2
	s_delay_alu instid0(VALU_DEP_1) | instskip(SKIP_2) | instid1(SALU_CYCLE_1)
	v_cmp_ne_u32_e32 vcc_lo, 0x7f800000, v40
                                        ; implicit-def: $vgpr40
	s_wait_xcnt 0x0
	s_and_saveexec_b32 s20, vcc_lo
	s_xor_b32 s20, exec_lo, s20
; %bb.17:                               ;   in Loop: Header=BB145_4 Depth=1
	v_bfe_u32 v40, v2, 16, 1
	s_delay_alu instid0(VALU_DEP_1)
	v_add3_u32 v40, v2, v40, 0x7fff
                                        ; implicit-def: $vgpr2
; %bb.18:                               ;   in Loop: Header=BB145_4 Depth=1
	s_and_not1_saveexec_b32 s20, s20
; %bb.19:                               ;   in Loop: Header=BB145_4 Depth=1
	v_and_b32_e32 v40, 0xffff, v2
	v_or_b32_e32 v41, 0x10000, v2
	s_delay_alu instid0(VALU_DEP_2) | instskip(NEXT) | instid1(VALU_DEP_2)
	v_cmp_eq_u32_e32 vcc_lo, 0, v40
	v_cndmask_b32_e32 v40, v41, v2, vcc_lo
; %bb.20:                               ;   in Loop: Header=BB145_4 Depth=1
	s_or_b32 exec_lo, exec_lo, s20
	v_mul_f32_e32 v2, s2, v25
	flat_store_d16_hi_b16 v[34:35], v40 offset:64
	v_and_b32_e32 v41, 0x7f800000, v2
	s_delay_alu instid0(VALU_DEP_1) | instskip(SKIP_2) | instid1(SALU_CYCLE_1)
	v_cmp_ne_u32_e32 vcc_lo, 0x7f800000, v41
                                        ; implicit-def: $vgpr41
	s_wait_xcnt 0x0
	s_and_saveexec_b32 s20, vcc_lo
	s_xor_b32 s20, exec_lo, s20
; %bb.21:                               ;   in Loop: Header=BB145_4 Depth=1
	v_bfe_u32 v40, v2, 16, 1
	s_delay_alu instid0(VALU_DEP_1)
	v_add3_u32 v41, v2, v40, 0x7fff
                                        ; implicit-def: $vgpr2
; %bb.22:                               ;   in Loop: Header=BB145_4 Depth=1
	s_and_not1_saveexec_b32 s20, s20
; %bb.23:                               ;   in Loop: Header=BB145_4 Depth=1
	v_and_b32_e32 v40, 0xffff, v2
	v_or_b32_e32 v41, 0x10000, v2
	s_delay_alu instid0(VALU_DEP_2) | instskip(NEXT) | instid1(VALU_DEP_2)
	v_cmp_eq_u32_e32 vcc_lo, 0, v40
	v_cndmask_b32_e32 v41, v41, v2, vcc_lo
; %bb.24:                               ;   in Loop: Header=BB145_4 Depth=1
	s_or_b32 exec_lo, exec_lo, s20
	v_mul_f32_e32 v40, s2, v22
	flat_store_d16_hi_b16 v[34:35], v41 offset:96
	v_and_b32_e32 v2, 0x7f800000, v40
	s_delay_alu instid0(VALU_DEP_1) | instskip(SKIP_2) | instid1(SALU_CYCLE_1)
	v_cmp_ne_u32_e32 vcc_lo, 0x7f800000, v2
                                        ; implicit-def: $vgpr2
	s_wait_xcnt 0x0
	s_and_saveexec_b32 s20, vcc_lo
	s_xor_b32 s20, exec_lo, s20
; %bb.25:                               ;   in Loop: Header=BB145_4 Depth=1
	v_bfe_u32 v2, v40, 16, 1
	s_delay_alu instid0(VALU_DEP_1)
	v_add3_u32 v2, v40, v2, 0x7fff
                                        ; implicit-def: $vgpr40
; %bb.26:                               ;   in Loop: Header=BB145_4 Depth=1
	s_and_not1_saveexec_b32 s20, s20
; %bb.27:                               ;   in Loop: Header=BB145_4 Depth=1
	v_and_b32_e32 v2, 0xffff, v40
	v_or_b32_e32 v34, 0x10000, v40
	s_delay_alu instid0(VALU_DEP_2) | instskip(NEXT) | instid1(VALU_DEP_2)
	v_cmp_eq_u32_e32 vcc_lo, 0, v2
	v_cndmask_b32_e32 v2, v34, v40, vcc_lo
; %bb.28:                               ;   in Loop: Header=BB145_4 Depth=1
	s_or_b32 exec_lo, exec_lo, s20
	v_mul_f32_e32 v40, s2, v23
	v_lshl_add_u64 v[32:33], s[6:7], 1, v[32:33]
	s_delay_alu instid0(VALU_DEP_2) | instskip(NEXT) | instid1(VALU_DEP_2)
	v_and_b32_e32 v41, 0x7f800000, v40
	v_lshl_add_u64 v[34:35], v[8:9], 1, v[32:33]
	s_delay_alu instid0(VALU_DEP_2) | instskip(SKIP_3) | instid1(SALU_CYCLE_1)
	v_cmp_ne_u32_e32 vcc_lo, 0x7f800000, v41
	flat_store_d16_hi_b16 v[34:35], v2
                                        ; implicit-def: $vgpr41
	s_wait_xcnt 0x0
	s_and_saveexec_b32 s20, vcc_lo
	s_xor_b32 s20, exec_lo, s20
; %bb.29:                               ;   in Loop: Header=BB145_4 Depth=1
	v_bfe_u32 v2, v40, 16, 1
	s_delay_alu instid0(VALU_DEP_1)
	v_add3_u32 v41, v40, v2, 0x7fff
                                        ; implicit-def: $vgpr40
; %bb.30:                               ;   in Loop: Header=BB145_4 Depth=1
	s_and_not1_saveexec_b32 s20, s20
; %bb.31:                               ;   in Loop: Header=BB145_4 Depth=1
	v_and_b32_e32 v2, 0xffff, v40
	v_or_b32_e32 v41, 0x10000, v40
	s_delay_alu instid0(VALU_DEP_2) | instskip(NEXT) | instid1(VALU_DEP_2)
	v_cmp_eq_u32_e32 vcc_lo, 0, v2
	v_cndmask_b32_e32 v41, v41, v40, vcc_lo
; %bb.32:                               ;   in Loop: Header=BB145_4 Depth=1
	s_or_b32 exec_lo, exec_lo, s20
	v_mul_f32_e32 v2, s2, v20
	flat_store_d16_hi_b16 v[34:35], v41 offset:32
	v_and_b32_e32 v40, 0x7f800000, v2
	s_delay_alu instid0(VALU_DEP_1) | instskip(SKIP_2) | instid1(SALU_CYCLE_1)
	v_cmp_ne_u32_e32 vcc_lo, 0x7f800000, v40
                                        ; implicit-def: $vgpr40
	s_wait_xcnt 0x0
	s_and_saveexec_b32 s20, vcc_lo
	s_xor_b32 s20, exec_lo, s20
; %bb.33:                               ;   in Loop: Header=BB145_4 Depth=1
	v_bfe_u32 v40, v2, 16, 1
	s_delay_alu instid0(VALU_DEP_1)
	v_add3_u32 v40, v2, v40, 0x7fff
                                        ; implicit-def: $vgpr2
; %bb.34:                               ;   in Loop: Header=BB145_4 Depth=1
	s_and_not1_saveexec_b32 s20, s20
; %bb.35:                               ;   in Loop: Header=BB145_4 Depth=1
	v_and_b32_e32 v40, 0xffff, v2
	v_or_b32_e32 v41, 0x10000, v2
	s_delay_alu instid0(VALU_DEP_2) | instskip(NEXT) | instid1(VALU_DEP_2)
	v_cmp_eq_u32_e32 vcc_lo, 0, v40
	v_cndmask_b32_e32 v40, v41, v2, vcc_lo
; %bb.36:                               ;   in Loop: Header=BB145_4 Depth=1
	s_or_b32 exec_lo, exec_lo, s20
	v_mul_f32_e32 v2, s2, v21
	flat_store_d16_hi_b16 v[34:35], v40 offset:64
	v_and_b32_e32 v41, 0x7f800000, v2
	s_delay_alu instid0(VALU_DEP_1) | instskip(SKIP_2) | instid1(SALU_CYCLE_1)
	v_cmp_ne_u32_e32 vcc_lo, 0x7f800000, v41
                                        ; implicit-def: $vgpr41
	s_wait_xcnt 0x0
	s_and_saveexec_b32 s20, vcc_lo
	s_xor_b32 s20, exec_lo, s20
; %bb.37:                               ;   in Loop: Header=BB145_4 Depth=1
	v_bfe_u32 v40, v2, 16, 1
	s_delay_alu instid0(VALU_DEP_1)
	v_add3_u32 v41, v2, v40, 0x7fff
                                        ; implicit-def: $vgpr2
; %bb.38:                               ;   in Loop: Header=BB145_4 Depth=1
	s_and_not1_saveexec_b32 s20, s20
; %bb.39:                               ;   in Loop: Header=BB145_4 Depth=1
	v_and_b32_e32 v40, 0xffff, v2
	v_or_b32_e32 v41, 0x10000, v2
	s_delay_alu instid0(VALU_DEP_2) | instskip(NEXT) | instid1(VALU_DEP_2)
	v_cmp_eq_u32_e32 vcc_lo, 0, v40
	v_cndmask_b32_e32 v41, v41, v2, vcc_lo
; %bb.40:                               ;   in Loop: Header=BB145_4 Depth=1
	s_or_b32 exec_lo, exec_lo, s20
	v_mul_f32_e32 v40, s2, v18
	flat_store_d16_hi_b16 v[34:35], v41 offset:96
	v_and_b32_e32 v2, 0x7f800000, v40
	s_delay_alu instid0(VALU_DEP_1) | instskip(SKIP_2) | instid1(SALU_CYCLE_1)
	v_cmp_ne_u32_e32 vcc_lo, 0x7f800000, v2
                                        ; implicit-def: $vgpr2
	s_wait_xcnt 0x0
	s_and_saveexec_b32 s20, vcc_lo
	s_xor_b32 s20, exec_lo, s20
; %bb.41:                               ;   in Loop: Header=BB145_4 Depth=1
	v_bfe_u32 v2, v40, 16, 1
	s_delay_alu instid0(VALU_DEP_1)
	v_add3_u32 v2, v40, v2, 0x7fff
                                        ; implicit-def: $vgpr40
; %bb.42:                               ;   in Loop: Header=BB145_4 Depth=1
	s_and_not1_saveexec_b32 s20, s20
; %bb.43:                               ;   in Loop: Header=BB145_4 Depth=1
	v_and_b32_e32 v2, 0xffff, v40
	v_or_b32_e32 v34, 0x10000, v40
	s_delay_alu instid0(VALU_DEP_2) | instskip(NEXT) | instid1(VALU_DEP_2)
	v_cmp_eq_u32_e32 vcc_lo, 0, v2
	v_cndmask_b32_e32 v2, v34, v40, vcc_lo
; %bb.44:                               ;   in Loop: Header=BB145_4 Depth=1
	s_or_b32 exec_lo, exec_lo, s20
	v_mul_f32_e32 v40, s2, v19
	v_lshl_add_u64 v[32:33], s[6:7], 1, v[32:33]
	s_delay_alu instid0(VALU_DEP_2) | instskip(NEXT) | instid1(VALU_DEP_2)
	v_and_b32_e32 v41, 0x7f800000, v40
	v_lshl_add_u64 v[34:35], v[8:9], 1, v[32:33]
	s_delay_alu instid0(VALU_DEP_2) | instskip(SKIP_3) | instid1(SALU_CYCLE_1)
	v_cmp_ne_u32_e32 vcc_lo, 0x7f800000, v41
	flat_store_d16_hi_b16 v[34:35], v2
                                        ; implicit-def: $vgpr41
	s_wait_xcnt 0x0
	s_and_saveexec_b32 s20, vcc_lo
	s_xor_b32 s20, exec_lo, s20
; %bb.45:                               ;   in Loop: Header=BB145_4 Depth=1
	v_bfe_u32 v2, v40, 16, 1
	s_delay_alu instid0(VALU_DEP_1)
	v_add3_u32 v41, v40, v2, 0x7fff
                                        ; implicit-def: $vgpr40
; %bb.46:                               ;   in Loop: Header=BB145_4 Depth=1
	s_and_not1_saveexec_b32 s20, s20
; %bb.47:                               ;   in Loop: Header=BB145_4 Depth=1
	v_and_b32_e32 v2, 0xffff, v40
	v_or_b32_e32 v41, 0x10000, v40
	s_delay_alu instid0(VALU_DEP_2) | instskip(NEXT) | instid1(VALU_DEP_2)
	v_cmp_eq_u32_e32 vcc_lo, 0, v2
	v_cndmask_b32_e32 v41, v41, v40, vcc_lo
; %bb.48:                               ;   in Loop: Header=BB145_4 Depth=1
	s_or_b32 exec_lo, exec_lo, s20
	v_mul_f32_e32 v2, s2, v16
	flat_store_d16_hi_b16 v[34:35], v41 offset:32
	v_and_b32_e32 v40, 0x7f800000, v2
	s_delay_alu instid0(VALU_DEP_1) | instskip(SKIP_2) | instid1(SALU_CYCLE_1)
	v_cmp_ne_u32_e32 vcc_lo, 0x7f800000, v40
                                        ; implicit-def: $vgpr40
	s_wait_xcnt 0x0
	s_and_saveexec_b32 s20, vcc_lo
	s_xor_b32 s20, exec_lo, s20
; %bb.49:                               ;   in Loop: Header=BB145_4 Depth=1
	v_bfe_u32 v40, v2, 16, 1
	s_delay_alu instid0(VALU_DEP_1)
	v_add3_u32 v40, v2, v40, 0x7fff
                                        ; implicit-def: $vgpr2
; %bb.50:                               ;   in Loop: Header=BB145_4 Depth=1
	s_and_not1_saveexec_b32 s20, s20
; %bb.51:                               ;   in Loop: Header=BB145_4 Depth=1
	v_and_b32_e32 v40, 0xffff, v2
	v_or_b32_e32 v41, 0x10000, v2
	s_delay_alu instid0(VALU_DEP_2) | instskip(NEXT) | instid1(VALU_DEP_2)
	v_cmp_eq_u32_e32 vcc_lo, 0, v40
	v_cndmask_b32_e32 v40, v41, v2, vcc_lo
; %bb.52:                               ;   in Loop: Header=BB145_4 Depth=1
	s_or_b32 exec_lo, exec_lo, s20
	v_mul_f32_e32 v2, s2, v17
	flat_store_d16_hi_b16 v[34:35], v40 offset:64
	v_and_b32_e32 v41, 0x7f800000, v2
	s_delay_alu instid0(VALU_DEP_1) | instskip(SKIP_2) | instid1(SALU_CYCLE_1)
	v_cmp_ne_u32_e32 vcc_lo, 0x7f800000, v41
                                        ; implicit-def: $vgpr41
	s_wait_xcnt 0x0
	s_and_saveexec_b32 s20, vcc_lo
	s_xor_b32 s20, exec_lo, s20
; %bb.53:                               ;   in Loop: Header=BB145_4 Depth=1
	v_bfe_u32 v40, v2, 16, 1
	s_delay_alu instid0(VALU_DEP_1)
	v_add3_u32 v41, v2, v40, 0x7fff
                                        ; implicit-def: $vgpr2
; %bb.54:                               ;   in Loop: Header=BB145_4 Depth=1
	s_and_not1_saveexec_b32 s20, s20
; %bb.55:                               ;   in Loop: Header=BB145_4 Depth=1
	v_and_b32_e32 v40, 0xffff, v2
	v_or_b32_e32 v41, 0x10000, v2
	s_delay_alu instid0(VALU_DEP_2) | instskip(NEXT) | instid1(VALU_DEP_2)
	v_cmp_eq_u32_e32 vcc_lo, 0, v40
	v_cndmask_b32_e32 v41, v41, v2, vcc_lo
; %bb.56:                               ;   in Loop: Header=BB145_4 Depth=1
	s_or_b32 exec_lo, exec_lo, s20
	v_mul_f32_e32 v40, s2, v14
	flat_store_d16_hi_b16 v[34:35], v41 offset:96
	v_and_b32_e32 v2, 0x7f800000, v40
	s_delay_alu instid0(VALU_DEP_1) | instskip(SKIP_2) | instid1(SALU_CYCLE_1)
	v_cmp_ne_u32_e32 vcc_lo, 0x7f800000, v2
                                        ; implicit-def: $vgpr2
	s_wait_xcnt 0x0
	s_and_saveexec_b32 s20, vcc_lo
	s_xor_b32 s20, exec_lo, s20
; %bb.57:                               ;   in Loop: Header=BB145_4 Depth=1
	v_bfe_u32 v2, v40, 16, 1
	s_delay_alu instid0(VALU_DEP_1)
	v_add3_u32 v2, v40, v2, 0x7fff
                                        ; implicit-def: $vgpr40
; %bb.58:                               ;   in Loop: Header=BB145_4 Depth=1
	s_and_not1_saveexec_b32 s20, s20
; %bb.59:                               ;   in Loop: Header=BB145_4 Depth=1
	v_and_b32_e32 v2, 0xffff, v40
	v_or_b32_e32 v34, 0x10000, v40
	s_delay_alu instid0(VALU_DEP_2) | instskip(NEXT) | instid1(VALU_DEP_2)
	v_cmp_eq_u32_e32 vcc_lo, 0, v2
	v_cndmask_b32_e32 v2, v34, v40, vcc_lo
; %bb.60:                               ;   in Loop: Header=BB145_4 Depth=1
	s_or_b32 exec_lo, exec_lo, s20
	v_mul_f32_e32 v34, s2, v15
	v_lshl_add_u64 v[32:33], s[6:7], 1, v[32:33]
	s_delay_alu instid0(VALU_DEP_2) | instskip(NEXT) | instid1(VALU_DEP_2)
	v_and_b32_e32 v35, 0x7f800000, v34
	v_lshl_add_u64 v[32:33], v[8:9], 1, v[32:33]
	s_delay_alu instid0(VALU_DEP_2) | instskip(SKIP_3) | instid1(SALU_CYCLE_1)
	v_cmp_ne_u32_e32 vcc_lo, 0x7f800000, v35
	flat_store_d16_hi_b16 v[32:33], v2
                                        ; implicit-def: $vgpr35
	s_wait_xcnt 0x0
	s_and_saveexec_b32 s20, vcc_lo
	s_xor_b32 s20, exec_lo, s20
; %bb.61:                               ;   in Loop: Header=BB145_4 Depth=1
	v_bfe_u32 v2, v34, 16, 1
	s_delay_alu instid0(VALU_DEP_1)
	v_add3_u32 v35, v34, v2, 0x7fff
                                        ; implicit-def: $vgpr34
; %bb.62:                               ;   in Loop: Header=BB145_4 Depth=1
	s_and_not1_saveexec_b32 s20, s20
; %bb.63:                               ;   in Loop: Header=BB145_4 Depth=1
	v_and_b32_e32 v2, 0xffff, v34
	v_or_b32_e32 v35, 0x10000, v34
	s_delay_alu instid0(VALU_DEP_2) | instskip(NEXT) | instid1(VALU_DEP_2)
	v_cmp_eq_u32_e32 vcc_lo, 0, v2
	v_cndmask_b32_e32 v35, v35, v34, vcc_lo
; %bb.64:                               ;   in Loop: Header=BB145_4 Depth=1
	s_or_b32 exec_lo, exec_lo, s20
	v_mul_f32_e32 v2, s2, v12
	flat_store_d16_hi_b16 v[32:33], v35 offset:32
	v_and_b32_e32 v34, 0x7f800000, v2
	s_delay_alu instid0(VALU_DEP_1) | instskip(SKIP_2) | instid1(SALU_CYCLE_1)
	v_cmp_ne_u32_e32 vcc_lo, 0x7f800000, v34
                                        ; implicit-def: $vgpr34
	s_wait_xcnt 0x0
	s_and_saveexec_b32 s20, vcc_lo
	s_xor_b32 s20, exec_lo, s20
; %bb.65:                               ;   in Loop: Header=BB145_4 Depth=1
	v_bfe_u32 v34, v2, 16, 1
	s_delay_alu instid0(VALU_DEP_1)
	v_add3_u32 v34, v2, v34, 0x7fff
                                        ; implicit-def: $vgpr2
; %bb.66:                               ;   in Loop: Header=BB145_4 Depth=1
	s_and_not1_saveexec_b32 s20, s20
; %bb.67:                               ;   in Loop: Header=BB145_4 Depth=1
	v_and_b32_e32 v34, 0xffff, v2
	v_or_b32_e32 v35, 0x10000, v2
	s_delay_alu instid0(VALU_DEP_2) | instskip(NEXT) | instid1(VALU_DEP_2)
	v_cmp_eq_u32_e32 vcc_lo, 0, v34
	v_cndmask_b32_e32 v34, v35, v2, vcc_lo
; %bb.68:                               ;   in Loop: Header=BB145_4 Depth=1
	s_or_b32 exec_lo, exec_lo, s20
	v_mul_f32_e32 v2, s2, v13
	s_mov_b32 s20, exec_lo
	flat_store_d16_hi_b16 v[32:33], v34 offset:64
                                        ; implicit-def: $vgpr34
	v_and_b32_e32 v35, 0x7f800000, v2
	s_wait_xcnt 0x0
	s_delay_alu instid0(VALU_DEP_1)
	v_cmpx_ne_u32_e32 0x7f800000, v35
	s_xor_b32 s20, exec_lo, s20
; %bb.69:                               ;   in Loop: Header=BB145_4 Depth=1
	v_bfe_u32 v34, v2, 16, 1
	s_delay_alu instid0(VALU_DEP_1)
	v_add3_u32 v34, v2, v34, 0x7fff
                                        ; implicit-def: $vgpr2
; %bb.70:                               ;   in Loop: Header=BB145_4 Depth=1
	s_and_not1_saveexec_b32 s20, s20
; %bb.71:                               ;   in Loop: Header=BB145_4 Depth=1
	v_and_b32_e32 v34, 0xffff, v2
	v_or_b32_e32 v35, 0x10000, v2
	s_delay_alu instid0(VALU_DEP_2) | instskip(NEXT) | instid1(VALU_DEP_2)
	v_cmp_eq_u32_e32 vcc_lo, 0, v34
	v_cndmask_b32_e32 v34, v35, v2, vcc_lo
; %bb.72:                               ;   in Loop: Header=BB145_4 Depth=1
	s_or_b32 exec_lo, exec_lo, s20
	flat_store_d16_hi_b16 v[32:33], v34 offset:96
	s_branch .LBB145_3
.LBB145_73:                             ;   in Loop: Header=BB145_4 Depth=1
	s_cbranch_execz .LBB145_3
; %bb.74:                               ;   in Loop: Header=BB145_4 Depth=1
	v_add_nc_u64_e32 v[28:29], s[16:17], v[28:29]
	s_delay_alu instid0(VALU_DEP_1) | instskip(SKIP_1) | instid1(VALU_DEP_1)
	v_lshl_add_u64 v[28:29], v[6:7], 1, v[28:29]
	s_wait_xcnt 0x0
	v_lshl_add_u64 v[32:33], v[8:9], 1, v[28:29]
	flat_load_u16 v2, v[32:33]
	s_wait_loadcnt_dscnt 0x0
	v_lshlrev_b32_e32 v2, 16, v2
	s_delay_alu instid0(VALU_DEP_1) | instskip(NEXT) | instid1(VALU_DEP_1)
	v_mul_f32_e32 v2, s30, v2
	v_and_b32_e32 v34, 0x7f800000, v2
	s_delay_alu instid0(VALU_DEP_1) | instskip(SKIP_2) | instid1(SALU_CYCLE_1)
	v_cmp_ne_u32_e32 vcc_lo, 0x7f800000, v34
                                        ; implicit-def: $vgpr34
	s_wait_xcnt 0x0
	s_and_saveexec_b32 s20, vcc_lo
	s_xor_b32 s20, exec_lo, s20
; %bb.75:                               ;   in Loop: Header=BB145_4 Depth=1
	v_bfe_u32 v34, v2, 16, 1
	s_delay_alu instid0(VALU_DEP_1)
	v_add3_u32 v34, v2, v34, 0x7fff
                                        ; implicit-def: $vgpr2
; %bb.76:                               ;   in Loop: Header=BB145_4 Depth=1
	s_and_not1_saveexec_b32 s20, s20
; %bb.77:                               ;   in Loop: Header=BB145_4 Depth=1
	v_and_b32_e32 v34, 0xffff, v2
	v_or_b32_e32 v35, 0x10000, v2
	s_delay_alu instid0(VALU_DEP_2) | instskip(NEXT) | instid1(VALU_DEP_2)
	v_cmp_eq_u32_e32 vcc_lo, 0, v34
	v_cndmask_b32_e32 v34, v35, v2, vcc_lo
; %bb.78:                               ;   in Loop: Header=BB145_4 Depth=1
	s_or_b32 exec_lo, exec_lo, s20
	s_delay_alu instid0(VALU_DEP_1) | instskip(NEXT) | instid1(VALU_DEP_1)
	v_fma_mix_f32_bf16 v2, s2, v26, v34 op_sel:[0,0,1] op_sel_hi:[0,0,1]
	v_and_b32_e32 v26, 0x7f800000, v2
	s_delay_alu instid0(VALU_DEP_1) | instskip(SKIP_1) | instid1(SALU_CYCLE_1)
	v_cmp_ne_u32_e32 vcc_lo, 0x7f800000, v26
                                        ; implicit-def: $vgpr26
	s_and_saveexec_b32 s20, vcc_lo
	s_xor_b32 s20, exec_lo, s20
; %bb.79:                               ;   in Loop: Header=BB145_4 Depth=1
	v_bfe_u32 v26, v2, 16, 1
	s_delay_alu instid0(VALU_DEP_1)
	v_add3_u32 v26, v2, v26, 0x7fff
                                        ; implicit-def: $vgpr2
; %bb.80:                               ;   in Loop: Header=BB145_4 Depth=1
	s_and_not1_saveexec_b32 s20, s20
; %bb.81:                               ;   in Loop: Header=BB145_4 Depth=1
	v_and_b32_e32 v26, 0xffff, v2
	v_or_b32_e32 v34, 0x10000, v2
	s_delay_alu instid0(VALU_DEP_2) | instskip(NEXT) | instid1(VALU_DEP_2)
	v_cmp_eq_u32_e32 vcc_lo, 0, v26
	v_cndmask_b32_e32 v26, v34, v2, vcc_lo
; %bb.82:                               ;   in Loop: Header=BB145_4 Depth=1
	s_or_b32 exec_lo, exec_lo, s20
	v_lshl_add_u64 v[30:31], v[4:5], 1, v[30:31]
	s_delay_alu instid0(VALU_DEP_1) | instskip(SKIP_4) | instid1(VALU_DEP_1)
	v_lshl_add_u64 v[34:35], v[8:9], 1, v[30:31]
	flat_store_d16_hi_b16 v[34:35], v26
	flat_load_u16 v2, v[32:33] offset:32
	s_wait_loadcnt_dscnt 0x0
	v_lshlrev_b32_e32 v2, 16, v2
	v_mul_f32_e32 v2, s30, v2
	s_wait_xcnt 0x1
	s_delay_alu instid0(VALU_DEP_1) | instskip(NEXT) | instid1(VALU_DEP_1)
	v_and_b32_e32 v26, 0x7f800000, v2
	v_cmp_ne_u32_e32 vcc_lo, 0x7f800000, v26
                                        ; implicit-def: $vgpr26
	s_wait_xcnt 0x0
	s_and_saveexec_b32 s20, vcc_lo
	s_delay_alu instid0(SALU_CYCLE_1)
	s_xor_b32 s20, exec_lo, s20
; %bb.83:                               ;   in Loop: Header=BB145_4 Depth=1
	v_bfe_u32 v26, v2, 16, 1
	s_delay_alu instid0(VALU_DEP_1)
	v_add3_u32 v26, v2, v26, 0x7fff
                                        ; implicit-def: $vgpr2
; %bb.84:                               ;   in Loop: Header=BB145_4 Depth=1
	s_and_not1_saveexec_b32 s20, s20
; %bb.85:                               ;   in Loop: Header=BB145_4 Depth=1
	v_and_b32_e32 v26, 0xffff, v2
	v_or_b32_e32 v40, 0x10000, v2
	s_delay_alu instid0(VALU_DEP_2) | instskip(NEXT) | instid1(VALU_DEP_2)
	v_cmp_eq_u32_e32 vcc_lo, 0, v26
	v_cndmask_b32_e32 v26, v40, v2, vcc_lo
; %bb.86:                               ;   in Loop: Header=BB145_4 Depth=1
	s_or_b32 exec_lo, exec_lo, s20
	s_delay_alu instid0(VALU_DEP_1) | instskip(NEXT) | instid1(VALU_DEP_1)
	v_fma_mix_f32_bf16 v2, s2, v27, v26 op_sel:[0,0,1] op_sel_hi:[0,0,1]
	v_and_b32_e32 v26, 0x7f800000, v2
	s_delay_alu instid0(VALU_DEP_1) | instskip(SKIP_1) | instid1(SALU_CYCLE_1)
	v_cmp_ne_u32_e32 vcc_lo, 0x7f800000, v26
                                        ; implicit-def: $vgpr26
	s_and_saveexec_b32 s20, vcc_lo
	s_xor_b32 s20, exec_lo, s20
; %bb.87:                               ;   in Loop: Header=BB145_4 Depth=1
	v_bfe_u32 v26, v2, 16, 1
	s_delay_alu instid0(VALU_DEP_1)
	v_add3_u32 v26, v2, v26, 0x7fff
                                        ; implicit-def: $vgpr2
; %bb.88:                               ;   in Loop: Header=BB145_4 Depth=1
	s_and_not1_saveexec_b32 s20, s20
; %bb.89:                               ;   in Loop: Header=BB145_4 Depth=1
	v_and_b32_e32 v26, 0xffff, v2
	v_or_b32_e32 v27, 0x10000, v2
	s_delay_alu instid0(VALU_DEP_2) | instskip(NEXT) | instid1(VALU_DEP_2)
	v_cmp_eq_u32_e32 vcc_lo, 0, v26
	v_cndmask_b32_e32 v26, v27, v2, vcc_lo
; %bb.90:                               ;   in Loop: Header=BB145_4 Depth=1
	s_or_b32 exec_lo, exec_lo, s20
	flat_store_d16_hi_b16 v[34:35], v26 offset:32
	flat_load_u16 v2, v[32:33] offset:64
	s_wait_loadcnt_dscnt 0x0
	v_lshlrev_b32_e32 v2, 16, v2
	s_delay_alu instid0(VALU_DEP_1) | instskip(SKIP_1) | instid1(VALU_DEP_1)
	v_mul_f32_e32 v2, s30, v2
	s_wait_xcnt 0x1
	v_and_b32_e32 v26, 0x7f800000, v2
	s_delay_alu instid0(VALU_DEP_1) | instskip(SKIP_2) | instid1(SALU_CYCLE_1)
	v_cmp_ne_u32_e32 vcc_lo, 0x7f800000, v26
                                        ; implicit-def: $vgpr26
	s_wait_xcnt 0x0
	s_and_saveexec_b32 s20, vcc_lo
	s_xor_b32 s20, exec_lo, s20
; %bb.91:                               ;   in Loop: Header=BB145_4 Depth=1
	v_bfe_u32 v26, v2, 16, 1
	s_delay_alu instid0(VALU_DEP_1)
	v_add3_u32 v26, v2, v26, 0x7fff
                                        ; implicit-def: $vgpr2
; %bb.92:                               ;   in Loop: Header=BB145_4 Depth=1
	s_and_not1_saveexec_b32 s20, s20
; %bb.93:                               ;   in Loop: Header=BB145_4 Depth=1
	v_and_b32_e32 v26, 0xffff, v2
	v_or_b32_e32 v27, 0x10000, v2
	s_delay_alu instid0(VALU_DEP_2) | instskip(NEXT) | instid1(VALU_DEP_2)
	v_cmp_eq_u32_e32 vcc_lo, 0, v26
	v_cndmask_b32_e32 v26, v27, v2, vcc_lo
; %bb.94:                               ;   in Loop: Header=BB145_4 Depth=1
	s_or_b32 exec_lo, exec_lo, s20
	s_delay_alu instid0(VALU_DEP_1) | instskip(NEXT) | instid1(VALU_DEP_1)
	v_fma_mix_f32_bf16 v2, s2, v24, v26 op_sel:[0,0,1] op_sel_hi:[0,0,1]
	v_and_b32_e32 v24, 0x7f800000, v2
	s_delay_alu instid0(VALU_DEP_1) | instskip(SKIP_1) | instid1(SALU_CYCLE_1)
	v_cmp_ne_u32_e32 vcc_lo, 0x7f800000, v24
                                        ; implicit-def: $vgpr24
	s_and_saveexec_b32 s20, vcc_lo
	s_xor_b32 s20, exec_lo, s20
; %bb.95:                               ;   in Loop: Header=BB145_4 Depth=1
	v_bfe_u32 v24, v2, 16, 1
	s_delay_alu instid0(VALU_DEP_1)
	v_add3_u32 v24, v2, v24, 0x7fff
                                        ; implicit-def: $vgpr2
; %bb.96:                               ;   in Loop: Header=BB145_4 Depth=1
	s_and_not1_saveexec_b32 s20, s20
; %bb.97:                               ;   in Loop: Header=BB145_4 Depth=1
	v_and_b32_e32 v24, 0xffff, v2
	v_or_b32_e32 v26, 0x10000, v2
	s_delay_alu instid0(VALU_DEP_2) | instskip(NEXT) | instid1(VALU_DEP_2)
	v_cmp_eq_u32_e32 vcc_lo, 0, v24
	v_cndmask_b32_e32 v24, v26, v2, vcc_lo
; %bb.98:                               ;   in Loop: Header=BB145_4 Depth=1
	s_or_b32 exec_lo, exec_lo, s20
	flat_store_d16_hi_b16 v[34:35], v24 offset:64
	flat_load_u16 v2, v[32:33] offset:96
	s_wait_loadcnt_dscnt 0x0
	v_lshlrev_b32_e32 v2, 16, v2
	s_delay_alu instid0(VALU_DEP_1) | instskip(SKIP_1) | instid1(VALU_DEP_1)
	v_mul_f32_e32 v2, s30, v2
	s_wait_xcnt 0x1
	v_and_b32_e32 v24, 0x7f800000, v2
	s_delay_alu instid0(VALU_DEP_1) | instskip(SKIP_2) | instid1(SALU_CYCLE_1)
	v_cmp_ne_u32_e32 vcc_lo, 0x7f800000, v24
                                        ; implicit-def: $vgpr24
	s_wait_xcnt 0x0
	s_and_saveexec_b32 s20, vcc_lo
	s_xor_b32 s20, exec_lo, s20
; %bb.99:                               ;   in Loop: Header=BB145_4 Depth=1
	v_bfe_u32 v24, v2, 16, 1
	s_delay_alu instid0(VALU_DEP_1)
	v_add3_u32 v24, v2, v24, 0x7fff
                                        ; implicit-def: $vgpr2
; %bb.100:                              ;   in Loop: Header=BB145_4 Depth=1
	s_and_not1_saveexec_b32 s20, s20
; %bb.101:                              ;   in Loop: Header=BB145_4 Depth=1
	v_and_b32_e32 v24, 0xffff, v2
	v_or_b32_e32 v26, 0x10000, v2
	s_delay_alu instid0(VALU_DEP_2) | instskip(NEXT) | instid1(VALU_DEP_2)
	v_cmp_eq_u32_e32 vcc_lo, 0, v24
	v_cndmask_b32_e32 v24, v26, v2, vcc_lo
; %bb.102:                              ;   in Loop: Header=BB145_4 Depth=1
	s_or_b32 exec_lo, exec_lo, s20
	s_delay_alu instid0(VALU_DEP_1) | instskip(SKIP_1) | instid1(VALU_DEP_1)
	v_fma_mix_f32_bf16 v2, s2, v25, v24 op_sel:[0,0,1] op_sel_hi:[0,0,1]
	s_mov_b32 s20, exec_lo
                                        ; implicit-def: $vgpr26
	v_and_b32_e32 v24, 0x7f800000, v2
	s_delay_alu instid0(VALU_DEP_1)
	v_cmpx_ne_u32_e32 0x7f800000, v24
	s_xor_b32 s20, exec_lo, s20
; %bb.103:                              ;   in Loop: Header=BB145_4 Depth=1
	v_bfe_u32 v24, v2, 16, 1
	s_delay_alu instid0(VALU_DEP_1)
	v_add3_u32 v26, v2, v24, 0x7fff
                                        ; implicit-def: $vgpr2
; %bb.104:                              ;   in Loop: Header=BB145_4 Depth=1
	s_and_not1_saveexec_b32 s20, s20
; %bb.105:                              ;   in Loop: Header=BB145_4 Depth=1
	v_and_b32_e32 v24, 0xffff, v2
	v_or_b32_e32 v25, 0x10000, v2
	s_delay_alu instid0(VALU_DEP_2) | instskip(NEXT) | instid1(VALU_DEP_2)
	v_cmp_eq_u32_e32 vcc_lo, 0, v24
	v_cndmask_b32_e32 v26, v25, v2, vcc_lo
; %bb.106:                              ;   in Loop: Header=BB145_4 Depth=1
	s_or_b32 exec_lo, exec_lo, s20
	v_lshl_add_u64 v[24:25], s[8:9], 1, v[28:29]
	flat_store_d16_hi_b16 v[34:35], v26 offset:96
	v_lshl_add_u64 v[28:29], v[8:9], 1, v[24:25]
	flat_load_u16 v2, v[28:29]
	s_wait_loadcnt_dscnt 0x0
	v_lshlrev_b32_e32 v2, 16, v2
	s_delay_alu instid0(VALU_DEP_1) | instskip(SKIP_1) | instid1(VALU_DEP_1)
	v_mul_f32_e32 v2, s30, v2
	s_wait_xcnt 0x1
	v_and_b32_e32 v26, 0x7f800000, v2
	s_delay_alu instid0(VALU_DEP_1) | instskip(SKIP_2) | instid1(SALU_CYCLE_1)
	v_cmp_ne_u32_e32 vcc_lo, 0x7f800000, v26
                                        ; implicit-def: $vgpr26
	s_wait_xcnt 0x0
	s_and_saveexec_b32 s20, vcc_lo
	s_xor_b32 s20, exec_lo, s20
; %bb.107:                              ;   in Loop: Header=BB145_4 Depth=1
	v_bfe_u32 v26, v2, 16, 1
	s_delay_alu instid0(VALU_DEP_1)
	v_add3_u32 v26, v2, v26, 0x7fff
                                        ; implicit-def: $vgpr2
; %bb.108:                              ;   in Loop: Header=BB145_4 Depth=1
	s_and_not1_saveexec_b32 s20, s20
; %bb.109:                              ;   in Loop: Header=BB145_4 Depth=1
	v_and_b32_e32 v26, 0xffff, v2
	v_or_b32_e32 v27, 0x10000, v2
	s_delay_alu instid0(VALU_DEP_2) | instskip(NEXT) | instid1(VALU_DEP_2)
	v_cmp_eq_u32_e32 vcc_lo, 0, v26
	v_cndmask_b32_e32 v26, v27, v2, vcc_lo
; %bb.110:                              ;   in Loop: Header=BB145_4 Depth=1
	s_or_b32 exec_lo, exec_lo, s20
	s_delay_alu instid0(VALU_DEP_1) | instskip(NEXT) | instid1(VALU_DEP_1)
	v_fma_mix_f32_bf16 v2, s2, v22, v26 op_sel:[0,0,1] op_sel_hi:[0,0,1]
	v_and_b32_e32 v22, 0x7f800000, v2
	s_delay_alu instid0(VALU_DEP_1) | instskip(SKIP_1) | instid1(SALU_CYCLE_1)
	v_cmp_ne_u32_e32 vcc_lo, 0x7f800000, v22
                                        ; implicit-def: $vgpr22
	s_and_saveexec_b32 s20, vcc_lo
	s_xor_b32 s20, exec_lo, s20
; %bb.111:                              ;   in Loop: Header=BB145_4 Depth=1
	v_bfe_u32 v22, v2, 16, 1
	s_delay_alu instid0(VALU_DEP_1)
	v_add3_u32 v22, v2, v22, 0x7fff
                                        ; implicit-def: $vgpr2
; %bb.112:                              ;   in Loop: Header=BB145_4 Depth=1
	s_and_not1_saveexec_b32 s20, s20
; %bb.113:                              ;   in Loop: Header=BB145_4 Depth=1
	v_and_b32_e32 v22, 0xffff, v2
	v_or_b32_e32 v26, 0x10000, v2
	s_delay_alu instid0(VALU_DEP_2) | instskip(NEXT) | instid1(VALU_DEP_2)
	v_cmp_eq_u32_e32 vcc_lo, 0, v22
	v_cndmask_b32_e32 v22, v26, v2, vcc_lo
; %bb.114:                              ;   in Loop: Header=BB145_4 Depth=1
	s_or_b32 exec_lo, exec_lo, s20
	v_lshl_add_u64 v[26:27], s[6:7], 1, v[30:31]
	s_delay_alu instid0(VALU_DEP_1) | instskip(SKIP_4) | instid1(VALU_DEP_1)
	v_lshl_add_u64 v[30:31], v[8:9], 1, v[26:27]
	flat_store_d16_hi_b16 v[30:31], v22
	flat_load_u16 v2, v[28:29] offset:32
	s_wait_loadcnt_dscnt 0x0
	v_lshlrev_b32_e32 v2, 16, v2
	v_mul_f32_e32 v2, s30, v2
	s_wait_xcnt 0x1
	s_delay_alu instid0(VALU_DEP_1) | instskip(NEXT) | instid1(VALU_DEP_1)
	v_and_b32_e32 v22, 0x7f800000, v2
	v_cmp_ne_u32_e32 vcc_lo, 0x7f800000, v22
                                        ; implicit-def: $vgpr22
	s_wait_xcnt 0x0
	s_and_saveexec_b32 s20, vcc_lo
	s_delay_alu instid0(SALU_CYCLE_1)
	s_xor_b32 s20, exec_lo, s20
; %bb.115:                              ;   in Loop: Header=BB145_4 Depth=1
	v_bfe_u32 v22, v2, 16, 1
	s_delay_alu instid0(VALU_DEP_1)
	v_add3_u32 v22, v2, v22, 0x7fff
                                        ; implicit-def: $vgpr2
; %bb.116:                              ;   in Loop: Header=BB145_4 Depth=1
	s_and_not1_saveexec_b32 s20, s20
; %bb.117:                              ;   in Loop: Header=BB145_4 Depth=1
	v_and_b32_e32 v22, 0xffff, v2
	v_or_b32_e32 v32, 0x10000, v2
	s_delay_alu instid0(VALU_DEP_2) | instskip(NEXT) | instid1(VALU_DEP_2)
	v_cmp_eq_u32_e32 vcc_lo, 0, v22
	v_cndmask_b32_e32 v22, v32, v2, vcc_lo
; %bb.118:                              ;   in Loop: Header=BB145_4 Depth=1
	s_or_b32 exec_lo, exec_lo, s20
	s_delay_alu instid0(VALU_DEP_1) | instskip(NEXT) | instid1(VALU_DEP_1)
	v_fma_mix_f32_bf16 v2, s2, v23, v22 op_sel:[0,0,1] op_sel_hi:[0,0,1]
	v_and_b32_e32 v22, 0x7f800000, v2
	s_delay_alu instid0(VALU_DEP_1) | instskip(SKIP_1) | instid1(SALU_CYCLE_1)
	v_cmp_ne_u32_e32 vcc_lo, 0x7f800000, v22
                                        ; implicit-def: $vgpr22
	s_and_saveexec_b32 s20, vcc_lo
	s_xor_b32 s20, exec_lo, s20
; %bb.119:                              ;   in Loop: Header=BB145_4 Depth=1
	v_bfe_u32 v22, v2, 16, 1
	s_delay_alu instid0(VALU_DEP_1)
	v_add3_u32 v22, v2, v22, 0x7fff
                                        ; implicit-def: $vgpr2
; %bb.120:                              ;   in Loop: Header=BB145_4 Depth=1
	s_and_not1_saveexec_b32 s20, s20
; %bb.121:                              ;   in Loop: Header=BB145_4 Depth=1
	v_and_b32_e32 v22, 0xffff, v2
	v_or_b32_e32 v23, 0x10000, v2
	s_delay_alu instid0(VALU_DEP_2) | instskip(NEXT) | instid1(VALU_DEP_2)
	v_cmp_eq_u32_e32 vcc_lo, 0, v22
	v_cndmask_b32_e32 v22, v23, v2, vcc_lo
; %bb.122:                              ;   in Loop: Header=BB145_4 Depth=1
	s_or_b32 exec_lo, exec_lo, s20
	flat_store_d16_hi_b16 v[30:31], v22 offset:32
	flat_load_u16 v2, v[28:29] offset:64
	s_wait_loadcnt_dscnt 0x0
	v_lshlrev_b32_e32 v2, 16, v2
	s_delay_alu instid0(VALU_DEP_1) | instskip(SKIP_1) | instid1(VALU_DEP_1)
	v_mul_f32_e32 v2, s30, v2
	s_wait_xcnt 0x1
	v_and_b32_e32 v22, 0x7f800000, v2
	s_delay_alu instid0(VALU_DEP_1) | instskip(SKIP_2) | instid1(SALU_CYCLE_1)
	v_cmp_ne_u32_e32 vcc_lo, 0x7f800000, v22
                                        ; implicit-def: $vgpr22
	s_wait_xcnt 0x0
	s_and_saveexec_b32 s20, vcc_lo
	s_xor_b32 s20, exec_lo, s20
; %bb.123:                              ;   in Loop: Header=BB145_4 Depth=1
	v_bfe_u32 v22, v2, 16, 1
	s_delay_alu instid0(VALU_DEP_1)
	v_add3_u32 v22, v2, v22, 0x7fff
                                        ; implicit-def: $vgpr2
; %bb.124:                              ;   in Loop: Header=BB145_4 Depth=1
	s_and_not1_saveexec_b32 s20, s20
; %bb.125:                              ;   in Loop: Header=BB145_4 Depth=1
	v_and_b32_e32 v22, 0xffff, v2
	v_or_b32_e32 v23, 0x10000, v2
	s_delay_alu instid0(VALU_DEP_2) | instskip(NEXT) | instid1(VALU_DEP_2)
	v_cmp_eq_u32_e32 vcc_lo, 0, v22
	v_cndmask_b32_e32 v22, v23, v2, vcc_lo
; %bb.126:                              ;   in Loop: Header=BB145_4 Depth=1
	s_or_b32 exec_lo, exec_lo, s20
	s_delay_alu instid0(VALU_DEP_1) | instskip(NEXT) | instid1(VALU_DEP_1)
	v_fma_mix_f32_bf16 v2, s2, v20, v22 op_sel:[0,0,1] op_sel_hi:[0,0,1]
	v_and_b32_e32 v20, 0x7f800000, v2
	s_delay_alu instid0(VALU_DEP_1) | instskip(SKIP_1) | instid1(SALU_CYCLE_1)
	v_cmp_ne_u32_e32 vcc_lo, 0x7f800000, v20
                                        ; implicit-def: $vgpr20
	s_and_saveexec_b32 s20, vcc_lo
	s_xor_b32 s20, exec_lo, s20
; %bb.127:                              ;   in Loop: Header=BB145_4 Depth=1
	v_bfe_u32 v20, v2, 16, 1
	s_delay_alu instid0(VALU_DEP_1)
	v_add3_u32 v20, v2, v20, 0x7fff
                                        ; implicit-def: $vgpr2
; %bb.128:                              ;   in Loop: Header=BB145_4 Depth=1
	s_and_not1_saveexec_b32 s20, s20
; %bb.129:                              ;   in Loop: Header=BB145_4 Depth=1
	v_and_b32_e32 v20, 0xffff, v2
	v_or_b32_e32 v22, 0x10000, v2
	s_delay_alu instid0(VALU_DEP_2) | instskip(NEXT) | instid1(VALU_DEP_2)
	v_cmp_eq_u32_e32 vcc_lo, 0, v20
	v_cndmask_b32_e32 v20, v22, v2, vcc_lo
; %bb.130:                              ;   in Loop: Header=BB145_4 Depth=1
	s_or_b32 exec_lo, exec_lo, s20
	flat_store_d16_hi_b16 v[30:31], v20 offset:64
	flat_load_u16 v2, v[28:29] offset:96
	s_wait_loadcnt_dscnt 0x0
	v_lshlrev_b32_e32 v2, 16, v2
	s_delay_alu instid0(VALU_DEP_1) | instskip(SKIP_1) | instid1(VALU_DEP_1)
	v_mul_f32_e32 v2, s30, v2
	s_wait_xcnt 0x1
	v_and_b32_e32 v20, 0x7f800000, v2
	s_delay_alu instid0(VALU_DEP_1) | instskip(SKIP_2) | instid1(SALU_CYCLE_1)
	v_cmp_ne_u32_e32 vcc_lo, 0x7f800000, v20
                                        ; implicit-def: $vgpr20
	s_wait_xcnt 0x0
	s_and_saveexec_b32 s20, vcc_lo
	s_xor_b32 s20, exec_lo, s20
; %bb.131:                              ;   in Loop: Header=BB145_4 Depth=1
	v_bfe_u32 v20, v2, 16, 1
	s_delay_alu instid0(VALU_DEP_1)
	v_add3_u32 v20, v2, v20, 0x7fff
                                        ; implicit-def: $vgpr2
; %bb.132:                              ;   in Loop: Header=BB145_4 Depth=1
	s_and_not1_saveexec_b32 s20, s20
; %bb.133:                              ;   in Loop: Header=BB145_4 Depth=1
	v_and_b32_e32 v20, 0xffff, v2
	v_or_b32_e32 v22, 0x10000, v2
	s_delay_alu instid0(VALU_DEP_2) | instskip(NEXT) | instid1(VALU_DEP_2)
	v_cmp_eq_u32_e32 vcc_lo, 0, v20
	v_cndmask_b32_e32 v20, v22, v2, vcc_lo
; %bb.134:                              ;   in Loop: Header=BB145_4 Depth=1
	s_or_b32 exec_lo, exec_lo, s20
	s_delay_alu instid0(VALU_DEP_1) | instskip(SKIP_1) | instid1(VALU_DEP_1)
	v_fma_mix_f32_bf16 v2, s2, v21, v20 op_sel:[0,0,1] op_sel_hi:[0,0,1]
	s_mov_b32 s20, exec_lo
                                        ; implicit-def: $vgpr22
	v_and_b32_e32 v20, 0x7f800000, v2
	s_delay_alu instid0(VALU_DEP_1)
	v_cmpx_ne_u32_e32 0x7f800000, v20
	s_xor_b32 s20, exec_lo, s20
; %bb.135:                              ;   in Loop: Header=BB145_4 Depth=1
	v_bfe_u32 v20, v2, 16, 1
	s_delay_alu instid0(VALU_DEP_1)
	v_add3_u32 v22, v2, v20, 0x7fff
                                        ; implicit-def: $vgpr2
; %bb.136:                              ;   in Loop: Header=BB145_4 Depth=1
	s_and_not1_saveexec_b32 s20, s20
; %bb.137:                              ;   in Loop: Header=BB145_4 Depth=1
	v_and_b32_e32 v20, 0xffff, v2
	v_or_b32_e32 v21, 0x10000, v2
	s_delay_alu instid0(VALU_DEP_2) | instskip(NEXT) | instid1(VALU_DEP_2)
	v_cmp_eq_u32_e32 vcc_lo, 0, v20
	v_cndmask_b32_e32 v22, v21, v2, vcc_lo
; %bb.138:                              ;   in Loop: Header=BB145_4 Depth=1
	s_or_b32 exec_lo, exec_lo, s20
	v_lshl_add_u64 v[20:21], s[8:9], 1, v[24:25]
	flat_store_d16_hi_b16 v[30:31], v22 offset:96
	v_lshl_add_u64 v[24:25], v[8:9], 1, v[20:21]
	flat_load_u16 v2, v[24:25]
	s_wait_loadcnt_dscnt 0x0
	v_lshlrev_b32_e32 v2, 16, v2
	s_delay_alu instid0(VALU_DEP_1) | instskip(SKIP_1) | instid1(VALU_DEP_1)
	v_mul_f32_e32 v2, s30, v2
	s_wait_xcnt 0x1
	v_and_b32_e32 v22, 0x7f800000, v2
	s_delay_alu instid0(VALU_DEP_1) | instskip(SKIP_2) | instid1(SALU_CYCLE_1)
	v_cmp_ne_u32_e32 vcc_lo, 0x7f800000, v22
                                        ; implicit-def: $vgpr22
	s_wait_xcnt 0x0
	s_and_saveexec_b32 s20, vcc_lo
	s_xor_b32 s20, exec_lo, s20
; %bb.139:                              ;   in Loop: Header=BB145_4 Depth=1
	v_bfe_u32 v22, v2, 16, 1
	s_delay_alu instid0(VALU_DEP_1)
	v_add3_u32 v22, v2, v22, 0x7fff
                                        ; implicit-def: $vgpr2
; %bb.140:                              ;   in Loop: Header=BB145_4 Depth=1
	s_and_not1_saveexec_b32 s20, s20
; %bb.141:                              ;   in Loop: Header=BB145_4 Depth=1
	v_and_b32_e32 v22, 0xffff, v2
	v_or_b32_e32 v23, 0x10000, v2
	s_delay_alu instid0(VALU_DEP_2) | instskip(NEXT) | instid1(VALU_DEP_2)
	v_cmp_eq_u32_e32 vcc_lo, 0, v22
	v_cndmask_b32_e32 v22, v23, v2, vcc_lo
; %bb.142:                              ;   in Loop: Header=BB145_4 Depth=1
	s_or_b32 exec_lo, exec_lo, s20
	s_delay_alu instid0(VALU_DEP_1) | instskip(NEXT) | instid1(VALU_DEP_1)
	v_fma_mix_f32_bf16 v2, s2, v18, v22 op_sel:[0,0,1] op_sel_hi:[0,0,1]
	v_and_b32_e32 v18, 0x7f800000, v2
	s_delay_alu instid0(VALU_DEP_1) | instskip(SKIP_1) | instid1(SALU_CYCLE_1)
	v_cmp_ne_u32_e32 vcc_lo, 0x7f800000, v18
                                        ; implicit-def: $vgpr18
	s_and_saveexec_b32 s20, vcc_lo
	s_xor_b32 s20, exec_lo, s20
; %bb.143:                              ;   in Loop: Header=BB145_4 Depth=1
	v_bfe_u32 v18, v2, 16, 1
	s_delay_alu instid0(VALU_DEP_1)
	v_add3_u32 v18, v2, v18, 0x7fff
                                        ; implicit-def: $vgpr2
; %bb.144:                              ;   in Loop: Header=BB145_4 Depth=1
	s_and_not1_saveexec_b32 s20, s20
; %bb.145:                              ;   in Loop: Header=BB145_4 Depth=1
	v_and_b32_e32 v18, 0xffff, v2
	v_or_b32_e32 v22, 0x10000, v2
	s_delay_alu instid0(VALU_DEP_2) | instskip(NEXT) | instid1(VALU_DEP_2)
	v_cmp_eq_u32_e32 vcc_lo, 0, v18
	v_cndmask_b32_e32 v18, v22, v2, vcc_lo
; %bb.146:                              ;   in Loop: Header=BB145_4 Depth=1
	s_or_b32 exec_lo, exec_lo, s20
	v_lshl_add_u64 v[22:23], s[6:7], 1, v[26:27]
	s_delay_alu instid0(VALU_DEP_1) | instskip(SKIP_4) | instid1(VALU_DEP_1)
	v_lshl_add_u64 v[26:27], v[8:9], 1, v[22:23]
	flat_store_d16_hi_b16 v[26:27], v18
	flat_load_u16 v2, v[24:25] offset:32
	s_wait_loadcnt_dscnt 0x0
	v_lshlrev_b32_e32 v2, 16, v2
	v_mul_f32_e32 v2, s30, v2
	s_wait_xcnt 0x1
	s_delay_alu instid0(VALU_DEP_1) | instskip(NEXT) | instid1(VALU_DEP_1)
	v_and_b32_e32 v18, 0x7f800000, v2
	v_cmp_ne_u32_e32 vcc_lo, 0x7f800000, v18
                                        ; implicit-def: $vgpr18
	s_wait_xcnt 0x0
	s_and_saveexec_b32 s20, vcc_lo
	s_delay_alu instid0(SALU_CYCLE_1)
	s_xor_b32 s20, exec_lo, s20
; %bb.147:                              ;   in Loop: Header=BB145_4 Depth=1
	v_bfe_u32 v18, v2, 16, 1
	s_delay_alu instid0(VALU_DEP_1)
	v_add3_u32 v18, v2, v18, 0x7fff
                                        ; implicit-def: $vgpr2
; %bb.148:                              ;   in Loop: Header=BB145_4 Depth=1
	s_and_not1_saveexec_b32 s20, s20
; %bb.149:                              ;   in Loop: Header=BB145_4 Depth=1
	v_and_b32_e32 v18, 0xffff, v2
	v_or_b32_e32 v28, 0x10000, v2
	s_delay_alu instid0(VALU_DEP_2) | instskip(NEXT) | instid1(VALU_DEP_2)
	v_cmp_eq_u32_e32 vcc_lo, 0, v18
	v_cndmask_b32_e32 v18, v28, v2, vcc_lo
; %bb.150:                              ;   in Loop: Header=BB145_4 Depth=1
	s_or_b32 exec_lo, exec_lo, s20
	s_delay_alu instid0(VALU_DEP_1) | instskip(NEXT) | instid1(VALU_DEP_1)
	v_fma_mix_f32_bf16 v2, s2, v19, v18 op_sel:[0,0,1] op_sel_hi:[0,0,1]
	v_and_b32_e32 v18, 0x7f800000, v2
	s_delay_alu instid0(VALU_DEP_1) | instskip(SKIP_1) | instid1(SALU_CYCLE_1)
	v_cmp_ne_u32_e32 vcc_lo, 0x7f800000, v18
                                        ; implicit-def: $vgpr18
	s_and_saveexec_b32 s20, vcc_lo
	s_xor_b32 s20, exec_lo, s20
; %bb.151:                              ;   in Loop: Header=BB145_4 Depth=1
	v_bfe_u32 v18, v2, 16, 1
	s_delay_alu instid0(VALU_DEP_1)
	v_add3_u32 v18, v2, v18, 0x7fff
                                        ; implicit-def: $vgpr2
; %bb.152:                              ;   in Loop: Header=BB145_4 Depth=1
	s_and_not1_saveexec_b32 s20, s20
; %bb.153:                              ;   in Loop: Header=BB145_4 Depth=1
	v_and_b32_e32 v18, 0xffff, v2
	v_or_b32_e32 v19, 0x10000, v2
	s_delay_alu instid0(VALU_DEP_2) | instskip(NEXT) | instid1(VALU_DEP_2)
	v_cmp_eq_u32_e32 vcc_lo, 0, v18
	v_cndmask_b32_e32 v18, v19, v2, vcc_lo
; %bb.154:                              ;   in Loop: Header=BB145_4 Depth=1
	s_or_b32 exec_lo, exec_lo, s20
	flat_store_d16_hi_b16 v[26:27], v18 offset:32
	flat_load_u16 v2, v[24:25] offset:64
	s_wait_loadcnt_dscnt 0x0
	v_lshlrev_b32_e32 v2, 16, v2
	s_delay_alu instid0(VALU_DEP_1) | instskip(SKIP_1) | instid1(VALU_DEP_1)
	v_mul_f32_e32 v2, s30, v2
	s_wait_xcnt 0x1
	v_and_b32_e32 v18, 0x7f800000, v2
	s_delay_alu instid0(VALU_DEP_1) | instskip(SKIP_2) | instid1(SALU_CYCLE_1)
	v_cmp_ne_u32_e32 vcc_lo, 0x7f800000, v18
                                        ; implicit-def: $vgpr18
	s_wait_xcnt 0x0
	s_and_saveexec_b32 s20, vcc_lo
	s_xor_b32 s20, exec_lo, s20
; %bb.155:                              ;   in Loop: Header=BB145_4 Depth=1
	v_bfe_u32 v18, v2, 16, 1
	s_delay_alu instid0(VALU_DEP_1)
	v_add3_u32 v18, v2, v18, 0x7fff
                                        ; implicit-def: $vgpr2
; %bb.156:                              ;   in Loop: Header=BB145_4 Depth=1
	s_and_not1_saveexec_b32 s20, s20
; %bb.157:                              ;   in Loop: Header=BB145_4 Depth=1
	v_and_b32_e32 v18, 0xffff, v2
	v_or_b32_e32 v19, 0x10000, v2
	s_delay_alu instid0(VALU_DEP_2) | instskip(NEXT) | instid1(VALU_DEP_2)
	v_cmp_eq_u32_e32 vcc_lo, 0, v18
	v_cndmask_b32_e32 v18, v19, v2, vcc_lo
; %bb.158:                              ;   in Loop: Header=BB145_4 Depth=1
	s_or_b32 exec_lo, exec_lo, s20
	s_delay_alu instid0(VALU_DEP_1) | instskip(NEXT) | instid1(VALU_DEP_1)
	v_fma_mix_f32_bf16 v2, s2, v16, v18 op_sel:[0,0,1] op_sel_hi:[0,0,1]
	v_and_b32_e32 v16, 0x7f800000, v2
	s_delay_alu instid0(VALU_DEP_1) | instskip(SKIP_1) | instid1(SALU_CYCLE_1)
	v_cmp_ne_u32_e32 vcc_lo, 0x7f800000, v16
                                        ; implicit-def: $vgpr16
	s_and_saveexec_b32 s20, vcc_lo
	s_xor_b32 s20, exec_lo, s20
; %bb.159:                              ;   in Loop: Header=BB145_4 Depth=1
	v_bfe_u32 v16, v2, 16, 1
	s_delay_alu instid0(VALU_DEP_1)
	v_add3_u32 v16, v2, v16, 0x7fff
                                        ; implicit-def: $vgpr2
; %bb.160:                              ;   in Loop: Header=BB145_4 Depth=1
	s_and_not1_saveexec_b32 s20, s20
; %bb.161:                              ;   in Loop: Header=BB145_4 Depth=1
	v_and_b32_e32 v16, 0xffff, v2
	v_or_b32_e32 v18, 0x10000, v2
	s_delay_alu instid0(VALU_DEP_2) | instskip(NEXT) | instid1(VALU_DEP_2)
	v_cmp_eq_u32_e32 vcc_lo, 0, v16
	v_cndmask_b32_e32 v16, v18, v2, vcc_lo
; %bb.162:                              ;   in Loop: Header=BB145_4 Depth=1
	s_or_b32 exec_lo, exec_lo, s20
	flat_store_d16_hi_b16 v[26:27], v16 offset:64
	flat_load_u16 v2, v[24:25] offset:96
	s_wait_loadcnt_dscnt 0x0
	v_lshlrev_b32_e32 v2, 16, v2
	s_delay_alu instid0(VALU_DEP_1) | instskip(SKIP_1) | instid1(VALU_DEP_1)
	v_mul_f32_e32 v2, s30, v2
	s_wait_xcnt 0x1
	v_and_b32_e32 v16, 0x7f800000, v2
	s_delay_alu instid0(VALU_DEP_1) | instskip(SKIP_2) | instid1(SALU_CYCLE_1)
	v_cmp_ne_u32_e32 vcc_lo, 0x7f800000, v16
                                        ; implicit-def: $vgpr16
	s_wait_xcnt 0x0
	s_and_saveexec_b32 s20, vcc_lo
	s_xor_b32 s20, exec_lo, s20
; %bb.163:                              ;   in Loop: Header=BB145_4 Depth=1
	v_bfe_u32 v16, v2, 16, 1
	s_delay_alu instid0(VALU_DEP_1)
	v_add3_u32 v16, v2, v16, 0x7fff
                                        ; implicit-def: $vgpr2
; %bb.164:                              ;   in Loop: Header=BB145_4 Depth=1
	s_and_not1_saveexec_b32 s20, s20
; %bb.165:                              ;   in Loop: Header=BB145_4 Depth=1
	v_and_b32_e32 v16, 0xffff, v2
	v_or_b32_e32 v18, 0x10000, v2
	s_delay_alu instid0(VALU_DEP_2) | instskip(NEXT) | instid1(VALU_DEP_2)
	v_cmp_eq_u32_e32 vcc_lo, 0, v16
	v_cndmask_b32_e32 v16, v18, v2, vcc_lo
; %bb.166:                              ;   in Loop: Header=BB145_4 Depth=1
	s_or_b32 exec_lo, exec_lo, s20
	s_delay_alu instid0(VALU_DEP_1) | instskip(SKIP_1) | instid1(VALU_DEP_1)
	v_fma_mix_f32_bf16 v2, s2, v17, v16 op_sel:[0,0,1] op_sel_hi:[0,0,1]
	s_mov_b32 s20, exec_lo
                                        ; implicit-def: $vgpr18
	v_and_b32_e32 v16, 0x7f800000, v2
	s_delay_alu instid0(VALU_DEP_1)
	v_cmpx_ne_u32_e32 0x7f800000, v16
	s_xor_b32 s20, exec_lo, s20
; %bb.167:                              ;   in Loop: Header=BB145_4 Depth=1
	v_bfe_u32 v16, v2, 16, 1
	s_delay_alu instid0(VALU_DEP_1)
	v_add3_u32 v18, v2, v16, 0x7fff
                                        ; implicit-def: $vgpr2
; %bb.168:                              ;   in Loop: Header=BB145_4 Depth=1
	s_and_not1_saveexec_b32 s20, s20
; %bb.169:                              ;   in Loop: Header=BB145_4 Depth=1
	v_and_b32_e32 v16, 0xffff, v2
	v_or_b32_e32 v17, 0x10000, v2
	s_delay_alu instid0(VALU_DEP_2) | instskip(NEXT) | instid1(VALU_DEP_2)
	v_cmp_eq_u32_e32 vcc_lo, 0, v16
	v_cndmask_b32_e32 v18, v17, v2, vcc_lo
; %bb.170:                              ;   in Loop: Header=BB145_4 Depth=1
	s_or_b32 exec_lo, exec_lo, s20
	v_lshl_add_u64 v[16:17], s[8:9], 1, v[20:21]
	flat_store_d16_hi_b16 v[26:27], v18 offset:96
	v_lshl_add_u64 v[16:17], v[8:9], 1, v[16:17]
	flat_load_u16 v2, v[16:17]
	s_wait_loadcnt_dscnt 0x0
	v_lshlrev_b32_e32 v2, 16, v2
	s_delay_alu instid0(VALU_DEP_1) | instskip(SKIP_1) | instid1(VALU_DEP_1)
	v_mul_f32_e32 v2, s30, v2
	s_wait_xcnt 0x1
	v_and_b32_e32 v18, 0x7f800000, v2
	s_delay_alu instid0(VALU_DEP_1) | instskip(SKIP_2) | instid1(SALU_CYCLE_1)
	v_cmp_ne_u32_e32 vcc_lo, 0x7f800000, v18
                                        ; implicit-def: $vgpr18
	s_wait_xcnt 0x0
	s_and_saveexec_b32 s20, vcc_lo
	s_xor_b32 s20, exec_lo, s20
; %bb.171:                              ;   in Loop: Header=BB145_4 Depth=1
	v_bfe_u32 v18, v2, 16, 1
	s_delay_alu instid0(VALU_DEP_1)
	v_add3_u32 v18, v2, v18, 0x7fff
                                        ; implicit-def: $vgpr2
; %bb.172:                              ;   in Loop: Header=BB145_4 Depth=1
	s_and_not1_saveexec_b32 s20, s20
; %bb.173:                              ;   in Loop: Header=BB145_4 Depth=1
	v_and_b32_e32 v18, 0xffff, v2
	v_or_b32_e32 v19, 0x10000, v2
	s_delay_alu instid0(VALU_DEP_2) | instskip(NEXT) | instid1(VALU_DEP_2)
	v_cmp_eq_u32_e32 vcc_lo, 0, v18
	v_cndmask_b32_e32 v18, v19, v2, vcc_lo
; %bb.174:                              ;   in Loop: Header=BB145_4 Depth=1
	s_or_b32 exec_lo, exec_lo, s20
	s_delay_alu instid0(VALU_DEP_1) | instskip(NEXT) | instid1(VALU_DEP_1)
	v_fma_mix_f32_bf16 v2, s2, v14, v18 op_sel:[0,0,1] op_sel_hi:[0,0,1]
	v_and_b32_e32 v14, 0x7f800000, v2
	s_delay_alu instid0(VALU_DEP_1) | instskip(SKIP_1) | instid1(SALU_CYCLE_1)
	v_cmp_ne_u32_e32 vcc_lo, 0x7f800000, v14
                                        ; implicit-def: $vgpr14
	s_and_saveexec_b32 s20, vcc_lo
	s_xor_b32 s20, exec_lo, s20
; %bb.175:                              ;   in Loop: Header=BB145_4 Depth=1
	v_bfe_u32 v14, v2, 16, 1
	s_delay_alu instid0(VALU_DEP_1)
	v_add3_u32 v14, v2, v14, 0x7fff
                                        ; implicit-def: $vgpr2
; %bb.176:                              ;   in Loop: Header=BB145_4 Depth=1
	s_and_not1_saveexec_b32 s20, s20
; %bb.177:                              ;   in Loop: Header=BB145_4 Depth=1
	v_and_b32_e32 v14, 0xffff, v2
	v_or_b32_e32 v18, 0x10000, v2
	s_delay_alu instid0(VALU_DEP_2) | instskip(NEXT) | instid1(VALU_DEP_2)
	v_cmp_eq_u32_e32 vcc_lo, 0, v14
	v_cndmask_b32_e32 v14, v18, v2, vcc_lo
; %bb.178:                              ;   in Loop: Header=BB145_4 Depth=1
	s_or_b32 exec_lo, exec_lo, s20
	v_lshl_add_u64 v[18:19], s[6:7], 1, v[22:23]
	s_delay_alu instid0(VALU_DEP_1) | instskip(SKIP_4) | instid1(VALU_DEP_1)
	v_lshl_add_u64 v[18:19], v[8:9], 1, v[18:19]
	flat_store_d16_hi_b16 v[18:19], v14
	flat_load_u16 v2, v[16:17] offset:32
	s_wait_loadcnt_dscnt 0x0
	v_lshlrev_b32_e32 v2, 16, v2
	v_mul_f32_e32 v2, s30, v2
	s_wait_xcnt 0x1
	s_delay_alu instid0(VALU_DEP_1) | instskip(NEXT) | instid1(VALU_DEP_1)
	v_and_b32_e32 v14, 0x7f800000, v2
	v_cmp_ne_u32_e32 vcc_lo, 0x7f800000, v14
                                        ; implicit-def: $vgpr14
	s_wait_xcnt 0x0
	s_and_saveexec_b32 s20, vcc_lo
	s_delay_alu instid0(SALU_CYCLE_1)
	s_xor_b32 s20, exec_lo, s20
; %bb.179:                              ;   in Loop: Header=BB145_4 Depth=1
	v_bfe_u32 v14, v2, 16, 1
	s_delay_alu instid0(VALU_DEP_1)
	v_add3_u32 v14, v2, v14, 0x7fff
                                        ; implicit-def: $vgpr2
; %bb.180:                              ;   in Loop: Header=BB145_4 Depth=1
	s_and_not1_saveexec_b32 s20, s20
; %bb.181:                              ;   in Loop: Header=BB145_4 Depth=1
	v_and_b32_e32 v14, 0xffff, v2
	v_or_b32_e32 v20, 0x10000, v2
	s_delay_alu instid0(VALU_DEP_2) | instskip(NEXT) | instid1(VALU_DEP_2)
	v_cmp_eq_u32_e32 vcc_lo, 0, v14
	v_cndmask_b32_e32 v14, v20, v2, vcc_lo
; %bb.182:                              ;   in Loop: Header=BB145_4 Depth=1
	s_or_b32 exec_lo, exec_lo, s20
	s_delay_alu instid0(VALU_DEP_1) | instskip(NEXT) | instid1(VALU_DEP_1)
	v_fma_mix_f32_bf16 v2, s2, v15, v14 op_sel:[0,0,1] op_sel_hi:[0,0,1]
	v_and_b32_e32 v14, 0x7f800000, v2
	s_delay_alu instid0(VALU_DEP_1) | instskip(SKIP_1) | instid1(SALU_CYCLE_1)
	v_cmp_ne_u32_e32 vcc_lo, 0x7f800000, v14
                                        ; implicit-def: $vgpr14
	s_and_saveexec_b32 s20, vcc_lo
	s_xor_b32 s20, exec_lo, s20
; %bb.183:                              ;   in Loop: Header=BB145_4 Depth=1
	v_bfe_u32 v14, v2, 16, 1
	s_delay_alu instid0(VALU_DEP_1)
	v_add3_u32 v14, v2, v14, 0x7fff
                                        ; implicit-def: $vgpr2
; %bb.184:                              ;   in Loop: Header=BB145_4 Depth=1
	s_and_not1_saveexec_b32 s20, s20
; %bb.185:                              ;   in Loop: Header=BB145_4 Depth=1
	v_and_b32_e32 v14, 0xffff, v2
	v_or_b32_e32 v15, 0x10000, v2
	s_delay_alu instid0(VALU_DEP_2) | instskip(NEXT) | instid1(VALU_DEP_2)
	v_cmp_eq_u32_e32 vcc_lo, 0, v14
	v_cndmask_b32_e32 v14, v15, v2, vcc_lo
; %bb.186:                              ;   in Loop: Header=BB145_4 Depth=1
	s_or_b32 exec_lo, exec_lo, s20
	flat_store_d16_hi_b16 v[18:19], v14 offset:32
	flat_load_u16 v2, v[16:17] offset:64
	s_wait_loadcnt_dscnt 0x0
	v_lshlrev_b32_e32 v2, 16, v2
	s_delay_alu instid0(VALU_DEP_1) | instskip(SKIP_1) | instid1(VALU_DEP_1)
	v_mul_f32_e32 v2, s30, v2
	s_wait_xcnt 0x1
	v_and_b32_e32 v14, 0x7f800000, v2
	s_delay_alu instid0(VALU_DEP_1) | instskip(SKIP_2) | instid1(SALU_CYCLE_1)
	v_cmp_ne_u32_e32 vcc_lo, 0x7f800000, v14
                                        ; implicit-def: $vgpr14
	s_wait_xcnt 0x0
	s_and_saveexec_b32 s20, vcc_lo
	s_xor_b32 s20, exec_lo, s20
; %bb.187:                              ;   in Loop: Header=BB145_4 Depth=1
	v_bfe_u32 v14, v2, 16, 1
	s_delay_alu instid0(VALU_DEP_1)
	v_add3_u32 v14, v2, v14, 0x7fff
                                        ; implicit-def: $vgpr2
; %bb.188:                              ;   in Loop: Header=BB145_4 Depth=1
	s_and_not1_saveexec_b32 s20, s20
; %bb.189:                              ;   in Loop: Header=BB145_4 Depth=1
	v_and_b32_e32 v14, 0xffff, v2
	v_or_b32_e32 v15, 0x10000, v2
	s_delay_alu instid0(VALU_DEP_2) | instskip(NEXT) | instid1(VALU_DEP_2)
	v_cmp_eq_u32_e32 vcc_lo, 0, v14
	v_cndmask_b32_e32 v14, v15, v2, vcc_lo
; %bb.190:                              ;   in Loop: Header=BB145_4 Depth=1
	s_or_b32 exec_lo, exec_lo, s20
	s_delay_alu instid0(VALU_DEP_1) | instskip(NEXT) | instid1(VALU_DEP_1)
	v_fma_mix_f32_bf16 v2, s2, v12, v14 op_sel:[0,0,1] op_sel_hi:[0,0,1]
	v_and_b32_e32 v12, 0x7f800000, v2
	s_delay_alu instid0(VALU_DEP_1) | instskip(SKIP_1) | instid1(SALU_CYCLE_1)
	v_cmp_ne_u32_e32 vcc_lo, 0x7f800000, v12
                                        ; implicit-def: $vgpr12
	s_and_saveexec_b32 s20, vcc_lo
	s_xor_b32 s20, exec_lo, s20
; %bb.191:                              ;   in Loop: Header=BB145_4 Depth=1
	v_bfe_u32 v12, v2, 16, 1
	s_delay_alu instid0(VALU_DEP_1)
	v_add3_u32 v12, v2, v12, 0x7fff
                                        ; implicit-def: $vgpr2
; %bb.192:                              ;   in Loop: Header=BB145_4 Depth=1
	s_and_not1_saveexec_b32 s20, s20
; %bb.193:                              ;   in Loop: Header=BB145_4 Depth=1
	v_and_b32_e32 v12, 0xffff, v2
	v_or_b32_e32 v14, 0x10000, v2
	s_delay_alu instid0(VALU_DEP_2) | instskip(NEXT) | instid1(VALU_DEP_2)
	v_cmp_eq_u32_e32 vcc_lo, 0, v12
	v_cndmask_b32_e32 v12, v14, v2, vcc_lo
; %bb.194:                              ;   in Loop: Header=BB145_4 Depth=1
	s_or_b32 exec_lo, exec_lo, s20
	flat_store_d16_hi_b16 v[18:19], v12 offset:64
	flat_load_u16 v2, v[16:17] offset:96
	s_wait_loadcnt_dscnt 0x0
	v_lshlrev_b32_e32 v2, 16, v2
	s_delay_alu instid0(VALU_DEP_1) | instskip(SKIP_1) | instid1(VALU_DEP_1)
	v_mul_f32_e32 v2, s30, v2
	s_wait_xcnt 0x1
	v_and_b32_e32 v12, 0x7f800000, v2
	s_delay_alu instid0(VALU_DEP_1) | instskip(SKIP_2) | instid1(SALU_CYCLE_1)
	v_cmp_ne_u32_e32 vcc_lo, 0x7f800000, v12
                                        ; implicit-def: $vgpr12
	s_wait_xcnt 0x0
	s_and_saveexec_b32 s20, vcc_lo
	s_xor_b32 s20, exec_lo, s20
; %bb.195:                              ;   in Loop: Header=BB145_4 Depth=1
	v_bfe_u32 v12, v2, 16, 1
	s_delay_alu instid0(VALU_DEP_1)
	v_add3_u32 v12, v2, v12, 0x7fff
                                        ; implicit-def: $vgpr2
; %bb.196:                              ;   in Loop: Header=BB145_4 Depth=1
	s_and_not1_saveexec_b32 s20, s20
; %bb.197:                              ;   in Loop: Header=BB145_4 Depth=1
	v_and_b32_e32 v12, 0xffff, v2
	v_or_b32_e32 v14, 0x10000, v2
	s_delay_alu instid0(VALU_DEP_2) | instskip(NEXT) | instid1(VALU_DEP_2)
	v_cmp_eq_u32_e32 vcc_lo, 0, v12
	v_cndmask_b32_e32 v12, v14, v2, vcc_lo
; %bb.198:                              ;   in Loop: Header=BB145_4 Depth=1
	s_or_b32 exec_lo, exec_lo, s20
	s_delay_alu instid0(VALU_DEP_1) | instskip(NEXT) | instid1(VALU_DEP_1)
	v_fma_mix_f32_bf16 v2, s2, v13, v12 op_sel:[0,0,1] op_sel_hi:[0,0,1]
	v_and_b32_e32 v12, 0x7f800000, v2
	s_delay_alu instid0(VALU_DEP_1) | instskip(SKIP_1) | instid1(SALU_CYCLE_1)
	v_cmp_ne_u32_e32 vcc_lo, 0x7f800000, v12
                                        ; implicit-def: $vgpr12
	s_and_saveexec_b32 s20, vcc_lo
	s_xor_b32 s20, exec_lo, s20
; %bb.199:                              ;   in Loop: Header=BB145_4 Depth=1
	v_bfe_u32 v12, v2, 16, 1
	s_delay_alu instid0(VALU_DEP_1)
	v_add3_u32 v12, v2, v12, 0x7fff
                                        ; implicit-def: $vgpr2
; %bb.200:                              ;   in Loop: Header=BB145_4 Depth=1
	s_and_not1_saveexec_b32 s20, s20
	s_cbranch_execz .LBB145_2
; %bb.201:                              ;   in Loop: Header=BB145_4 Depth=1
	v_and_b32_e32 v12, 0xffff, v2
	v_or_b32_e32 v13, 0x10000, v2
	s_delay_alu instid0(VALU_DEP_2) | instskip(NEXT) | instid1(VALU_DEP_2)
	v_cmp_eq_u32_e32 vcc_lo, 0, v12
	v_cndmask_b32_e32 v12, v13, v2, vcc_lo
	s_branch .LBB145_2
.LBB145_202:
	s_sendmsg sendmsg(MSG_DEALLOC_VGPRS)
	s_endpgm
	.section	.rodata,"a",@progbits
	.p2align	6, 0x0
	.amdhsa_kernel _ZN12_GLOBAL__N_127rocblas_gemm_batched_kernelIfLi16ELi16ELi64ELi64ELi4ELi64ELi4ELi4ELi64ELc67ELc78EKPK16rocblas_bfloat16S4_KPS1_EEvlllT_PT11_llS9_llS7_PT12_llPT13_lli
		.amdhsa_group_segment_fixed_size 2048
		.amdhsa_private_segment_fixed_size 0
		.amdhsa_kernarg_size 140
		.amdhsa_user_sgpr_count 2
		.amdhsa_user_sgpr_dispatch_ptr 0
		.amdhsa_user_sgpr_queue_ptr 0
		.amdhsa_user_sgpr_kernarg_segment_ptr 1
		.amdhsa_user_sgpr_dispatch_id 0
		.amdhsa_user_sgpr_kernarg_preload_length 0
		.amdhsa_user_sgpr_kernarg_preload_offset 0
		.amdhsa_user_sgpr_private_segment_size 0
		.amdhsa_wavefront_size32 1
		.amdhsa_uses_dynamic_stack 0
		.amdhsa_enable_private_segment 0
		.amdhsa_system_sgpr_workgroup_id_x 1
		.amdhsa_system_sgpr_workgroup_id_y 1
		.amdhsa_system_sgpr_workgroup_id_z 1
		.amdhsa_system_sgpr_workgroup_info 0
		.amdhsa_system_vgpr_workitem_id 1
		.amdhsa_next_free_vgpr 74
		.amdhsa_next_free_sgpr 38
		.amdhsa_named_barrier_count 0
		.amdhsa_reserve_vcc 1
		.amdhsa_float_round_mode_32 0
		.amdhsa_float_round_mode_16_64 0
		.amdhsa_float_denorm_mode_32 3
		.amdhsa_float_denorm_mode_16_64 3
		.amdhsa_fp16_overflow 0
		.amdhsa_memory_ordered 1
		.amdhsa_forward_progress 1
		.amdhsa_inst_pref_size 55
		.amdhsa_round_robin_scheduling 0
		.amdhsa_exception_fp_ieee_invalid_op 0
		.amdhsa_exception_fp_denorm_src 0
		.amdhsa_exception_fp_ieee_div_zero 0
		.amdhsa_exception_fp_ieee_overflow 0
		.amdhsa_exception_fp_ieee_underflow 0
		.amdhsa_exception_fp_ieee_inexact 0
		.amdhsa_exception_int_div_zero 0
	.end_amdhsa_kernel
	.section	.text._ZN12_GLOBAL__N_127rocblas_gemm_batched_kernelIfLi16ELi16ELi64ELi64ELi4ELi64ELi4ELi4ELi64ELc67ELc78EKPK16rocblas_bfloat16S4_KPS1_EEvlllT_PT11_llS9_llS7_PT12_llPT13_lli,"axG",@progbits,_ZN12_GLOBAL__N_127rocblas_gemm_batched_kernelIfLi16ELi16ELi64ELi64ELi4ELi64ELi4ELi4ELi64ELc67ELc78EKPK16rocblas_bfloat16S4_KPS1_EEvlllT_PT11_llS9_llS7_PT12_llPT13_lli,comdat
.Lfunc_end145:
	.size	_ZN12_GLOBAL__N_127rocblas_gemm_batched_kernelIfLi16ELi16ELi64ELi64ELi4ELi64ELi4ELi4ELi64ELc67ELc78EKPK16rocblas_bfloat16S4_KPS1_EEvlllT_PT11_llS9_llS7_PT12_llPT13_lli, .Lfunc_end145-_ZN12_GLOBAL__N_127rocblas_gemm_batched_kernelIfLi16ELi16ELi64ELi64ELi4ELi64ELi4ELi4ELi64ELc67ELc78EKPK16rocblas_bfloat16S4_KPS1_EEvlllT_PT11_llS9_llS7_PT12_llPT13_lli
                                        ; -- End function
	.set _ZN12_GLOBAL__N_127rocblas_gemm_batched_kernelIfLi16ELi16ELi64ELi64ELi4ELi64ELi4ELi4ELi64ELc67ELc78EKPK16rocblas_bfloat16S4_KPS1_EEvlllT_PT11_llS9_llS7_PT12_llPT13_lli.num_vgpr, 74
	.set _ZN12_GLOBAL__N_127rocblas_gemm_batched_kernelIfLi16ELi16ELi64ELi64ELi4ELi64ELi4ELi4ELi64ELc67ELc78EKPK16rocblas_bfloat16S4_KPS1_EEvlllT_PT11_llS9_llS7_PT12_llPT13_lli.num_agpr, 0
	.set _ZN12_GLOBAL__N_127rocblas_gemm_batched_kernelIfLi16ELi16ELi64ELi64ELi4ELi64ELi4ELi4ELi64ELc67ELc78EKPK16rocblas_bfloat16S4_KPS1_EEvlllT_PT11_llS9_llS7_PT12_llPT13_lli.numbered_sgpr, 38
	.set _ZN12_GLOBAL__N_127rocblas_gemm_batched_kernelIfLi16ELi16ELi64ELi64ELi4ELi64ELi4ELi4ELi64ELc67ELc78EKPK16rocblas_bfloat16S4_KPS1_EEvlllT_PT11_llS9_llS7_PT12_llPT13_lli.num_named_barrier, 0
	.set _ZN12_GLOBAL__N_127rocblas_gemm_batched_kernelIfLi16ELi16ELi64ELi64ELi4ELi64ELi4ELi4ELi64ELc67ELc78EKPK16rocblas_bfloat16S4_KPS1_EEvlllT_PT11_llS9_llS7_PT12_llPT13_lli.private_seg_size, 0
	.set _ZN12_GLOBAL__N_127rocblas_gemm_batched_kernelIfLi16ELi16ELi64ELi64ELi4ELi64ELi4ELi4ELi64ELc67ELc78EKPK16rocblas_bfloat16S4_KPS1_EEvlllT_PT11_llS9_llS7_PT12_llPT13_lli.uses_vcc, 1
	.set _ZN12_GLOBAL__N_127rocblas_gemm_batched_kernelIfLi16ELi16ELi64ELi64ELi4ELi64ELi4ELi4ELi64ELc67ELc78EKPK16rocblas_bfloat16S4_KPS1_EEvlllT_PT11_llS9_llS7_PT12_llPT13_lli.uses_flat_scratch, 0
	.set _ZN12_GLOBAL__N_127rocblas_gemm_batched_kernelIfLi16ELi16ELi64ELi64ELi4ELi64ELi4ELi4ELi64ELc67ELc78EKPK16rocblas_bfloat16S4_KPS1_EEvlllT_PT11_llS9_llS7_PT12_llPT13_lli.has_dyn_sized_stack, 0
	.set _ZN12_GLOBAL__N_127rocblas_gemm_batched_kernelIfLi16ELi16ELi64ELi64ELi4ELi64ELi4ELi4ELi64ELc67ELc78EKPK16rocblas_bfloat16S4_KPS1_EEvlllT_PT11_llS9_llS7_PT12_llPT13_lli.has_recursion, 0
	.set _ZN12_GLOBAL__N_127rocblas_gemm_batched_kernelIfLi16ELi16ELi64ELi64ELi4ELi64ELi4ELi4ELi64ELc67ELc78EKPK16rocblas_bfloat16S4_KPS1_EEvlllT_PT11_llS9_llS7_PT12_llPT13_lli.has_indirect_call, 0
	.section	.AMDGPU.csdata,"",@progbits
; Kernel info:
; codeLenInByte = 6980
; TotalNumSgprs: 40
; NumVgprs: 74
; ScratchSize: 0
; MemoryBound: 0
; FloatMode: 240
; IeeeMode: 1
; LDSByteSize: 2048 bytes/workgroup (compile time only)
; SGPRBlocks: 0
; VGPRBlocks: 4
; NumSGPRsForWavesPerEU: 40
; NumVGPRsForWavesPerEU: 74
; NamedBarCnt: 0
; Occupancy: 12
; WaveLimiterHint : 1
; COMPUTE_PGM_RSRC2:SCRATCH_EN: 0
; COMPUTE_PGM_RSRC2:USER_SGPR: 2
; COMPUTE_PGM_RSRC2:TRAP_HANDLER: 0
; COMPUTE_PGM_RSRC2:TGID_X_EN: 1
; COMPUTE_PGM_RSRC2:TGID_Y_EN: 1
; COMPUTE_PGM_RSRC2:TGID_Z_EN: 1
; COMPUTE_PGM_RSRC2:TIDIG_COMP_CNT: 1
	.section	.text._ZN12_GLOBAL__N_127rocblas_gemm_batched_kernelIfLi16ELi16ELi64ELi64ELi4ELi64ELi4ELi4ELi64ELc67ELc84EKPK16rocblas_bfloat16S4_KPS1_EEvlllT_PT11_llS9_llS7_PT12_llPT13_lli,"axG",@progbits,_ZN12_GLOBAL__N_127rocblas_gemm_batched_kernelIfLi16ELi16ELi64ELi64ELi4ELi64ELi4ELi4ELi64ELc67ELc84EKPK16rocblas_bfloat16S4_KPS1_EEvlllT_PT11_llS9_llS7_PT12_llPT13_lli,comdat
	.globl	_ZN12_GLOBAL__N_127rocblas_gemm_batched_kernelIfLi16ELi16ELi64ELi64ELi4ELi64ELi4ELi4ELi64ELc67ELc84EKPK16rocblas_bfloat16S4_KPS1_EEvlllT_PT11_llS9_llS7_PT12_llPT13_lli ; -- Begin function _ZN12_GLOBAL__N_127rocblas_gemm_batched_kernelIfLi16ELi16ELi64ELi64ELi4ELi64ELi4ELi4ELi64ELc67ELc84EKPK16rocblas_bfloat16S4_KPS1_EEvlllT_PT11_llS9_llS7_PT12_llPT13_lli
	.p2align	8
	.type	_ZN12_GLOBAL__N_127rocblas_gemm_batched_kernelIfLi16ELi16ELi64ELi64ELi4ELi64ELi4ELi4ELi64ELc67ELc84EKPK16rocblas_bfloat16S4_KPS1_EEvlllT_PT11_llS9_llS7_PT12_llPT13_lli,@function
_ZN12_GLOBAL__N_127rocblas_gemm_batched_kernelIfLi16ELi16ELi64ELi64ELi4ELi64ELi4ELi4ELi64ELc67ELc84EKPK16rocblas_bfloat16S4_KPS1_EEvlllT_PT11_llS9_llS7_PT12_llPT13_lli: ; @_ZN12_GLOBAL__N_127rocblas_gemm_batched_kernelIfLi16ELi16ELi64ELi64ELi4ELi64ELi4ELi4ELi64ELc67ELc84EKPK16rocblas_bfloat16S4_KPS1_EEvlllT_PT11_llS9_llS7_PT12_llPT13_lli
; %bb.0:
	s_load_b32 s3, s[0:1], 0x88
	s_bfe_u32 s2, ttmp6, 0x40014
	s_lshr_b32 s4, ttmp7, 16
	s_add_co_i32 s2, s2, 1
	s_bfe_u32 s6, ttmp6, 0x40008
	s_mul_i32 s5, s4, s2
	s_getreg_b32 s2, hwreg(HW_REG_IB_STS2, 6, 4)
	s_add_co_i32 s6, s6, s5
	s_cmp_eq_u32 s2, 0
	s_mov_b32 s29, 0
	s_cselect_b32 s28, s4, s6
	s_wait_kmcnt 0x0
	s_cmp_ge_i32 s28, s3
	s_cbranch_scc1 .LBB146_202
; %bb.1:
	v_bfe_u32 v2, v0, 10, 10
	v_and_b32_e32 v6, 0x3ff, v0
	s_bfe_u32 s31, ttmp6, 0x4000c
	s_bfe_u32 s33, ttmp6, 0x40010
	s_clause 0x2
	s_load_b256 s[4:11], s[0:1], 0x20
	s_load_b128 s[24:27], s[0:1], 0x40
	s_load_b128 s[20:23], s[0:1], 0x78
	v_dual_mov_b32 v3, 0 :: v_dual_lshlrev_b32 v14, 4, v2
	s_add_co_i32 s31, s31, 1
	s_and_b32 s34, ttmp7, 0xffff
	s_add_co_i32 s33, s33, 1
	s_and_b32 s30, ttmp6, 15
	s_mul_i32 s31, ttmp9, s31
	s_mul_i32 s33, s34, s33
	s_bfe_u32 s35, ttmp6, 0x40004
	v_dual_add_nc_u32 v15, v14, v6 :: v_dual_bitop2_b32 v17, 3, v0 bitop3:0x40
	s_add_co_i32 s30, s30, s31
	s_add_co_i32 s35, s35, s33
	s_cmp_eq_u32 s2, 0
	s_delay_alu instid0(VALU_DEP_1)
	v_dual_lshrrev_b32 v8, 2, v15 :: v_dual_bitop2_b32 v16, 63, v15 bitop3:0x40
	s_cselect_b32 s30, ttmp9, s30
	s_cselect_b32 s2, s34, s35
	s_ashr_i32 s31, s30, 31
	s_load_b256 s[12:19], s[0:1], 0x58
	s_lshl_b64 s[34:35], s[30:31], 6
	v_dual_mov_b32 v9, v3 :: v_dual_mov_b32 v7, v3
	v_dual_mov_b32 v1, s35 :: v_dual_bitop2_b32 v0, s34, v16 bitop3:0x54
	s_lshl_b32 s36, s2, 6
	s_wait_kmcnt 0x0
	s_delay_alu instid0(VALU_DEP_2)
	v_mad_nc_u64_u32 v[12:13], s24, v17, v[8:9]
	s_mov_b32 s37, s29
	s_load_b32 s30, s[0:1], 0x50
	v_mul_u64_e32 v[10:11], s[6:7], v[0:1]
	v_add_nc_u64_e32 v[4:5], s[36:37], v[2:3]
	s_wait_xcnt 0x0
	s_load_b96 s[0:2], s[0:1], 0x10
	v_dual_lshlrev_b32 v2, 2, v17 :: v_dual_lshlrev_b32 v36, 2, v6
	v_dual_lshrrev_b32 v15, 6, v15 :: v_dual_lshlrev_b32 v9, 2, v16
	v_add_nc_u64_e32 v[6:7], s[34:35], v[6:7]
	s_delay_alu instid0(VALU_DEP_4)
	v_mul_u64_e32 v[0:1], s[20:21], v[4:5]
	v_mad_u32 v13, s25, v17, v13
	v_mul_u64_e32 v[4:5], s[14:15], v[4:5]
	v_lshl_or_b32 v2, v8, 4, v2
	v_lshl_or_b32 v38, v15, 8, v9
	v_add_nc_u32_e32 v37, 0x400, v14
	s_delay_alu instid0(VALU_DEP_3)
	v_add_nc_u32_e32 v39, 0x400, v2
	v_lshlrev_b32_e32 v2, 1, v15
	s_wait_kmcnt 0x0
	s_cmp_eq_f32 s30, 0
	v_add_nc_u64_e32 v[12:13], s[36:37], v[12:13]
	s_cselect_b32 s31, -1, 0
	s_lshl_b64 s[6:7], s[8:9], 1
	s_lshl_b64 s[8:9], s[14:15], 4
	;; [unrolled: 1-line block ×3, first 2 shown]
	s_delay_alu instid0(VALU_DEP_1) | instskip(SKIP_3) | instid1(VALU_DEP_2)
	v_lshlrev_b64_e32 v[8:9], 1, v[12:13]
	s_lshl_b64 s[16:17], s[16:17], 1
	v_lshl_add_u64 v[10:11], v[10:11], 1, s[6:7]
	s_lshl_b64 s[6:7], s[20:21], 4
	v_lshl_add_u64 v[8:9], s[26:27], 1, v[8:9]
	v_cmp_gt_i64_e64 s26, s[0:1], 0
	s_lshl_b64 s[20:21], s[22:23], 1
	v_add_nc_u64_e32 v[10:11], v[10:11], v[2:3]
	s_branch .LBB146_4
.LBB146_2:                              ;   in Loop: Header=BB146_4 Depth=1
	s_or_b32 exec_lo, exec_lo, s22
	flat_store_d16_hi_b16 v[18:19], v12 offset:96
.LBB146_3:                              ;   in Loop: Header=BB146_4 Depth=1
	s_add_co_i32 s28, s28, 0x10000
	s_delay_alu instid0(SALU_CYCLE_1)
	s_cmp_lt_i32 s28, s3
	s_cbranch_scc0 .LBB146_202
.LBB146_4:                              ; =>This Loop Header: Depth=1
                                        ;     Child Loop BB146_6 Depth 2
	s_wait_xcnt 0x0
	v_dual_mov_b32 v2, s28 :: v_dual_mov_b32 v27, 0
	v_dual_mov_b32 v26, 0 :: v_dual_mov_b32 v25, 0
	;; [unrolled: 1-line block ×3, first 2 shown]
	s_clause 0x1
	global_load_b64 v[28:29], v2, s[12:13] scale_offset
	global_load_b64 v[30:31], v2, s[18:19] scale_offset
	v_dual_mov_b32 v22, 0 :: v_dual_mov_b32 v21, 0
	s_wait_xcnt 0x2
	v_dual_mov_b32 v20, 0 :: v_dual_mov_b32 v19, 0
	v_dual_mov_b32 v18, 0 :: v_dual_mov_b32 v17, 0
	;; [unrolled: 1-line block ×4, first 2 shown]
	v_mov_b32_e32 v12, 0
	s_and_not1_b32 vcc_lo, exec_lo, s26
	s_cbranch_vccnz .LBB146_7
; %bb.5:                                ;   in Loop: Header=BB146_4 Depth=1
	s_lshl_b64 s[22:23], s[28:29], 3
	v_mov_b32_e32 v12, 0
	s_add_nc_u64 s[24:25], s[10:11], s[22:23]
	s_add_nc_u64 s[22:23], s[4:5], s[22:23]
	s_clause 0x1
	global_load_b64 v[26:27], v3, s[24:25]
	global_load_b64 v[34:35], v3, s[22:23]
	s_wait_xcnt 0x0
	s_mov_b64 s[22:23], 0
	v_dual_mov_b32 v13, v12 :: v_dual_mov_b32 v14, v12
	v_dual_mov_b32 v15, v12 :: v_dual_mov_b32 v16, v12
	;; [unrolled: 1-line block ×6, first 2 shown]
	v_mov_b32_e32 v25, v12
	s_wait_loadcnt 0x1
	v_add_nc_u64_e32 v[32:33], v[26:27], v[8:9]
	s_wait_loadcnt 0x0
	v_add_nc_u64_e32 v[34:35], v[34:35], v[10:11]
	v_dual_mov_b32 v26, v12 :: v_dual_mov_b32 v27, v12
.LBB146_6:                              ;   Parent Loop BB146_4 Depth=1
                                        ; =>  This Inner Loop Header: Depth=2
	flat_load_u16 v2, v[34:35]
	flat_load_u16 v40, v[32:33]
	s_add_nc_u64 s[22:23], s[22:23], 4
	s_wait_xcnt 0x0
	v_add_nc_u64_e32 v[32:33], s[14:15], v[32:33]
	v_cmp_lt_i64_e64 s24, s[22:23], s[0:1]
	v_add_nc_u64_e32 v[34:35], 8, v[34:35]
	s_and_b32 vcc_lo, exec_lo, s24
	s_wait_loadcnt_dscnt 0x0
	v_dual_lshlrev_b32 v2, 16, v2 :: v_dual_lshlrev_b32 v40, 16, v40
	ds_store_b32 v38, v2
	ds_store_b32 v39, v40
	s_wait_dscnt 0x0
	s_barrier_signal -1
	s_barrier_wait -1
	ds_load_b128 v[40:43], v37
	ds_load_2addr_b32 v[56:57], v36 offset1:16
	ds_load_2addr_b32 v[58:59], v36 offset0:32 offset1:48
	ds_load_b128 v[44:47], v37 offset:256
	ds_load_b128 v[48:51], v37 offset:512
	;; [unrolled: 1-line block ×3, first 2 shown]
	ds_load_2addr_b32 v[60:61], v36 offset0:64 offset1:80
	ds_load_2addr_b32 v[62:63], v36 offset0:96 offset1:112
	;; [unrolled: 1-line block ×6, first 2 shown]
	s_wait_dscnt 0x0
	s_barrier_signal -1
	s_barrier_wait -1
	v_mov_b32_e32 v2, v43
	v_pk_fma_f32 v[26:27], v[56:57], v[40:41], v[26:27] op_sel_hi:[1,0,1]
	v_pk_fma_f32 v[24:25], v[58:59], v[40:41], v[24:25] op_sel_hi:[1,0,1]
	;; [unrolled: 1-line block ×8, first 2 shown]
	v_pk_fma_f32 v[26:27], v[60:61], v[40:41], v[26:27] op_sel:[0,1,0]
	v_pk_fma_f32 v[24:25], v[62:63], v[40:41], v[24:25] op_sel:[0,1,0]
	;; [unrolled: 1-line block ×8, first 2 shown]
	v_dual_mov_b32 v56, v47 :: v_dual_mov_b32 v58, v51
	v_mov_b32_e32 v72, v55
	v_pk_fma_f32 v[26:27], v[64:65], v[42:43], v[26:27] op_sel_hi:[1,0,1]
	v_pk_fma_f32 v[24:25], v[66:67], v[42:43], v[24:25] op_sel_hi:[1,0,1]
	;; [unrolled: 1-line block ×16, first 2 shown]
	s_cbranch_vccnz .LBB146_6
.LBB146_7:                              ;   in Loop: Header=BB146_4 Depth=1
	s_wait_loadcnt 0x0
	v_add_nc_u64_e32 v[30:31], s[20:21], v[30:31]
	s_and_not1_b32 vcc_lo, exec_lo, s31
	s_cbranch_vccnz .LBB146_73
; %bb.8:                                ;   in Loop: Header=BB146_4 Depth=1
	v_mul_f32_e32 v32, s2, v26
	s_wait_xcnt 0x0
	s_delay_alu instid0(VALU_DEP_1) | instskip(NEXT) | instid1(VALU_DEP_1)
	v_and_b32_e32 v2, 0x7f800000, v32
	v_cmp_ne_u32_e32 vcc_lo, 0x7f800000, v2
                                        ; implicit-def: $vgpr2
	s_and_saveexec_b32 s22, vcc_lo
	s_delay_alu instid0(SALU_CYCLE_1)
	s_xor_b32 s22, exec_lo, s22
; %bb.9:                                ;   in Loop: Header=BB146_4 Depth=1
	v_bfe_u32 v2, v32, 16, 1
	s_delay_alu instid0(VALU_DEP_1)
	v_add3_u32 v2, v32, v2, 0x7fff
                                        ; implicit-def: $vgpr32
; %bb.10:                               ;   in Loop: Header=BB146_4 Depth=1
	s_and_not1_saveexec_b32 s22, s22
; %bb.11:                               ;   in Loop: Header=BB146_4 Depth=1
	v_and_b32_e32 v2, 0xffff, v32
	v_or_b32_e32 v33, 0x10000, v32
	s_delay_alu instid0(VALU_DEP_2) | instskip(NEXT) | instid1(VALU_DEP_2)
	v_cmp_eq_u32_e32 vcc_lo, 0, v2
	v_cndmask_b32_e32 v2, v33, v32, vcc_lo
; %bb.12:                               ;   in Loop: Header=BB146_4 Depth=1
	s_or_b32 exec_lo, exec_lo, s22
	v_mul_f32_e32 v40, s2, v27
	v_lshl_add_u64 v[32:33], v[0:1], 1, v[30:31]
	s_delay_alu instid0(VALU_DEP_2) | instskip(NEXT) | instid1(VALU_DEP_2)
	v_and_b32_e32 v41, 0x7f800000, v40
	v_lshl_add_u64 v[34:35], v[6:7], 1, v[32:33]
	s_delay_alu instid0(VALU_DEP_2) | instskip(SKIP_3) | instid1(SALU_CYCLE_1)
	v_cmp_ne_u32_e32 vcc_lo, 0x7f800000, v41
	flat_store_d16_hi_b16 v[34:35], v2
                                        ; implicit-def: $vgpr41
	s_wait_xcnt 0x0
	s_and_saveexec_b32 s22, vcc_lo
	s_xor_b32 s22, exec_lo, s22
; %bb.13:                               ;   in Loop: Header=BB146_4 Depth=1
	v_bfe_u32 v2, v40, 16, 1
	s_delay_alu instid0(VALU_DEP_1)
	v_add3_u32 v41, v40, v2, 0x7fff
                                        ; implicit-def: $vgpr40
; %bb.14:                               ;   in Loop: Header=BB146_4 Depth=1
	s_and_not1_saveexec_b32 s22, s22
; %bb.15:                               ;   in Loop: Header=BB146_4 Depth=1
	v_and_b32_e32 v2, 0xffff, v40
	v_or_b32_e32 v41, 0x10000, v40
	s_delay_alu instid0(VALU_DEP_2) | instskip(NEXT) | instid1(VALU_DEP_2)
	v_cmp_eq_u32_e32 vcc_lo, 0, v2
	v_cndmask_b32_e32 v41, v41, v40, vcc_lo
; %bb.16:                               ;   in Loop: Header=BB146_4 Depth=1
	s_or_b32 exec_lo, exec_lo, s22
	v_mul_f32_e32 v2, s2, v24
	flat_store_d16_hi_b16 v[34:35], v41 offset:32
	v_and_b32_e32 v40, 0x7f800000, v2
	s_delay_alu instid0(VALU_DEP_1) | instskip(SKIP_2) | instid1(SALU_CYCLE_1)
	v_cmp_ne_u32_e32 vcc_lo, 0x7f800000, v40
                                        ; implicit-def: $vgpr40
	s_wait_xcnt 0x0
	s_and_saveexec_b32 s22, vcc_lo
	s_xor_b32 s22, exec_lo, s22
; %bb.17:                               ;   in Loop: Header=BB146_4 Depth=1
	v_bfe_u32 v40, v2, 16, 1
	s_delay_alu instid0(VALU_DEP_1)
	v_add3_u32 v40, v2, v40, 0x7fff
                                        ; implicit-def: $vgpr2
; %bb.18:                               ;   in Loop: Header=BB146_4 Depth=1
	s_and_not1_saveexec_b32 s22, s22
; %bb.19:                               ;   in Loop: Header=BB146_4 Depth=1
	v_and_b32_e32 v40, 0xffff, v2
	v_or_b32_e32 v41, 0x10000, v2
	s_delay_alu instid0(VALU_DEP_2) | instskip(NEXT) | instid1(VALU_DEP_2)
	v_cmp_eq_u32_e32 vcc_lo, 0, v40
	v_cndmask_b32_e32 v40, v41, v2, vcc_lo
; %bb.20:                               ;   in Loop: Header=BB146_4 Depth=1
	s_or_b32 exec_lo, exec_lo, s22
	v_mul_f32_e32 v2, s2, v25
	flat_store_d16_hi_b16 v[34:35], v40 offset:64
	v_and_b32_e32 v41, 0x7f800000, v2
	s_delay_alu instid0(VALU_DEP_1) | instskip(SKIP_2) | instid1(SALU_CYCLE_1)
	v_cmp_ne_u32_e32 vcc_lo, 0x7f800000, v41
                                        ; implicit-def: $vgpr41
	s_wait_xcnt 0x0
	s_and_saveexec_b32 s22, vcc_lo
	s_xor_b32 s22, exec_lo, s22
; %bb.21:                               ;   in Loop: Header=BB146_4 Depth=1
	v_bfe_u32 v40, v2, 16, 1
	s_delay_alu instid0(VALU_DEP_1)
	v_add3_u32 v41, v2, v40, 0x7fff
                                        ; implicit-def: $vgpr2
; %bb.22:                               ;   in Loop: Header=BB146_4 Depth=1
	s_and_not1_saveexec_b32 s22, s22
; %bb.23:                               ;   in Loop: Header=BB146_4 Depth=1
	v_and_b32_e32 v40, 0xffff, v2
	v_or_b32_e32 v41, 0x10000, v2
	s_delay_alu instid0(VALU_DEP_2) | instskip(NEXT) | instid1(VALU_DEP_2)
	v_cmp_eq_u32_e32 vcc_lo, 0, v40
	v_cndmask_b32_e32 v41, v41, v2, vcc_lo
; %bb.24:                               ;   in Loop: Header=BB146_4 Depth=1
	s_or_b32 exec_lo, exec_lo, s22
	v_mul_f32_e32 v40, s2, v22
	flat_store_d16_hi_b16 v[34:35], v41 offset:96
	v_and_b32_e32 v2, 0x7f800000, v40
	s_delay_alu instid0(VALU_DEP_1) | instskip(SKIP_2) | instid1(SALU_CYCLE_1)
	v_cmp_ne_u32_e32 vcc_lo, 0x7f800000, v2
                                        ; implicit-def: $vgpr2
	s_wait_xcnt 0x0
	s_and_saveexec_b32 s22, vcc_lo
	s_xor_b32 s22, exec_lo, s22
; %bb.25:                               ;   in Loop: Header=BB146_4 Depth=1
	v_bfe_u32 v2, v40, 16, 1
	s_delay_alu instid0(VALU_DEP_1)
	v_add3_u32 v2, v40, v2, 0x7fff
                                        ; implicit-def: $vgpr40
; %bb.26:                               ;   in Loop: Header=BB146_4 Depth=1
	s_and_not1_saveexec_b32 s22, s22
; %bb.27:                               ;   in Loop: Header=BB146_4 Depth=1
	v_and_b32_e32 v2, 0xffff, v40
	v_or_b32_e32 v34, 0x10000, v40
	s_delay_alu instid0(VALU_DEP_2) | instskip(NEXT) | instid1(VALU_DEP_2)
	v_cmp_eq_u32_e32 vcc_lo, 0, v2
	v_cndmask_b32_e32 v2, v34, v40, vcc_lo
; %bb.28:                               ;   in Loop: Header=BB146_4 Depth=1
	s_or_b32 exec_lo, exec_lo, s22
	v_mul_f32_e32 v40, s2, v23
	v_lshl_add_u64 v[32:33], s[6:7], 1, v[32:33]
	s_delay_alu instid0(VALU_DEP_2) | instskip(NEXT) | instid1(VALU_DEP_2)
	v_and_b32_e32 v41, 0x7f800000, v40
	v_lshl_add_u64 v[34:35], v[6:7], 1, v[32:33]
	s_delay_alu instid0(VALU_DEP_2) | instskip(SKIP_3) | instid1(SALU_CYCLE_1)
	v_cmp_ne_u32_e32 vcc_lo, 0x7f800000, v41
	flat_store_d16_hi_b16 v[34:35], v2
                                        ; implicit-def: $vgpr41
	s_wait_xcnt 0x0
	s_and_saveexec_b32 s22, vcc_lo
	s_xor_b32 s22, exec_lo, s22
; %bb.29:                               ;   in Loop: Header=BB146_4 Depth=1
	v_bfe_u32 v2, v40, 16, 1
	s_delay_alu instid0(VALU_DEP_1)
	v_add3_u32 v41, v40, v2, 0x7fff
                                        ; implicit-def: $vgpr40
; %bb.30:                               ;   in Loop: Header=BB146_4 Depth=1
	s_and_not1_saveexec_b32 s22, s22
; %bb.31:                               ;   in Loop: Header=BB146_4 Depth=1
	v_and_b32_e32 v2, 0xffff, v40
	v_or_b32_e32 v41, 0x10000, v40
	s_delay_alu instid0(VALU_DEP_2) | instskip(NEXT) | instid1(VALU_DEP_2)
	v_cmp_eq_u32_e32 vcc_lo, 0, v2
	v_cndmask_b32_e32 v41, v41, v40, vcc_lo
; %bb.32:                               ;   in Loop: Header=BB146_4 Depth=1
	s_or_b32 exec_lo, exec_lo, s22
	v_mul_f32_e32 v2, s2, v20
	flat_store_d16_hi_b16 v[34:35], v41 offset:32
	v_and_b32_e32 v40, 0x7f800000, v2
	s_delay_alu instid0(VALU_DEP_1) | instskip(SKIP_2) | instid1(SALU_CYCLE_1)
	v_cmp_ne_u32_e32 vcc_lo, 0x7f800000, v40
                                        ; implicit-def: $vgpr40
	s_wait_xcnt 0x0
	s_and_saveexec_b32 s22, vcc_lo
	s_xor_b32 s22, exec_lo, s22
; %bb.33:                               ;   in Loop: Header=BB146_4 Depth=1
	v_bfe_u32 v40, v2, 16, 1
	s_delay_alu instid0(VALU_DEP_1)
	v_add3_u32 v40, v2, v40, 0x7fff
                                        ; implicit-def: $vgpr2
; %bb.34:                               ;   in Loop: Header=BB146_4 Depth=1
	s_and_not1_saveexec_b32 s22, s22
; %bb.35:                               ;   in Loop: Header=BB146_4 Depth=1
	v_and_b32_e32 v40, 0xffff, v2
	v_or_b32_e32 v41, 0x10000, v2
	s_delay_alu instid0(VALU_DEP_2) | instskip(NEXT) | instid1(VALU_DEP_2)
	v_cmp_eq_u32_e32 vcc_lo, 0, v40
	v_cndmask_b32_e32 v40, v41, v2, vcc_lo
; %bb.36:                               ;   in Loop: Header=BB146_4 Depth=1
	s_or_b32 exec_lo, exec_lo, s22
	v_mul_f32_e32 v2, s2, v21
	flat_store_d16_hi_b16 v[34:35], v40 offset:64
	v_and_b32_e32 v41, 0x7f800000, v2
	s_delay_alu instid0(VALU_DEP_1) | instskip(SKIP_2) | instid1(SALU_CYCLE_1)
	v_cmp_ne_u32_e32 vcc_lo, 0x7f800000, v41
                                        ; implicit-def: $vgpr41
	s_wait_xcnt 0x0
	s_and_saveexec_b32 s22, vcc_lo
	s_xor_b32 s22, exec_lo, s22
; %bb.37:                               ;   in Loop: Header=BB146_4 Depth=1
	v_bfe_u32 v40, v2, 16, 1
	s_delay_alu instid0(VALU_DEP_1)
	v_add3_u32 v41, v2, v40, 0x7fff
                                        ; implicit-def: $vgpr2
; %bb.38:                               ;   in Loop: Header=BB146_4 Depth=1
	s_and_not1_saveexec_b32 s22, s22
; %bb.39:                               ;   in Loop: Header=BB146_4 Depth=1
	v_and_b32_e32 v40, 0xffff, v2
	v_or_b32_e32 v41, 0x10000, v2
	s_delay_alu instid0(VALU_DEP_2) | instskip(NEXT) | instid1(VALU_DEP_2)
	v_cmp_eq_u32_e32 vcc_lo, 0, v40
	v_cndmask_b32_e32 v41, v41, v2, vcc_lo
; %bb.40:                               ;   in Loop: Header=BB146_4 Depth=1
	s_or_b32 exec_lo, exec_lo, s22
	v_mul_f32_e32 v40, s2, v18
	flat_store_d16_hi_b16 v[34:35], v41 offset:96
	v_and_b32_e32 v2, 0x7f800000, v40
	s_delay_alu instid0(VALU_DEP_1) | instskip(SKIP_2) | instid1(SALU_CYCLE_1)
	v_cmp_ne_u32_e32 vcc_lo, 0x7f800000, v2
                                        ; implicit-def: $vgpr2
	s_wait_xcnt 0x0
	s_and_saveexec_b32 s22, vcc_lo
	s_xor_b32 s22, exec_lo, s22
; %bb.41:                               ;   in Loop: Header=BB146_4 Depth=1
	v_bfe_u32 v2, v40, 16, 1
	s_delay_alu instid0(VALU_DEP_1)
	v_add3_u32 v2, v40, v2, 0x7fff
                                        ; implicit-def: $vgpr40
; %bb.42:                               ;   in Loop: Header=BB146_4 Depth=1
	s_and_not1_saveexec_b32 s22, s22
; %bb.43:                               ;   in Loop: Header=BB146_4 Depth=1
	v_and_b32_e32 v2, 0xffff, v40
	v_or_b32_e32 v34, 0x10000, v40
	s_delay_alu instid0(VALU_DEP_2) | instskip(NEXT) | instid1(VALU_DEP_2)
	v_cmp_eq_u32_e32 vcc_lo, 0, v2
	v_cndmask_b32_e32 v2, v34, v40, vcc_lo
; %bb.44:                               ;   in Loop: Header=BB146_4 Depth=1
	s_or_b32 exec_lo, exec_lo, s22
	v_mul_f32_e32 v40, s2, v19
	v_lshl_add_u64 v[32:33], s[6:7], 1, v[32:33]
	s_delay_alu instid0(VALU_DEP_2) | instskip(NEXT) | instid1(VALU_DEP_2)
	v_and_b32_e32 v41, 0x7f800000, v40
	v_lshl_add_u64 v[34:35], v[6:7], 1, v[32:33]
	s_delay_alu instid0(VALU_DEP_2) | instskip(SKIP_3) | instid1(SALU_CYCLE_1)
	v_cmp_ne_u32_e32 vcc_lo, 0x7f800000, v41
	flat_store_d16_hi_b16 v[34:35], v2
                                        ; implicit-def: $vgpr41
	s_wait_xcnt 0x0
	s_and_saveexec_b32 s22, vcc_lo
	s_xor_b32 s22, exec_lo, s22
; %bb.45:                               ;   in Loop: Header=BB146_4 Depth=1
	v_bfe_u32 v2, v40, 16, 1
	s_delay_alu instid0(VALU_DEP_1)
	v_add3_u32 v41, v40, v2, 0x7fff
                                        ; implicit-def: $vgpr40
; %bb.46:                               ;   in Loop: Header=BB146_4 Depth=1
	s_and_not1_saveexec_b32 s22, s22
; %bb.47:                               ;   in Loop: Header=BB146_4 Depth=1
	v_and_b32_e32 v2, 0xffff, v40
	v_or_b32_e32 v41, 0x10000, v40
	s_delay_alu instid0(VALU_DEP_2) | instskip(NEXT) | instid1(VALU_DEP_2)
	v_cmp_eq_u32_e32 vcc_lo, 0, v2
	v_cndmask_b32_e32 v41, v41, v40, vcc_lo
; %bb.48:                               ;   in Loop: Header=BB146_4 Depth=1
	s_or_b32 exec_lo, exec_lo, s22
	v_mul_f32_e32 v2, s2, v16
	flat_store_d16_hi_b16 v[34:35], v41 offset:32
	v_and_b32_e32 v40, 0x7f800000, v2
	s_delay_alu instid0(VALU_DEP_1) | instskip(SKIP_2) | instid1(SALU_CYCLE_1)
	v_cmp_ne_u32_e32 vcc_lo, 0x7f800000, v40
                                        ; implicit-def: $vgpr40
	s_wait_xcnt 0x0
	s_and_saveexec_b32 s22, vcc_lo
	s_xor_b32 s22, exec_lo, s22
; %bb.49:                               ;   in Loop: Header=BB146_4 Depth=1
	v_bfe_u32 v40, v2, 16, 1
	s_delay_alu instid0(VALU_DEP_1)
	v_add3_u32 v40, v2, v40, 0x7fff
                                        ; implicit-def: $vgpr2
; %bb.50:                               ;   in Loop: Header=BB146_4 Depth=1
	s_and_not1_saveexec_b32 s22, s22
; %bb.51:                               ;   in Loop: Header=BB146_4 Depth=1
	v_and_b32_e32 v40, 0xffff, v2
	v_or_b32_e32 v41, 0x10000, v2
	s_delay_alu instid0(VALU_DEP_2) | instskip(NEXT) | instid1(VALU_DEP_2)
	v_cmp_eq_u32_e32 vcc_lo, 0, v40
	v_cndmask_b32_e32 v40, v41, v2, vcc_lo
; %bb.52:                               ;   in Loop: Header=BB146_4 Depth=1
	s_or_b32 exec_lo, exec_lo, s22
	v_mul_f32_e32 v2, s2, v17
	flat_store_d16_hi_b16 v[34:35], v40 offset:64
	v_and_b32_e32 v41, 0x7f800000, v2
	s_delay_alu instid0(VALU_DEP_1) | instskip(SKIP_2) | instid1(SALU_CYCLE_1)
	v_cmp_ne_u32_e32 vcc_lo, 0x7f800000, v41
                                        ; implicit-def: $vgpr41
	s_wait_xcnt 0x0
	s_and_saveexec_b32 s22, vcc_lo
	s_xor_b32 s22, exec_lo, s22
; %bb.53:                               ;   in Loop: Header=BB146_4 Depth=1
	v_bfe_u32 v40, v2, 16, 1
	s_delay_alu instid0(VALU_DEP_1)
	v_add3_u32 v41, v2, v40, 0x7fff
                                        ; implicit-def: $vgpr2
; %bb.54:                               ;   in Loop: Header=BB146_4 Depth=1
	s_and_not1_saveexec_b32 s22, s22
; %bb.55:                               ;   in Loop: Header=BB146_4 Depth=1
	v_and_b32_e32 v40, 0xffff, v2
	v_or_b32_e32 v41, 0x10000, v2
	s_delay_alu instid0(VALU_DEP_2) | instskip(NEXT) | instid1(VALU_DEP_2)
	v_cmp_eq_u32_e32 vcc_lo, 0, v40
	v_cndmask_b32_e32 v41, v41, v2, vcc_lo
; %bb.56:                               ;   in Loop: Header=BB146_4 Depth=1
	s_or_b32 exec_lo, exec_lo, s22
	v_mul_f32_e32 v40, s2, v14
	flat_store_d16_hi_b16 v[34:35], v41 offset:96
	v_and_b32_e32 v2, 0x7f800000, v40
	s_delay_alu instid0(VALU_DEP_1) | instskip(SKIP_2) | instid1(SALU_CYCLE_1)
	v_cmp_ne_u32_e32 vcc_lo, 0x7f800000, v2
                                        ; implicit-def: $vgpr2
	s_wait_xcnt 0x0
	s_and_saveexec_b32 s22, vcc_lo
	s_xor_b32 s22, exec_lo, s22
; %bb.57:                               ;   in Loop: Header=BB146_4 Depth=1
	v_bfe_u32 v2, v40, 16, 1
	s_delay_alu instid0(VALU_DEP_1)
	v_add3_u32 v2, v40, v2, 0x7fff
                                        ; implicit-def: $vgpr40
; %bb.58:                               ;   in Loop: Header=BB146_4 Depth=1
	s_and_not1_saveexec_b32 s22, s22
; %bb.59:                               ;   in Loop: Header=BB146_4 Depth=1
	v_and_b32_e32 v2, 0xffff, v40
	v_or_b32_e32 v34, 0x10000, v40
	s_delay_alu instid0(VALU_DEP_2) | instskip(NEXT) | instid1(VALU_DEP_2)
	v_cmp_eq_u32_e32 vcc_lo, 0, v2
	v_cndmask_b32_e32 v2, v34, v40, vcc_lo
; %bb.60:                               ;   in Loop: Header=BB146_4 Depth=1
	s_or_b32 exec_lo, exec_lo, s22
	v_mul_f32_e32 v34, s2, v15
	v_lshl_add_u64 v[32:33], s[6:7], 1, v[32:33]
	s_delay_alu instid0(VALU_DEP_2) | instskip(NEXT) | instid1(VALU_DEP_2)
	v_and_b32_e32 v35, 0x7f800000, v34
	v_lshl_add_u64 v[32:33], v[6:7], 1, v[32:33]
	s_delay_alu instid0(VALU_DEP_2) | instskip(SKIP_3) | instid1(SALU_CYCLE_1)
	v_cmp_ne_u32_e32 vcc_lo, 0x7f800000, v35
	flat_store_d16_hi_b16 v[32:33], v2
                                        ; implicit-def: $vgpr35
	s_wait_xcnt 0x0
	s_and_saveexec_b32 s22, vcc_lo
	s_xor_b32 s22, exec_lo, s22
; %bb.61:                               ;   in Loop: Header=BB146_4 Depth=1
	v_bfe_u32 v2, v34, 16, 1
	s_delay_alu instid0(VALU_DEP_1)
	v_add3_u32 v35, v34, v2, 0x7fff
                                        ; implicit-def: $vgpr34
; %bb.62:                               ;   in Loop: Header=BB146_4 Depth=1
	s_and_not1_saveexec_b32 s22, s22
; %bb.63:                               ;   in Loop: Header=BB146_4 Depth=1
	v_and_b32_e32 v2, 0xffff, v34
	v_or_b32_e32 v35, 0x10000, v34
	s_delay_alu instid0(VALU_DEP_2) | instskip(NEXT) | instid1(VALU_DEP_2)
	v_cmp_eq_u32_e32 vcc_lo, 0, v2
	v_cndmask_b32_e32 v35, v35, v34, vcc_lo
; %bb.64:                               ;   in Loop: Header=BB146_4 Depth=1
	s_or_b32 exec_lo, exec_lo, s22
	v_mul_f32_e32 v2, s2, v12
	flat_store_d16_hi_b16 v[32:33], v35 offset:32
	v_and_b32_e32 v34, 0x7f800000, v2
	s_delay_alu instid0(VALU_DEP_1) | instskip(SKIP_2) | instid1(SALU_CYCLE_1)
	v_cmp_ne_u32_e32 vcc_lo, 0x7f800000, v34
                                        ; implicit-def: $vgpr34
	s_wait_xcnt 0x0
	s_and_saveexec_b32 s22, vcc_lo
	s_xor_b32 s22, exec_lo, s22
; %bb.65:                               ;   in Loop: Header=BB146_4 Depth=1
	v_bfe_u32 v34, v2, 16, 1
	s_delay_alu instid0(VALU_DEP_1)
	v_add3_u32 v34, v2, v34, 0x7fff
                                        ; implicit-def: $vgpr2
; %bb.66:                               ;   in Loop: Header=BB146_4 Depth=1
	s_and_not1_saveexec_b32 s22, s22
; %bb.67:                               ;   in Loop: Header=BB146_4 Depth=1
	v_and_b32_e32 v34, 0xffff, v2
	v_or_b32_e32 v35, 0x10000, v2
	s_delay_alu instid0(VALU_DEP_2) | instskip(NEXT) | instid1(VALU_DEP_2)
	v_cmp_eq_u32_e32 vcc_lo, 0, v34
	v_cndmask_b32_e32 v34, v35, v2, vcc_lo
; %bb.68:                               ;   in Loop: Header=BB146_4 Depth=1
	s_or_b32 exec_lo, exec_lo, s22
	v_mul_f32_e32 v2, s2, v13
	s_mov_b32 s22, exec_lo
	flat_store_d16_hi_b16 v[32:33], v34 offset:64
                                        ; implicit-def: $vgpr34
	v_and_b32_e32 v35, 0x7f800000, v2
	s_wait_xcnt 0x0
	s_delay_alu instid0(VALU_DEP_1)
	v_cmpx_ne_u32_e32 0x7f800000, v35
	s_xor_b32 s22, exec_lo, s22
; %bb.69:                               ;   in Loop: Header=BB146_4 Depth=1
	v_bfe_u32 v34, v2, 16, 1
	s_delay_alu instid0(VALU_DEP_1)
	v_add3_u32 v34, v2, v34, 0x7fff
                                        ; implicit-def: $vgpr2
; %bb.70:                               ;   in Loop: Header=BB146_4 Depth=1
	s_and_not1_saveexec_b32 s22, s22
; %bb.71:                               ;   in Loop: Header=BB146_4 Depth=1
	v_and_b32_e32 v34, 0xffff, v2
	v_or_b32_e32 v35, 0x10000, v2
	s_delay_alu instid0(VALU_DEP_2) | instskip(NEXT) | instid1(VALU_DEP_2)
	v_cmp_eq_u32_e32 vcc_lo, 0, v34
	v_cndmask_b32_e32 v34, v35, v2, vcc_lo
; %bb.72:                               ;   in Loop: Header=BB146_4 Depth=1
	s_or_b32 exec_lo, exec_lo, s22
	flat_store_d16_hi_b16 v[32:33], v34 offset:96
	s_branch .LBB146_3
.LBB146_73:                             ;   in Loop: Header=BB146_4 Depth=1
	s_cbranch_execz .LBB146_3
; %bb.74:                               ;   in Loop: Header=BB146_4 Depth=1
	v_add_nc_u64_e32 v[28:29], s[16:17], v[28:29]
	s_delay_alu instid0(VALU_DEP_1) | instskip(SKIP_1) | instid1(VALU_DEP_1)
	v_lshl_add_u64 v[28:29], v[4:5], 1, v[28:29]
	s_wait_xcnt 0x0
	v_lshl_add_u64 v[32:33], v[6:7], 1, v[28:29]
	flat_load_u16 v2, v[32:33]
	s_wait_loadcnt_dscnt 0x0
	v_lshlrev_b32_e32 v2, 16, v2
	s_delay_alu instid0(VALU_DEP_1) | instskip(NEXT) | instid1(VALU_DEP_1)
	v_mul_f32_e32 v2, s30, v2
	v_and_b32_e32 v34, 0x7f800000, v2
	s_delay_alu instid0(VALU_DEP_1) | instskip(SKIP_2) | instid1(SALU_CYCLE_1)
	v_cmp_ne_u32_e32 vcc_lo, 0x7f800000, v34
                                        ; implicit-def: $vgpr34
	s_wait_xcnt 0x0
	s_and_saveexec_b32 s22, vcc_lo
	s_xor_b32 s22, exec_lo, s22
; %bb.75:                               ;   in Loop: Header=BB146_4 Depth=1
	v_bfe_u32 v34, v2, 16, 1
	s_delay_alu instid0(VALU_DEP_1)
	v_add3_u32 v34, v2, v34, 0x7fff
                                        ; implicit-def: $vgpr2
; %bb.76:                               ;   in Loop: Header=BB146_4 Depth=1
	s_and_not1_saveexec_b32 s22, s22
; %bb.77:                               ;   in Loop: Header=BB146_4 Depth=1
	v_and_b32_e32 v34, 0xffff, v2
	v_or_b32_e32 v35, 0x10000, v2
	s_delay_alu instid0(VALU_DEP_2) | instskip(NEXT) | instid1(VALU_DEP_2)
	v_cmp_eq_u32_e32 vcc_lo, 0, v34
	v_cndmask_b32_e32 v34, v35, v2, vcc_lo
; %bb.78:                               ;   in Loop: Header=BB146_4 Depth=1
	s_or_b32 exec_lo, exec_lo, s22
	s_delay_alu instid0(VALU_DEP_1) | instskip(NEXT) | instid1(VALU_DEP_1)
	v_fma_mix_f32_bf16 v2, s2, v26, v34 op_sel:[0,0,1] op_sel_hi:[0,0,1]
	v_and_b32_e32 v26, 0x7f800000, v2
	s_delay_alu instid0(VALU_DEP_1) | instskip(SKIP_1) | instid1(SALU_CYCLE_1)
	v_cmp_ne_u32_e32 vcc_lo, 0x7f800000, v26
                                        ; implicit-def: $vgpr26
	s_and_saveexec_b32 s22, vcc_lo
	s_xor_b32 s22, exec_lo, s22
; %bb.79:                               ;   in Loop: Header=BB146_4 Depth=1
	v_bfe_u32 v26, v2, 16, 1
	s_delay_alu instid0(VALU_DEP_1)
	v_add3_u32 v26, v2, v26, 0x7fff
                                        ; implicit-def: $vgpr2
; %bb.80:                               ;   in Loop: Header=BB146_4 Depth=1
	s_and_not1_saveexec_b32 s22, s22
; %bb.81:                               ;   in Loop: Header=BB146_4 Depth=1
	v_and_b32_e32 v26, 0xffff, v2
	v_or_b32_e32 v34, 0x10000, v2
	s_delay_alu instid0(VALU_DEP_2) | instskip(NEXT) | instid1(VALU_DEP_2)
	v_cmp_eq_u32_e32 vcc_lo, 0, v26
	v_cndmask_b32_e32 v26, v34, v2, vcc_lo
; %bb.82:                               ;   in Loop: Header=BB146_4 Depth=1
	s_or_b32 exec_lo, exec_lo, s22
	v_lshl_add_u64 v[30:31], v[0:1], 1, v[30:31]
	s_delay_alu instid0(VALU_DEP_1) | instskip(SKIP_4) | instid1(VALU_DEP_1)
	v_lshl_add_u64 v[34:35], v[6:7], 1, v[30:31]
	flat_store_d16_hi_b16 v[34:35], v26
	flat_load_u16 v2, v[32:33] offset:32
	s_wait_loadcnt_dscnt 0x0
	v_lshlrev_b32_e32 v2, 16, v2
	v_mul_f32_e32 v2, s30, v2
	s_wait_xcnt 0x1
	s_delay_alu instid0(VALU_DEP_1) | instskip(NEXT) | instid1(VALU_DEP_1)
	v_and_b32_e32 v26, 0x7f800000, v2
	v_cmp_ne_u32_e32 vcc_lo, 0x7f800000, v26
                                        ; implicit-def: $vgpr26
	s_wait_xcnt 0x0
	s_and_saveexec_b32 s22, vcc_lo
	s_delay_alu instid0(SALU_CYCLE_1)
	s_xor_b32 s22, exec_lo, s22
; %bb.83:                               ;   in Loop: Header=BB146_4 Depth=1
	v_bfe_u32 v26, v2, 16, 1
	s_delay_alu instid0(VALU_DEP_1)
	v_add3_u32 v26, v2, v26, 0x7fff
                                        ; implicit-def: $vgpr2
; %bb.84:                               ;   in Loop: Header=BB146_4 Depth=1
	s_and_not1_saveexec_b32 s22, s22
; %bb.85:                               ;   in Loop: Header=BB146_4 Depth=1
	v_and_b32_e32 v26, 0xffff, v2
	v_or_b32_e32 v40, 0x10000, v2
	s_delay_alu instid0(VALU_DEP_2) | instskip(NEXT) | instid1(VALU_DEP_2)
	v_cmp_eq_u32_e32 vcc_lo, 0, v26
	v_cndmask_b32_e32 v26, v40, v2, vcc_lo
; %bb.86:                               ;   in Loop: Header=BB146_4 Depth=1
	s_or_b32 exec_lo, exec_lo, s22
	s_delay_alu instid0(VALU_DEP_1) | instskip(NEXT) | instid1(VALU_DEP_1)
	v_fma_mix_f32_bf16 v2, s2, v27, v26 op_sel:[0,0,1] op_sel_hi:[0,0,1]
	v_and_b32_e32 v26, 0x7f800000, v2
	s_delay_alu instid0(VALU_DEP_1) | instskip(SKIP_1) | instid1(SALU_CYCLE_1)
	v_cmp_ne_u32_e32 vcc_lo, 0x7f800000, v26
                                        ; implicit-def: $vgpr26
	s_and_saveexec_b32 s22, vcc_lo
	s_xor_b32 s22, exec_lo, s22
; %bb.87:                               ;   in Loop: Header=BB146_4 Depth=1
	v_bfe_u32 v26, v2, 16, 1
	s_delay_alu instid0(VALU_DEP_1)
	v_add3_u32 v26, v2, v26, 0x7fff
                                        ; implicit-def: $vgpr2
; %bb.88:                               ;   in Loop: Header=BB146_4 Depth=1
	s_and_not1_saveexec_b32 s22, s22
; %bb.89:                               ;   in Loop: Header=BB146_4 Depth=1
	v_and_b32_e32 v26, 0xffff, v2
	v_or_b32_e32 v27, 0x10000, v2
	s_delay_alu instid0(VALU_DEP_2) | instskip(NEXT) | instid1(VALU_DEP_2)
	v_cmp_eq_u32_e32 vcc_lo, 0, v26
	v_cndmask_b32_e32 v26, v27, v2, vcc_lo
; %bb.90:                               ;   in Loop: Header=BB146_4 Depth=1
	s_or_b32 exec_lo, exec_lo, s22
	flat_store_d16_hi_b16 v[34:35], v26 offset:32
	flat_load_u16 v2, v[32:33] offset:64
	s_wait_loadcnt_dscnt 0x0
	v_lshlrev_b32_e32 v2, 16, v2
	s_delay_alu instid0(VALU_DEP_1) | instskip(SKIP_1) | instid1(VALU_DEP_1)
	v_mul_f32_e32 v2, s30, v2
	s_wait_xcnt 0x1
	v_and_b32_e32 v26, 0x7f800000, v2
	s_delay_alu instid0(VALU_DEP_1) | instskip(SKIP_2) | instid1(SALU_CYCLE_1)
	v_cmp_ne_u32_e32 vcc_lo, 0x7f800000, v26
                                        ; implicit-def: $vgpr26
	s_wait_xcnt 0x0
	s_and_saveexec_b32 s22, vcc_lo
	s_xor_b32 s22, exec_lo, s22
; %bb.91:                               ;   in Loop: Header=BB146_4 Depth=1
	v_bfe_u32 v26, v2, 16, 1
	s_delay_alu instid0(VALU_DEP_1)
	v_add3_u32 v26, v2, v26, 0x7fff
                                        ; implicit-def: $vgpr2
; %bb.92:                               ;   in Loop: Header=BB146_4 Depth=1
	s_and_not1_saveexec_b32 s22, s22
; %bb.93:                               ;   in Loop: Header=BB146_4 Depth=1
	v_and_b32_e32 v26, 0xffff, v2
	v_or_b32_e32 v27, 0x10000, v2
	s_delay_alu instid0(VALU_DEP_2) | instskip(NEXT) | instid1(VALU_DEP_2)
	v_cmp_eq_u32_e32 vcc_lo, 0, v26
	v_cndmask_b32_e32 v26, v27, v2, vcc_lo
; %bb.94:                               ;   in Loop: Header=BB146_4 Depth=1
	s_or_b32 exec_lo, exec_lo, s22
	s_delay_alu instid0(VALU_DEP_1) | instskip(NEXT) | instid1(VALU_DEP_1)
	v_fma_mix_f32_bf16 v2, s2, v24, v26 op_sel:[0,0,1] op_sel_hi:[0,0,1]
	v_and_b32_e32 v24, 0x7f800000, v2
	s_delay_alu instid0(VALU_DEP_1) | instskip(SKIP_1) | instid1(SALU_CYCLE_1)
	v_cmp_ne_u32_e32 vcc_lo, 0x7f800000, v24
                                        ; implicit-def: $vgpr24
	s_and_saveexec_b32 s22, vcc_lo
	s_xor_b32 s22, exec_lo, s22
; %bb.95:                               ;   in Loop: Header=BB146_4 Depth=1
	v_bfe_u32 v24, v2, 16, 1
	s_delay_alu instid0(VALU_DEP_1)
	v_add3_u32 v24, v2, v24, 0x7fff
                                        ; implicit-def: $vgpr2
; %bb.96:                               ;   in Loop: Header=BB146_4 Depth=1
	s_and_not1_saveexec_b32 s22, s22
; %bb.97:                               ;   in Loop: Header=BB146_4 Depth=1
	v_and_b32_e32 v24, 0xffff, v2
	v_or_b32_e32 v26, 0x10000, v2
	s_delay_alu instid0(VALU_DEP_2) | instskip(NEXT) | instid1(VALU_DEP_2)
	v_cmp_eq_u32_e32 vcc_lo, 0, v24
	v_cndmask_b32_e32 v24, v26, v2, vcc_lo
; %bb.98:                               ;   in Loop: Header=BB146_4 Depth=1
	s_or_b32 exec_lo, exec_lo, s22
	flat_store_d16_hi_b16 v[34:35], v24 offset:64
	flat_load_u16 v2, v[32:33] offset:96
	s_wait_loadcnt_dscnt 0x0
	v_lshlrev_b32_e32 v2, 16, v2
	s_delay_alu instid0(VALU_DEP_1) | instskip(SKIP_1) | instid1(VALU_DEP_1)
	v_mul_f32_e32 v2, s30, v2
	s_wait_xcnt 0x1
	v_and_b32_e32 v24, 0x7f800000, v2
	s_delay_alu instid0(VALU_DEP_1) | instskip(SKIP_2) | instid1(SALU_CYCLE_1)
	v_cmp_ne_u32_e32 vcc_lo, 0x7f800000, v24
                                        ; implicit-def: $vgpr24
	s_wait_xcnt 0x0
	s_and_saveexec_b32 s22, vcc_lo
	s_xor_b32 s22, exec_lo, s22
; %bb.99:                               ;   in Loop: Header=BB146_4 Depth=1
	v_bfe_u32 v24, v2, 16, 1
	s_delay_alu instid0(VALU_DEP_1)
	v_add3_u32 v24, v2, v24, 0x7fff
                                        ; implicit-def: $vgpr2
; %bb.100:                              ;   in Loop: Header=BB146_4 Depth=1
	s_and_not1_saveexec_b32 s22, s22
; %bb.101:                              ;   in Loop: Header=BB146_4 Depth=1
	v_and_b32_e32 v24, 0xffff, v2
	v_or_b32_e32 v26, 0x10000, v2
	s_delay_alu instid0(VALU_DEP_2) | instskip(NEXT) | instid1(VALU_DEP_2)
	v_cmp_eq_u32_e32 vcc_lo, 0, v24
	v_cndmask_b32_e32 v24, v26, v2, vcc_lo
; %bb.102:                              ;   in Loop: Header=BB146_4 Depth=1
	s_or_b32 exec_lo, exec_lo, s22
	s_delay_alu instid0(VALU_DEP_1) | instskip(SKIP_1) | instid1(VALU_DEP_1)
	v_fma_mix_f32_bf16 v2, s2, v25, v24 op_sel:[0,0,1] op_sel_hi:[0,0,1]
	s_mov_b32 s22, exec_lo
                                        ; implicit-def: $vgpr26
	v_and_b32_e32 v24, 0x7f800000, v2
	s_delay_alu instid0(VALU_DEP_1)
	v_cmpx_ne_u32_e32 0x7f800000, v24
	s_xor_b32 s22, exec_lo, s22
; %bb.103:                              ;   in Loop: Header=BB146_4 Depth=1
	v_bfe_u32 v24, v2, 16, 1
	s_delay_alu instid0(VALU_DEP_1)
	v_add3_u32 v26, v2, v24, 0x7fff
                                        ; implicit-def: $vgpr2
; %bb.104:                              ;   in Loop: Header=BB146_4 Depth=1
	s_and_not1_saveexec_b32 s22, s22
; %bb.105:                              ;   in Loop: Header=BB146_4 Depth=1
	v_and_b32_e32 v24, 0xffff, v2
	v_or_b32_e32 v25, 0x10000, v2
	s_delay_alu instid0(VALU_DEP_2) | instskip(NEXT) | instid1(VALU_DEP_2)
	v_cmp_eq_u32_e32 vcc_lo, 0, v24
	v_cndmask_b32_e32 v26, v25, v2, vcc_lo
; %bb.106:                              ;   in Loop: Header=BB146_4 Depth=1
	s_or_b32 exec_lo, exec_lo, s22
	v_lshl_add_u64 v[24:25], s[8:9], 1, v[28:29]
	flat_store_d16_hi_b16 v[34:35], v26 offset:96
	v_lshl_add_u64 v[28:29], v[6:7], 1, v[24:25]
	flat_load_u16 v2, v[28:29]
	s_wait_loadcnt_dscnt 0x0
	v_lshlrev_b32_e32 v2, 16, v2
	s_delay_alu instid0(VALU_DEP_1) | instskip(SKIP_1) | instid1(VALU_DEP_1)
	v_mul_f32_e32 v2, s30, v2
	s_wait_xcnt 0x1
	v_and_b32_e32 v26, 0x7f800000, v2
	s_delay_alu instid0(VALU_DEP_1) | instskip(SKIP_2) | instid1(SALU_CYCLE_1)
	v_cmp_ne_u32_e32 vcc_lo, 0x7f800000, v26
                                        ; implicit-def: $vgpr26
	s_wait_xcnt 0x0
	s_and_saveexec_b32 s22, vcc_lo
	s_xor_b32 s22, exec_lo, s22
; %bb.107:                              ;   in Loop: Header=BB146_4 Depth=1
	v_bfe_u32 v26, v2, 16, 1
	s_delay_alu instid0(VALU_DEP_1)
	v_add3_u32 v26, v2, v26, 0x7fff
                                        ; implicit-def: $vgpr2
; %bb.108:                              ;   in Loop: Header=BB146_4 Depth=1
	s_and_not1_saveexec_b32 s22, s22
; %bb.109:                              ;   in Loop: Header=BB146_4 Depth=1
	v_and_b32_e32 v26, 0xffff, v2
	v_or_b32_e32 v27, 0x10000, v2
	s_delay_alu instid0(VALU_DEP_2) | instskip(NEXT) | instid1(VALU_DEP_2)
	v_cmp_eq_u32_e32 vcc_lo, 0, v26
	v_cndmask_b32_e32 v26, v27, v2, vcc_lo
; %bb.110:                              ;   in Loop: Header=BB146_4 Depth=1
	s_or_b32 exec_lo, exec_lo, s22
	s_delay_alu instid0(VALU_DEP_1) | instskip(NEXT) | instid1(VALU_DEP_1)
	v_fma_mix_f32_bf16 v2, s2, v22, v26 op_sel:[0,0,1] op_sel_hi:[0,0,1]
	v_and_b32_e32 v22, 0x7f800000, v2
	s_delay_alu instid0(VALU_DEP_1) | instskip(SKIP_1) | instid1(SALU_CYCLE_1)
	v_cmp_ne_u32_e32 vcc_lo, 0x7f800000, v22
                                        ; implicit-def: $vgpr22
	s_and_saveexec_b32 s22, vcc_lo
	s_xor_b32 s22, exec_lo, s22
; %bb.111:                              ;   in Loop: Header=BB146_4 Depth=1
	v_bfe_u32 v22, v2, 16, 1
	s_delay_alu instid0(VALU_DEP_1)
	v_add3_u32 v22, v2, v22, 0x7fff
                                        ; implicit-def: $vgpr2
; %bb.112:                              ;   in Loop: Header=BB146_4 Depth=1
	s_and_not1_saveexec_b32 s22, s22
; %bb.113:                              ;   in Loop: Header=BB146_4 Depth=1
	v_and_b32_e32 v22, 0xffff, v2
	v_or_b32_e32 v26, 0x10000, v2
	s_delay_alu instid0(VALU_DEP_2) | instskip(NEXT) | instid1(VALU_DEP_2)
	v_cmp_eq_u32_e32 vcc_lo, 0, v22
	v_cndmask_b32_e32 v22, v26, v2, vcc_lo
; %bb.114:                              ;   in Loop: Header=BB146_4 Depth=1
	s_or_b32 exec_lo, exec_lo, s22
	v_lshl_add_u64 v[26:27], s[6:7], 1, v[30:31]
	s_delay_alu instid0(VALU_DEP_1) | instskip(SKIP_4) | instid1(VALU_DEP_1)
	v_lshl_add_u64 v[30:31], v[6:7], 1, v[26:27]
	flat_store_d16_hi_b16 v[30:31], v22
	flat_load_u16 v2, v[28:29] offset:32
	s_wait_loadcnt_dscnt 0x0
	v_lshlrev_b32_e32 v2, 16, v2
	v_mul_f32_e32 v2, s30, v2
	s_wait_xcnt 0x1
	s_delay_alu instid0(VALU_DEP_1) | instskip(NEXT) | instid1(VALU_DEP_1)
	v_and_b32_e32 v22, 0x7f800000, v2
	v_cmp_ne_u32_e32 vcc_lo, 0x7f800000, v22
                                        ; implicit-def: $vgpr22
	s_wait_xcnt 0x0
	s_and_saveexec_b32 s22, vcc_lo
	s_delay_alu instid0(SALU_CYCLE_1)
	s_xor_b32 s22, exec_lo, s22
; %bb.115:                              ;   in Loop: Header=BB146_4 Depth=1
	v_bfe_u32 v22, v2, 16, 1
	s_delay_alu instid0(VALU_DEP_1)
	v_add3_u32 v22, v2, v22, 0x7fff
                                        ; implicit-def: $vgpr2
; %bb.116:                              ;   in Loop: Header=BB146_4 Depth=1
	s_and_not1_saveexec_b32 s22, s22
; %bb.117:                              ;   in Loop: Header=BB146_4 Depth=1
	v_and_b32_e32 v22, 0xffff, v2
	v_or_b32_e32 v32, 0x10000, v2
	s_delay_alu instid0(VALU_DEP_2) | instskip(NEXT) | instid1(VALU_DEP_2)
	v_cmp_eq_u32_e32 vcc_lo, 0, v22
	v_cndmask_b32_e32 v22, v32, v2, vcc_lo
; %bb.118:                              ;   in Loop: Header=BB146_4 Depth=1
	s_or_b32 exec_lo, exec_lo, s22
	s_delay_alu instid0(VALU_DEP_1) | instskip(NEXT) | instid1(VALU_DEP_1)
	v_fma_mix_f32_bf16 v2, s2, v23, v22 op_sel:[0,0,1] op_sel_hi:[0,0,1]
	v_and_b32_e32 v22, 0x7f800000, v2
	s_delay_alu instid0(VALU_DEP_1) | instskip(SKIP_1) | instid1(SALU_CYCLE_1)
	v_cmp_ne_u32_e32 vcc_lo, 0x7f800000, v22
                                        ; implicit-def: $vgpr22
	s_and_saveexec_b32 s22, vcc_lo
	s_xor_b32 s22, exec_lo, s22
; %bb.119:                              ;   in Loop: Header=BB146_4 Depth=1
	v_bfe_u32 v22, v2, 16, 1
	s_delay_alu instid0(VALU_DEP_1)
	v_add3_u32 v22, v2, v22, 0x7fff
                                        ; implicit-def: $vgpr2
; %bb.120:                              ;   in Loop: Header=BB146_4 Depth=1
	s_and_not1_saveexec_b32 s22, s22
; %bb.121:                              ;   in Loop: Header=BB146_4 Depth=1
	v_and_b32_e32 v22, 0xffff, v2
	v_or_b32_e32 v23, 0x10000, v2
	s_delay_alu instid0(VALU_DEP_2) | instskip(NEXT) | instid1(VALU_DEP_2)
	v_cmp_eq_u32_e32 vcc_lo, 0, v22
	v_cndmask_b32_e32 v22, v23, v2, vcc_lo
; %bb.122:                              ;   in Loop: Header=BB146_4 Depth=1
	s_or_b32 exec_lo, exec_lo, s22
	flat_store_d16_hi_b16 v[30:31], v22 offset:32
	flat_load_u16 v2, v[28:29] offset:64
	s_wait_loadcnt_dscnt 0x0
	v_lshlrev_b32_e32 v2, 16, v2
	s_delay_alu instid0(VALU_DEP_1) | instskip(SKIP_1) | instid1(VALU_DEP_1)
	v_mul_f32_e32 v2, s30, v2
	s_wait_xcnt 0x1
	v_and_b32_e32 v22, 0x7f800000, v2
	s_delay_alu instid0(VALU_DEP_1) | instskip(SKIP_2) | instid1(SALU_CYCLE_1)
	v_cmp_ne_u32_e32 vcc_lo, 0x7f800000, v22
                                        ; implicit-def: $vgpr22
	s_wait_xcnt 0x0
	s_and_saveexec_b32 s22, vcc_lo
	s_xor_b32 s22, exec_lo, s22
; %bb.123:                              ;   in Loop: Header=BB146_4 Depth=1
	v_bfe_u32 v22, v2, 16, 1
	s_delay_alu instid0(VALU_DEP_1)
	v_add3_u32 v22, v2, v22, 0x7fff
                                        ; implicit-def: $vgpr2
; %bb.124:                              ;   in Loop: Header=BB146_4 Depth=1
	s_and_not1_saveexec_b32 s22, s22
; %bb.125:                              ;   in Loop: Header=BB146_4 Depth=1
	v_and_b32_e32 v22, 0xffff, v2
	v_or_b32_e32 v23, 0x10000, v2
	s_delay_alu instid0(VALU_DEP_2) | instskip(NEXT) | instid1(VALU_DEP_2)
	v_cmp_eq_u32_e32 vcc_lo, 0, v22
	v_cndmask_b32_e32 v22, v23, v2, vcc_lo
; %bb.126:                              ;   in Loop: Header=BB146_4 Depth=1
	s_or_b32 exec_lo, exec_lo, s22
	s_delay_alu instid0(VALU_DEP_1) | instskip(NEXT) | instid1(VALU_DEP_1)
	v_fma_mix_f32_bf16 v2, s2, v20, v22 op_sel:[0,0,1] op_sel_hi:[0,0,1]
	v_and_b32_e32 v20, 0x7f800000, v2
	s_delay_alu instid0(VALU_DEP_1) | instskip(SKIP_1) | instid1(SALU_CYCLE_1)
	v_cmp_ne_u32_e32 vcc_lo, 0x7f800000, v20
                                        ; implicit-def: $vgpr20
	s_and_saveexec_b32 s22, vcc_lo
	s_xor_b32 s22, exec_lo, s22
; %bb.127:                              ;   in Loop: Header=BB146_4 Depth=1
	v_bfe_u32 v20, v2, 16, 1
	s_delay_alu instid0(VALU_DEP_1)
	v_add3_u32 v20, v2, v20, 0x7fff
                                        ; implicit-def: $vgpr2
; %bb.128:                              ;   in Loop: Header=BB146_4 Depth=1
	s_and_not1_saveexec_b32 s22, s22
; %bb.129:                              ;   in Loop: Header=BB146_4 Depth=1
	v_and_b32_e32 v20, 0xffff, v2
	v_or_b32_e32 v22, 0x10000, v2
	s_delay_alu instid0(VALU_DEP_2) | instskip(NEXT) | instid1(VALU_DEP_2)
	v_cmp_eq_u32_e32 vcc_lo, 0, v20
	v_cndmask_b32_e32 v20, v22, v2, vcc_lo
; %bb.130:                              ;   in Loop: Header=BB146_4 Depth=1
	s_or_b32 exec_lo, exec_lo, s22
	flat_store_d16_hi_b16 v[30:31], v20 offset:64
	flat_load_u16 v2, v[28:29] offset:96
	s_wait_loadcnt_dscnt 0x0
	v_lshlrev_b32_e32 v2, 16, v2
	s_delay_alu instid0(VALU_DEP_1) | instskip(SKIP_1) | instid1(VALU_DEP_1)
	v_mul_f32_e32 v2, s30, v2
	s_wait_xcnt 0x1
	v_and_b32_e32 v20, 0x7f800000, v2
	s_delay_alu instid0(VALU_DEP_1) | instskip(SKIP_2) | instid1(SALU_CYCLE_1)
	v_cmp_ne_u32_e32 vcc_lo, 0x7f800000, v20
                                        ; implicit-def: $vgpr20
	s_wait_xcnt 0x0
	s_and_saveexec_b32 s22, vcc_lo
	s_xor_b32 s22, exec_lo, s22
; %bb.131:                              ;   in Loop: Header=BB146_4 Depth=1
	v_bfe_u32 v20, v2, 16, 1
	s_delay_alu instid0(VALU_DEP_1)
	v_add3_u32 v20, v2, v20, 0x7fff
                                        ; implicit-def: $vgpr2
; %bb.132:                              ;   in Loop: Header=BB146_4 Depth=1
	s_and_not1_saveexec_b32 s22, s22
; %bb.133:                              ;   in Loop: Header=BB146_4 Depth=1
	v_and_b32_e32 v20, 0xffff, v2
	v_or_b32_e32 v22, 0x10000, v2
	s_delay_alu instid0(VALU_DEP_2) | instskip(NEXT) | instid1(VALU_DEP_2)
	v_cmp_eq_u32_e32 vcc_lo, 0, v20
	v_cndmask_b32_e32 v20, v22, v2, vcc_lo
; %bb.134:                              ;   in Loop: Header=BB146_4 Depth=1
	s_or_b32 exec_lo, exec_lo, s22
	s_delay_alu instid0(VALU_DEP_1) | instskip(SKIP_1) | instid1(VALU_DEP_1)
	v_fma_mix_f32_bf16 v2, s2, v21, v20 op_sel:[0,0,1] op_sel_hi:[0,0,1]
	s_mov_b32 s22, exec_lo
                                        ; implicit-def: $vgpr22
	v_and_b32_e32 v20, 0x7f800000, v2
	s_delay_alu instid0(VALU_DEP_1)
	v_cmpx_ne_u32_e32 0x7f800000, v20
	s_xor_b32 s22, exec_lo, s22
; %bb.135:                              ;   in Loop: Header=BB146_4 Depth=1
	v_bfe_u32 v20, v2, 16, 1
	s_delay_alu instid0(VALU_DEP_1)
	v_add3_u32 v22, v2, v20, 0x7fff
                                        ; implicit-def: $vgpr2
; %bb.136:                              ;   in Loop: Header=BB146_4 Depth=1
	s_and_not1_saveexec_b32 s22, s22
; %bb.137:                              ;   in Loop: Header=BB146_4 Depth=1
	v_and_b32_e32 v20, 0xffff, v2
	v_or_b32_e32 v21, 0x10000, v2
	s_delay_alu instid0(VALU_DEP_2) | instskip(NEXT) | instid1(VALU_DEP_2)
	v_cmp_eq_u32_e32 vcc_lo, 0, v20
	v_cndmask_b32_e32 v22, v21, v2, vcc_lo
; %bb.138:                              ;   in Loop: Header=BB146_4 Depth=1
	s_or_b32 exec_lo, exec_lo, s22
	v_lshl_add_u64 v[20:21], s[8:9], 1, v[24:25]
	flat_store_d16_hi_b16 v[30:31], v22 offset:96
	v_lshl_add_u64 v[24:25], v[6:7], 1, v[20:21]
	flat_load_u16 v2, v[24:25]
	s_wait_loadcnt_dscnt 0x0
	v_lshlrev_b32_e32 v2, 16, v2
	s_delay_alu instid0(VALU_DEP_1) | instskip(SKIP_1) | instid1(VALU_DEP_1)
	v_mul_f32_e32 v2, s30, v2
	s_wait_xcnt 0x1
	v_and_b32_e32 v22, 0x7f800000, v2
	s_delay_alu instid0(VALU_DEP_1) | instskip(SKIP_2) | instid1(SALU_CYCLE_1)
	v_cmp_ne_u32_e32 vcc_lo, 0x7f800000, v22
                                        ; implicit-def: $vgpr22
	s_wait_xcnt 0x0
	s_and_saveexec_b32 s22, vcc_lo
	s_xor_b32 s22, exec_lo, s22
; %bb.139:                              ;   in Loop: Header=BB146_4 Depth=1
	v_bfe_u32 v22, v2, 16, 1
	s_delay_alu instid0(VALU_DEP_1)
	v_add3_u32 v22, v2, v22, 0x7fff
                                        ; implicit-def: $vgpr2
; %bb.140:                              ;   in Loop: Header=BB146_4 Depth=1
	s_and_not1_saveexec_b32 s22, s22
; %bb.141:                              ;   in Loop: Header=BB146_4 Depth=1
	v_and_b32_e32 v22, 0xffff, v2
	v_or_b32_e32 v23, 0x10000, v2
	s_delay_alu instid0(VALU_DEP_2) | instskip(NEXT) | instid1(VALU_DEP_2)
	v_cmp_eq_u32_e32 vcc_lo, 0, v22
	v_cndmask_b32_e32 v22, v23, v2, vcc_lo
; %bb.142:                              ;   in Loop: Header=BB146_4 Depth=1
	s_or_b32 exec_lo, exec_lo, s22
	s_delay_alu instid0(VALU_DEP_1) | instskip(NEXT) | instid1(VALU_DEP_1)
	v_fma_mix_f32_bf16 v2, s2, v18, v22 op_sel:[0,0,1] op_sel_hi:[0,0,1]
	v_and_b32_e32 v18, 0x7f800000, v2
	s_delay_alu instid0(VALU_DEP_1) | instskip(SKIP_1) | instid1(SALU_CYCLE_1)
	v_cmp_ne_u32_e32 vcc_lo, 0x7f800000, v18
                                        ; implicit-def: $vgpr18
	s_and_saveexec_b32 s22, vcc_lo
	s_xor_b32 s22, exec_lo, s22
; %bb.143:                              ;   in Loop: Header=BB146_4 Depth=1
	v_bfe_u32 v18, v2, 16, 1
	s_delay_alu instid0(VALU_DEP_1)
	v_add3_u32 v18, v2, v18, 0x7fff
                                        ; implicit-def: $vgpr2
; %bb.144:                              ;   in Loop: Header=BB146_4 Depth=1
	s_and_not1_saveexec_b32 s22, s22
; %bb.145:                              ;   in Loop: Header=BB146_4 Depth=1
	v_and_b32_e32 v18, 0xffff, v2
	v_or_b32_e32 v22, 0x10000, v2
	s_delay_alu instid0(VALU_DEP_2) | instskip(NEXT) | instid1(VALU_DEP_2)
	v_cmp_eq_u32_e32 vcc_lo, 0, v18
	v_cndmask_b32_e32 v18, v22, v2, vcc_lo
; %bb.146:                              ;   in Loop: Header=BB146_4 Depth=1
	s_or_b32 exec_lo, exec_lo, s22
	v_lshl_add_u64 v[22:23], s[6:7], 1, v[26:27]
	s_delay_alu instid0(VALU_DEP_1) | instskip(SKIP_4) | instid1(VALU_DEP_1)
	v_lshl_add_u64 v[26:27], v[6:7], 1, v[22:23]
	flat_store_d16_hi_b16 v[26:27], v18
	flat_load_u16 v2, v[24:25] offset:32
	s_wait_loadcnt_dscnt 0x0
	v_lshlrev_b32_e32 v2, 16, v2
	v_mul_f32_e32 v2, s30, v2
	s_wait_xcnt 0x1
	s_delay_alu instid0(VALU_DEP_1) | instskip(NEXT) | instid1(VALU_DEP_1)
	v_and_b32_e32 v18, 0x7f800000, v2
	v_cmp_ne_u32_e32 vcc_lo, 0x7f800000, v18
                                        ; implicit-def: $vgpr18
	s_wait_xcnt 0x0
	s_and_saveexec_b32 s22, vcc_lo
	s_delay_alu instid0(SALU_CYCLE_1)
	s_xor_b32 s22, exec_lo, s22
; %bb.147:                              ;   in Loop: Header=BB146_4 Depth=1
	v_bfe_u32 v18, v2, 16, 1
	s_delay_alu instid0(VALU_DEP_1)
	v_add3_u32 v18, v2, v18, 0x7fff
                                        ; implicit-def: $vgpr2
; %bb.148:                              ;   in Loop: Header=BB146_4 Depth=1
	s_and_not1_saveexec_b32 s22, s22
; %bb.149:                              ;   in Loop: Header=BB146_4 Depth=1
	v_and_b32_e32 v18, 0xffff, v2
	v_or_b32_e32 v28, 0x10000, v2
	s_delay_alu instid0(VALU_DEP_2) | instskip(NEXT) | instid1(VALU_DEP_2)
	v_cmp_eq_u32_e32 vcc_lo, 0, v18
	v_cndmask_b32_e32 v18, v28, v2, vcc_lo
; %bb.150:                              ;   in Loop: Header=BB146_4 Depth=1
	s_or_b32 exec_lo, exec_lo, s22
	s_delay_alu instid0(VALU_DEP_1) | instskip(NEXT) | instid1(VALU_DEP_1)
	v_fma_mix_f32_bf16 v2, s2, v19, v18 op_sel:[0,0,1] op_sel_hi:[0,0,1]
	v_and_b32_e32 v18, 0x7f800000, v2
	s_delay_alu instid0(VALU_DEP_1) | instskip(SKIP_1) | instid1(SALU_CYCLE_1)
	v_cmp_ne_u32_e32 vcc_lo, 0x7f800000, v18
                                        ; implicit-def: $vgpr18
	s_and_saveexec_b32 s22, vcc_lo
	s_xor_b32 s22, exec_lo, s22
; %bb.151:                              ;   in Loop: Header=BB146_4 Depth=1
	v_bfe_u32 v18, v2, 16, 1
	s_delay_alu instid0(VALU_DEP_1)
	v_add3_u32 v18, v2, v18, 0x7fff
                                        ; implicit-def: $vgpr2
; %bb.152:                              ;   in Loop: Header=BB146_4 Depth=1
	s_and_not1_saveexec_b32 s22, s22
; %bb.153:                              ;   in Loop: Header=BB146_4 Depth=1
	v_and_b32_e32 v18, 0xffff, v2
	v_or_b32_e32 v19, 0x10000, v2
	s_delay_alu instid0(VALU_DEP_2) | instskip(NEXT) | instid1(VALU_DEP_2)
	v_cmp_eq_u32_e32 vcc_lo, 0, v18
	v_cndmask_b32_e32 v18, v19, v2, vcc_lo
; %bb.154:                              ;   in Loop: Header=BB146_4 Depth=1
	s_or_b32 exec_lo, exec_lo, s22
	flat_store_d16_hi_b16 v[26:27], v18 offset:32
	flat_load_u16 v2, v[24:25] offset:64
	s_wait_loadcnt_dscnt 0x0
	v_lshlrev_b32_e32 v2, 16, v2
	s_delay_alu instid0(VALU_DEP_1) | instskip(SKIP_1) | instid1(VALU_DEP_1)
	v_mul_f32_e32 v2, s30, v2
	s_wait_xcnt 0x1
	v_and_b32_e32 v18, 0x7f800000, v2
	s_delay_alu instid0(VALU_DEP_1) | instskip(SKIP_2) | instid1(SALU_CYCLE_1)
	v_cmp_ne_u32_e32 vcc_lo, 0x7f800000, v18
                                        ; implicit-def: $vgpr18
	s_wait_xcnt 0x0
	s_and_saveexec_b32 s22, vcc_lo
	s_xor_b32 s22, exec_lo, s22
; %bb.155:                              ;   in Loop: Header=BB146_4 Depth=1
	v_bfe_u32 v18, v2, 16, 1
	s_delay_alu instid0(VALU_DEP_1)
	v_add3_u32 v18, v2, v18, 0x7fff
                                        ; implicit-def: $vgpr2
; %bb.156:                              ;   in Loop: Header=BB146_4 Depth=1
	s_and_not1_saveexec_b32 s22, s22
; %bb.157:                              ;   in Loop: Header=BB146_4 Depth=1
	v_and_b32_e32 v18, 0xffff, v2
	v_or_b32_e32 v19, 0x10000, v2
	s_delay_alu instid0(VALU_DEP_2) | instskip(NEXT) | instid1(VALU_DEP_2)
	v_cmp_eq_u32_e32 vcc_lo, 0, v18
	v_cndmask_b32_e32 v18, v19, v2, vcc_lo
; %bb.158:                              ;   in Loop: Header=BB146_4 Depth=1
	s_or_b32 exec_lo, exec_lo, s22
	s_delay_alu instid0(VALU_DEP_1) | instskip(NEXT) | instid1(VALU_DEP_1)
	v_fma_mix_f32_bf16 v2, s2, v16, v18 op_sel:[0,0,1] op_sel_hi:[0,0,1]
	v_and_b32_e32 v16, 0x7f800000, v2
	s_delay_alu instid0(VALU_DEP_1) | instskip(SKIP_1) | instid1(SALU_CYCLE_1)
	v_cmp_ne_u32_e32 vcc_lo, 0x7f800000, v16
                                        ; implicit-def: $vgpr16
	s_and_saveexec_b32 s22, vcc_lo
	s_xor_b32 s22, exec_lo, s22
; %bb.159:                              ;   in Loop: Header=BB146_4 Depth=1
	v_bfe_u32 v16, v2, 16, 1
	s_delay_alu instid0(VALU_DEP_1)
	v_add3_u32 v16, v2, v16, 0x7fff
                                        ; implicit-def: $vgpr2
; %bb.160:                              ;   in Loop: Header=BB146_4 Depth=1
	s_and_not1_saveexec_b32 s22, s22
; %bb.161:                              ;   in Loop: Header=BB146_4 Depth=1
	v_and_b32_e32 v16, 0xffff, v2
	v_or_b32_e32 v18, 0x10000, v2
	s_delay_alu instid0(VALU_DEP_2) | instskip(NEXT) | instid1(VALU_DEP_2)
	v_cmp_eq_u32_e32 vcc_lo, 0, v16
	v_cndmask_b32_e32 v16, v18, v2, vcc_lo
; %bb.162:                              ;   in Loop: Header=BB146_4 Depth=1
	s_or_b32 exec_lo, exec_lo, s22
	flat_store_d16_hi_b16 v[26:27], v16 offset:64
	flat_load_u16 v2, v[24:25] offset:96
	s_wait_loadcnt_dscnt 0x0
	v_lshlrev_b32_e32 v2, 16, v2
	s_delay_alu instid0(VALU_DEP_1) | instskip(SKIP_1) | instid1(VALU_DEP_1)
	v_mul_f32_e32 v2, s30, v2
	s_wait_xcnt 0x1
	v_and_b32_e32 v16, 0x7f800000, v2
	s_delay_alu instid0(VALU_DEP_1) | instskip(SKIP_2) | instid1(SALU_CYCLE_1)
	v_cmp_ne_u32_e32 vcc_lo, 0x7f800000, v16
                                        ; implicit-def: $vgpr16
	s_wait_xcnt 0x0
	s_and_saveexec_b32 s22, vcc_lo
	s_xor_b32 s22, exec_lo, s22
; %bb.163:                              ;   in Loop: Header=BB146_4 Depth=1
	v_bfe_u32 v16, v2, 16, 1
	s_delay_alu instid0(VALU_DEP_1)
	v_add3_u32 v16, v2, v16, 0x7fff
                                        ; implicit-def: $vgpr2
; %bb.164:                              ;   in Loop: Header=BB146_4 Depth=1
	s_and_not1_saveexec_b32 s22, s22
; %bb.165:                              ;   in Loop: Header=BB146_4 Depth=1
	v_and_b32_e32 v16, 0xffff, v2
	v_or_b32_e32 v18, 0x10000, v2
	s_delay_alu instid0(VALU_DEP_2) | instskip(NEXT) | instid1(VALU_DEP_2)
	v_cmp_eq_u32_e32 vcc_lo, 0, v16
	v_cndmask_b32_e32 v16, v18, v2, vcc_lo
; %bb.166:                              ;   in Loop: Header=BB146_4 Depth=1
	s_or_b32 exec_lo, exec_lo, s22
	s_delay_alu instid0(VALU_DEP_1) | instskip(SKIP_1) | instid1(VALU_DEP_1)
	v_fma_mix_f32_bf16 v2, s2, v17, v16 op_sel:[0,0,1] op_sel_hi:[0,0,1]
	s_mov_b32 s22, exec_lo
                                        ; implicit-def: $vgpr18
	v_and_b32_e32 v16, 0x7f800000, v2
	s_delay_alu instid0(VALU_DEP_1)
	v_cmpx_ne_u32_e32 0x7f800000, v16
	s_xor_b32 s22, exec_lo, s22
; %bb.167:                              ;   in Loop: Header=BB146_4 Depth=1
	v_bfe_u32 v16, v2, 16, 1
	s_delay_alu instid0(VALU_DEP_1)
	v_add3_u32 v18, v2, v16, 0x7fff
                                        ; implicit-def: $vgpr2
; %bb.168:                              ;   in Loop: Header=BB146_4 Depth=1
	s_and_not1_saveexec_b32 s22, s22
; %bb.169:                              ;   in Loop: Header=BB146_4 Depth=1
	v_and_b32_e32 v16, 0xffff, v2
	v_or_b32_e32 v17, 0x10000, v2
	s_delay_alu instid0(VALU_DEP_2) | instskip(NEXT) | instid1(VALU_DEP_2)
	v_cmp_eq_u32_e32 vcc_lo, 0, v16
	v_cndmask_b32_e32 v18, v17, v2, vcc_lo
; %bb.170:                              ;   in Loop: Header=BB146_4 Depth=1
	s_or_b32 exec_lo, exec_lo, s22
	v_lshl_add_u64 v[16:17], s[8:9], 1, v[20:21]
	flat_store_d16_hi_b16 v[26:27], v18 offset:96
	v_lshl_add_u64 v[16:17], v[6:7], 1, v[16:17]
	flat_load_u16 v2, v[16:17]
	s_wait_loadcnt_dscnt 0x0
	v_lshlrev_b32_e32 v2, 16, v2
	s_delay_alu instid0(VALU_DEP_1) | instskip(SKIP_1) | instid1(VALU_DEP_1)
	v_mul_f32_e32 v2, s30, v2
	s_wait_xcnt 0x1
	v_and_b32_e32 v18, 0x7f800000, v2
	s_delay_alu instid0(VALU_DEP_1) | instskip(SKIP_2) | instid1(SALU_CYCLE_1)
	v_cmp_ne_u32_e32 vcc_lo, 0x7f800000, v18
                                        ; implicit-def: $vgpr18
	s_wait_xcnt 0x0
	s_and_saveexec_b32 s22, vcc_lo
	s_xor_b32 s22, exec_lo, s22
; %bb.171:                              ;   in Loop: Header=BB146_4 Depth=1
	v_bfe_u32 v18, v2, 16, 1
	s_delay_alu instid0(VALU_DEP_1)
	v_add3_u32 v18, v2, v18, 0x7fff
                                        ; implicit-def: $vgpr2
; %bb.172:                              ;   in Loop: Header=BB146_4 Depth=1
	s_and_not1_saveexec_b32 s22, s22
; %bb.173:                              ;   in Loop: Header=BB146_4 Depth=1
	v_and_b32_e32 v18, 0xffff, v2
	v_or_b32_e32 v19, 0x10000, v2
	s_delay_alu instid0(VALU_DEP_2) | instskip(NEXT) | instid1(VALU_DEP_2)
	v_cmp_eq_u32_e32 vcc_lo, 0, v18
	v_cndmask_b32_e32 v18, v19, v2, vcc_lo
; %bb.174:                              ;   in Loop: Header=BB146_4 Depth=1
	s_or_b32 exec_lo, exec_lo, s22
	s_delay_alu instid0(VALU_DEP_1) | instskip(NEXT) | instid1(VALU_DEP_1)
	v_fma_mix_f32_bf16 v2, s2, v14, v18 op_sel:[0,0,1] op_sel_hi:[0,0,1]
	v_and_b32_e32 v14, 0x7f800000, v2
	s_delay_alu instid0(VALU_DEP_1) | instskip(SKIP_1) | instid1(SALU_CYCLE_1)
	v_cmp_ne_u32_e32 vcc_lo, 0x7f800000, v14
                                        ; implicit-def: $vgpr14
	s_and_saveexec_b32 s22, vcc_lo
	s_xor_b32 s22, exec_lo, s22
; %bb.175:                              ;   in Loop: Header=BB146_4 Depth=1
	v_bfe_u32 v14, v2, 16, 1
	s_delay_alu instid0(VALU_DEP_1)
	v_add3_u32 v14, v2, v14, 0x7fff
                                        ; implicit-def: $vgpr2
; %bb.176:                              ;   in Loop: Header=BB146_4 Depth=1
	s_and_not1_saveexec_b32 s22, s22
; %bb.177:                              ;   in Loop: Header=BB146_4 Depth=1
	v_and_b32_e32 v14, 0xffff, v2
	v_or_b32_e32 v18, 0x10000, v2
	s_delay_alu instid0(VALU_DEP_2) | instskip(NEXT) | instid1(VALU_DEP_2)
	v_cmp_eq_u32_e32 vcc_lo, 0, v14
	v_cndmask_b32_e32 v14, v18, v2, vcc_lo
; %bb.178:                              ;   in Loop: Header=BB146_4 Depth=1
	s_or_b32 exec_lo, exec_lo, s22
	v_lshl_add_u64 v[18:19], s[6:7], 1, v[22:23]
	s_delay_alu instid0(VALU_DEP_1) | instskip(SKIP_4) | instid1(VALU_DEP_1)
	v_lshl_add_u64 v[18:19], v[6:7], 1, v[18:19]
	flat_store_d16_hi_b16 v[18:19], v14
	flat_load_u16 v2, v[16:17] offset:32
	s_wait_loadcnt_dscnt 0x0
	v_lshlrev_b32_e32 v2, 16, v2
	v_mul_f32_e32 v2, s30, v2
	s_wait_xcnt 0x1
	s_delay_alu instid0(VALU_DEP_1) | instskip(NEXT) | instid1(VALU_DEP_1)
	v_and_b32_e32 v14, 0x7f800000, v2
	v_cmp_ne_u32_e32 vcc_lo, 0x7f800000, v14
                                        ; implicit-def: $vgpr14
	s_wait_xcnt 0x0
	s_and_saveexec_b32 s22, vcc_lo
	s_delay_alu instid0(SALU_CYCLE_1)
	s_xor_b32 s22, exec_lo, s22
; %bb.179:                              ;   in Loop: Header=BB146_4 Depth=1
	v_bfe_u32 v14, v2, 16, 1
	s_delay_alu instid0(VALU_DEP_1)
	v_add3_u32 v14, v2, v14, 0x7fff
                                        ; implicit-def: $vgpr2
; %bb.180:                              ;   in Loop: Header=BB146_4 Depth=1
	s_and_not1_saveexec_b32 s22, s22
; %bb.181:                              ;   in Loop: Header=BB146_4 Depth=1
	v_and_b32_e32 v14, 0xffff, v2
	v_or_b32_e32 v20, 0x10000, v2
	s_delay_alu instid0(VALU_DEP_2) | instskip(NEXT) | instid1(VALU_DEP_2)
	v_cmp_eq_u32_e32 vcc_lo, 0, v14
	v_cndmask_b32_e32 v14, v20, v2, vcc_lo
; %bb.182:                              ;   in Loop: Header=BB146_4 Depth=1
	s_or_b32 exec_lo, exec_lo, s22
	s_delay_alu instid0(VALU_DEP_1) | instskip(NEXT) | instid1(VALU_DEP_1)
	v_fma_mix_f32_bf16 v2, s2, v15, v14 op_sel:[0,0,1] op_sel_hi:[0,0,1]
	v_and_b32_e32 v14, 0x7f800000, v2
	s_delay_alu instid0(VALU_DEP_1) | instskip(SKIP_1) | instid1(SALU_CYCLE_1)
	v_cmp_ne_u32_e32 vcc_lo, 0x7f800000, v14
                                        ; implicit-def: $vgpr14
	s_and_saveexec_b32 s22, vcc_lo
	s_xor_b32 s22, exec_lo, s22
; %bb.183:                              ;   in Loop: Header=BB146_4 Depth=1
	v_bfe_u32 v14, v2, 16, 1
	s_delay_alu instid0(VALU_DEP_1)
	v_add3_u32 v14, v2, v14, 0x7fff
                                        ; implicit-def: $vgpr2
; %bb.184:                              ;   in Loop: Header=BB146_4 Depth=1
	s_and_not1_saveexec_b32 s22, s22
; %bb.185:                              ;   in Loop: Header=BB146_4 Depth=1
	v_and_b32_e32 v14, 0xffff, v2
	v_or_b32_e32 v15, 0x10000, v2
	s_delay_alu instid0(VALU_DEP_2) | instskip(NEXT) | instid1(VALU_DEP_2)
	v_cmp_eq_u32_e32 vcc_lo, 0, v14
	v_cndmask_b32_e32 v14, v15, v2, vcc_lo
; %bb.186:                              ;   in Loop: Header=BB146_4 Depth=1
	s_or_b32 exec_lo, exec_lo, s22
	flat_store_d16_hi_b16 v[18:19], v14 offset:32
	flat_load_u16 v2, v[16:17] offset:64
	s_wait_loadcnt_dscnt 0x0
	v_lshlrev_b32_e32 v2, 16, v2
	s_delay_alu instid0(VALU_DEP_1) | instskip(SKIP_1) | instid1(VALU_DEP_1)
	v_mul_f32_e32 v2, s30, v2
	s_wait_xcnt 0x1
	v_and_b32_e32 v14, 0x7f800000, v2
	s_delay_alu instid0(VALU_DEP_1) | instskip(SKIP_2) | instid1(SALU_CYCLE_1)
	v_cmp_ne_u32_e32 vcc_lo, 0x7f800000, v14
                                        ; implicit-def: $vgpr14
	s_wait_xcnt 0x0
	s_and_saveexec_b32 s22, vcc_lo
	s_xor_b32 s22, exec_lo, s22
; %bb.187:                              ;   in Loop: Header=BB146_4 Depth=1
	v_bfe_u32 v14, v2, 16, 1
	s_delay_alu instid0(VALU_DEP_1)
	v_add3_u32 v14, v2, v14, 0x7fff
                                        ; implicit-def: $vgpr2
; %bb.188:                              ;   in Loop: Header=BB146_4 Depth=1
	s_and_not1_saveexec_b32 s22, s22
; %bb.189:                              ;   in Loop: Header=BB146_4 Depth=1
	v_and_b32_e32 v14, 0xffff, v2
	v_or_b32_e32 v15, 0x10000, v2
	s_delay_alu instid0(VALU_DEP_2) | instskip(NEXT) | instid1(VALU_DEP_2)
	v_cmp_eq_u32_e32 vcc_lo, 0, v14
	v_cndmask_b32_e32 v14, v15, v2, vcc_lo
; %bb.190:                              ;   in Loop: Header=BB146_4 Depth=1
	s_or_b32 exec_lo, exec_lo, s22
	s_delay_alu instid0(VALU_DEP_1) | instskip(NEXT) | instid1(VALU_DEP_1)
	v_fma_mix_f32_bf16 v2, s2, v12, v14 op_sel:[0,0,1] op_sel_hi:[0,0,1]
	v_and_b32_e32 v12, 0x7f800000, v2
	s_delay_alu instid0(VALU_DEP_1) | instskip(SKIP_1) | instid1(SALU_CYCLE_1)
	v_cmp_ne_u32_e32 vcc_lo, 0x7f800000, v12
                                        ; implicit-def: $vgpr12
	s_and_saveexec_b32 s22, vcc_lo
	s_xor_b32 s22, exec_lo, s22
; %bb.191:                              ;   in Loop: Header=BB146_4 Depth=1
	v_bfe_u32 v12, v2, 16, 1
	s_delay_alu instid0(VALU_DEP_1)
	v_add3_u32 v12, v2, v12, 0x7fff
                                        ; implicit-def: $vgpr2
; %bb.192:                              ;   in Loop: Header=BB146_4 Depth=1
	s_and_not1_saveexec_b32 s22, s22
; %bb.193:                              ;   in Loop: Header=BB146_4 Depth=1
	v_and_b32_e32 v12, 0xffff, v2
	v_or_b32_e32 v14, 0x10000, v2
	s_delay_alu instid0(VALU_DEP_2) | instskip(NEXT) | instid1(VALU_DEP_2)
	v_cmp_eq_u32_e32 vcc_lo, 0, v12
	v_cndmask_b32_e32 v12, v14, v2, vcc_lo
; %bb.194:                              ;   in Loop: Header=BB146_4 Depth=1
	s_or_b32 exec_lo, exec_lo, s22
	flat_store_d16_hi_b16 v[18:19], v12 offset:64
	flat_load_u16 v2, v[16:17] offset:96
	s_wait_loadcnt_dscnt 0x0
	v_lshlrev_b32_e32 v2, 16, v2
	s_delay_alu instid0(VALU_DEP_1) | instskip(SKIP_1) | instid1(VALU_DEP_1)
	v_mul_f32_e32 v2, s30, v2
	s_wait_xcnt 0x1
	v_and_b32_e32 v12, 0x7f800000, v2
	s_delay_alu instid0(VALU_DEP_1) | instskip(SKIP_2) | instid1(SALU_CYCLE_1)
	v_cmp_ne_u32_e32 vcc_lo, 0x7f800000, v12
                                        ; implicit-def: $vgpr12
	s_wait_xcnt 0x0
	s_and_saveexec_b32 s22, vcc_lo
	s_xor_b32 s22, exec_lo, s22
; %bb.195:                              ;   in Loop: Header=BB146_4 Depth=1
	v_bfe_u32 v12, v2, 16, 1
	s_delay_alu instid0(VALU_DEP_1)
	v_add3_u32 v12, v2, v12, 0x7fff
                                        ; implicit-def: $vgpr2
; %bb.196:                              ;   in Loop: Header=BB146_4 Depth=1
	s_and_not1_saveexec_b32 s22, s22
; %bb.197:                              ;   in Loop: Header=BB146_4 Depth=1
	v_and_b32_e32 v12, 0xffff, v2
	v_or_b32_e32 v14, 0x10000, v2
	s_delay_alu instid0(VALU_DEP_2) | instskip(NEXT) | instid1(VALU_DEP_2)
	v_cmp_eq_u32_e32 vcc_lo, 0, v12
	v_cndmask_b32_e32 v12, v14, v2, vcc_lo
; %bb.198:                              ;   in Loop: Header=BB146_4 Depth=1
	s_or_b32 exec_lo, exec_lo, s22
	s_delay_alu instid0(VALU_DEP_1) | instskip(NEXT) | instid1(VALU_DEP_1)
	v_fma_mix_f32_bf16 v2, s2, v13, v12 op_sel:[0,0,1] op_sel_hi:[0,0,1]
	v_and_b32_e32 v12, 0x7f800000, v2
	s_delay_alu instid0(VALU_DEP_1) | instskip(SKIP_1) | instid1(SALU_CYCLE_1)
	v_cmp_ne_u32_e32 vcc_lo, 0x7f800000, v12
                                        ; implicit-def: $vgpr12
	s_and_saveexec_b32 s22, vcc_lo
	s_xor_b32 s22, exec_lo, s22
; %bb.199:                              ;   in Loop: Header=BB146_4 Depth=1
	v_bfe_u32 v12, v2, 16, 1
	s_delay_alu instid0(VALU_DEP_1)
	v_add3_u32 v12, v2, v12, 0x7fff
                                        ; implicit-def: $vgpr2
; %bb.200:                              ;   in Loop: Header=BB146_4 Depth=1
	s_and_not1_saveexec_b32 s22, s22
	s_cbranch_execz .LBB146_2
; %bb.201:                              ;   in Loop: Header=BB146_4 Depth=1
	v_and_b32_e32 v12, 0xffff, v2
	v_or_b32_e32 v13, 0x10000, v2
	s_delay_alu instid0(VALU_DEP_2) | instskip(NEXT) | instid1(VALU_DEP_2)
	v_cmp_eq_u32_e32 vcc_lo, 0, v12
	v_cndmask_b32_e32 v12, v13, v2, vcc_lo
	s_branch .LBB146_2
.LBB146_202:
	s_sendmsg sendmsg(MSG_DEALLOC_VGPRS)
	s_endpgm
	.section	.rodata,"a",@progbits
	.p2align	6, 0x0
	.amdhsa_kernel _ZN12_GLOBAL__N_127rocblas_gemm_batched_kernelIfLi16ELi16ELi64ELi64ELi4ELi64ELi4ELi4ELi64ELc67ELc84EKPK16rocblas_bfloat16S4_KPS1_EEvlllT_PT11_llS9_llS7_PT12_llPT13_lli
		.amdhsa_group_segment_fixed_size 2048
		.amdhsa_private_segment_fixed_size 0
		.amdhsa_kernarg_size 140
		.amdhsa_user_sgpr_count 2
		.amdhsa_user_sgpr_dispatch_ptr 0
		.amdhsa_user_sgpr_queue_ptr 0
		.amdhsa_user_sgpr_kernarg_segment_ptr 1
		.amdhsa_user_sgpr_dispatch_id 0
		.amdhsa_user_sgpr_kernarg_preload_length 0
		.amdhsa_user_sgpr_kernarg_preload_offset 0
		.amdhsa_user_sgpr_private_segment_size 0
		.amdhsa_wavefront_size32 1
		.amdhsa_uses_dynamic_stack 0
		.amdhsa_enable_private_segment 0
		.amdhsa_system_sgpr_workgroup_id_x 1
		.amdhsa_system_sgpr_workgroup_id_y 1
		.amdhsa_system_sgpr_workgroup_id_z 1
		.amdhsa_system_sgpr_workgroup_info 0
		.amdhsa_system_vgpr_workitem_id 1
		.amdhsa_next_free_vgpr 74
		.amdhsa_next_free_sgpr 38
		.amdhsa_named_barrier_count 0
		.amdhsa_reserve_vcc 1
		.amdhsa_float_round_mode_32 0
		.amdhsa_float_round_mode_16_64 0
		.amdhsa_float_denorm_mode_32 3
		.amdhsa_float_denorm_mode_16_64 3
		.amdhsa_fp16_overflow 0
		.amdhsa_memory_ordered 1
		.amdhsa_forward_progress 1
		.amdhsa_inst_pref_size 55
		.amdhsa_round_robin_scheduling 0
		.amdhsa_exception_fp_ieee_invalid_op 0
		.amdhsa_exception_fp_denorm_src 0
		.amdhsa_exception_fp_ieee_div_zero 0
		.amdhsa_exception_fp_ieee_overflow 0
		.amdhsa_exception_fp_ieee_underflow 0
		.amdhsa_exception_fp_ieee_inexact 0
		.amdhsa_exception_int_div_zero 0
	.end_amdhsa_kernel
	.section	.text._ZN12_GLOBAL__N_127rocblas_gemm_batched_kernelIfLi16ELi16ELi64ELi64ELi4ELi64ELi4ELi4ELi64ELc67ELc84EKPK16rocblas_bfloat16S4_KPS1_EEvlllT_PT11_llS9_llS7_PT12_llPT13_lli,"axG",@progbits,_ZN12_GLOBAL__N_127rocblas_gemm_batched_kernelIfLi16ELi16ELi64ELi64ELi4ELi64ELi4ELi4ELi64ELc67ELc84EKPK16rocblas_bfloat16S4_KPS1_EEvlllT_PT11_llS9_llS7_PT12_llPT13_lli,comdat
.Lfunc_end146:
	.size	_ZN12_GLOBAL__N_127rocblas_gemm_batched_kernelIfLi16ELi16ELi64ELi64ELi4ELi64ELi4ELi4ELi64ELc67ELc84EKPK16rocblas_bfloat16S4_KPS1_EEvlllT_PT11_llS9_llS7_PT12_llPT13_lli, .Lfunc_end146-_ZN12_GLOBAL__N_127rocblas_gemm_batched_kernelIfLi16ELi16ELi64ELi64ELi4ELi64ELi4ELi4ELi64ELc67ELc84EKPK16rocblas_bfloat16S4_KPS1_EEvlllT_PT11_llS9_llS7_PT12_llPT13_lli
                                        ; -- End function
	.set _ZN12_GLOBAL__N_127rocblas_gemm_batched_kernelIfLi16ELi16ELi64ELi64ELi4ELi64ELi4ELi4ELi64ELc67ELc84EKPK16rocblas_bfloat16S4_KPS1_EEvlllT_PT11_llS9_llS7_PT12_llPT13_lli.num_vgpr, 74
	.set _ZN12_GLOBAL__N_127rocblas_gemm_batched_kernelIfLi16ELi16ELi64ELi64ELi4ELi64ELi4ELi4ELi64ELc67ELc84EKPK16rocblas_bfloat16S4_KPS1_EEvlllT_PT11_llS9_llS7_PT12_llPT13_lli.num_agpr, 0
	.set _ZN12_GLOBAL__N_127rocblas_gemm_batched_kernelIfLi16ELi16ELi64ELi64ELi4ELi64ELi4ELi4ELi64ELc67ELc84EKPK16rocblas_bfloat16S4_KPS1_EEvlllT_PT11_llS9_llS7_PT12_llPT13_lli.numbered_sgpr, 38
	.set _ZN12_GLOBAL__N_127rocblas_gemm_batched_kernelIfLi16ELi16ELi64ELi64ELi4ELi64ELi4ELi4ELi64ELc67ELc84EKPK16rocblas_bfloat16S4_KPS1_EEvlllT_PT11_llS9_llS7_PT12_llPT13_lli.num_named_barrier, 0
	.set _ZN12_GLOBAL__N_127rocblas_gemm_batched_kernelIfLi16ELi16ELi64ELi64ELi4ELi64ELi4ELi4ELi64ELc67ELc84EKPK16rocblas_bfloat16S4_KPS1_EEvlllT_PT11_llS9_llS7_PT12_llPT13_lli.private_seg_size, 0
	.set _ZN12_GLOBAL__N_127rocblas_gemm_batched_kernelIfLi16ELi16ELi64ELi64ELi4ELi64ELi4ELi4ELi64ELc67ELc84EKPK16rocblas_bfloat16S4_KPS1_EEvlllT_PT11_llS9_llS7_PT12_llPT13_lli.uses_vcc, 1
	.set _ZN12_GLOBAL__N_127rocblas_gemm_batched_kernelIfLi16ELi16ELi64ELi64ELi4ELi64ELi4ELi4ELi64ELc67ELc84EKPK16rocblas_bfloat16S4_KPS1_EEvlllT_PT11_llS9_llS7_PT12_llPT13_lli.uses_flat_scratch, 0
	.set _ZN12_GLOBAL__N_127rocblas_gemm_batched_kernelIfLi16ELi16ELi64ELi64ELi4ELi64ELi4ELi4ELi64ELc67ELc84EKPK16rocblas_bfloat16S4_KPS1_EEvlllT_PT11_llS9_llS7_PT12_llPT13_lli.has_dyn_sized_stack, 0
	.set _ZN12_GLOBAL__N_127rocblas_gemm_batched_kernelIfLi16ELi16ELi64ELi64ELi4ELi64ELi4ELi4ELi64ELc67ELc84EKPK16rocblas_bfloat16S4_KPS1_EEvlllT_PT11_llS9_llS7_PT12_llPT13_lli.has_recursion, 0
	.set _ZN12_GLOBAL__N_127rocblas_gemm_batched_kernelIfLi16ELi16ELi64ELi64ELi4ELi64ELi4ELi4ELi64ELc67ELc84EKPK16rocblas_bfloat16S4_KPS1_EEvlllT_PT11_llS9_llS7_PT12_llPT13_lli.has_indirect_call, 0
	.section	.AMDGPU.csdata,"",@progbits
; Kernel info:
; codeLenInByte = 7004
; TotalNumSgprs: 40
; NumVgprs: 74
; ScratchSize: 0
; MemoryBound: 0
; FloatMode: 240
; IeeeMode: 1
; LDSByteSize: 2048 bytes/workgroup (compile time only)
; SGPRBlocks: 0
; VGPRBlocks: 4
; NumSGPRsForWavesPerEU: 40
; NumVGPRsForWavesPerEU: 74
; NamedBarCnt: 0
; Occupancy: 12
; WaveLimiterHint : 1
; COMPUTE_PGM_RSRC2:SCRATCH_EN: 0
; COMPUTE_PGM_RSRC2:USER_SGPR: 2
; COMPUTE_PGM_RSRC2:TRAP_HANDLER: 0
; COMPUTE_PGM_RSRC2:TGID_X_EN: 1
; COMPUTE_PGM_RSRC2:TGID_Y_EN: 1
; COMPUTE_PGM_RSRC2:TGID_Z_EN: 1
; COMPUTE_PGM_RSRC2:TIDIG_COMP_CNT: 1
	.section	.text._ZN12_GLOBAL__N_127rocblas_gemm_batched_kernelIfLi16ELi16ELi64ELi64ELi4ELi64ELi4ELi4ELi64ELc78ELc67EKPK16rocblas_bfloat16S4_KPS1_EEvlllT_PT11_llS9_llS7_PT12_llPT13_lli,"axG",@progbits,_ZN12_GLOBAL__N_127rocblas_gemm_batched_kernelIfLi16ELi16ELi64ELi64ELi4ELi64ELi4ELi4ELi64ELc78ELc67EKPK16rocblas_bfloat16S4_KPS1_EEvlllT_PT11_llS9_llS7_PT12_llPT13_lli,comdat
	.globl	_ZN12_GLOBAL__N_127rocblas_gemm_batched_kernelIfLi16ELi16ELi64ELi64ELi4ELi64ELi4ELi4ELi64ELc78ELc67EKPK16rocblas_bfloat16S4_KPS1_EEvlllT_PT11_llS9_llS7_PT12_llPT13_lli ; -- Begin function _ZN12_GLOBAL__N_127rocblas_gemm_batched_kernelIfLi16ELi16ELi64ELi64ELi4ELi64ELi4ELi4ELi64ELc78ELc67EKPK16rocblas_bfloat16S4_KPS1_EEvlllT_PT11_llS9_llS7_PT12_llPT13_lli
	.p2align	8
	.type	_ZN12_GLOBAL__N_127rocblas_gemm_batched_kernelIfLi16ELi16ELi64ELi64ELi4ELi64ELi4ELi4ELi64ELc78ELc67EKPK16rocblas_bfloat16S4_KPS1_EEvlllT_PT11_llS9_llS7_PT12_llPT13_lli,@function
_ZN12_GLOBAL__N_127rocblas_gemm_batched_kernelIfLi16ELi16ELi64ELi64ELi4ELi64ELi4ELi4ELi64ELc78ELc67EKPK16rocblas_bfloat16S4_KPS1_EEvlllT_PT11_llS9_llS7_PT12_llPT13_lli: ; @_ZN12_GLOBAL__N_127rocblas_gemm_batched_kernelIfLi16ELi16ELi64ELi64ELi4ELi64ELi4ELi4ELi64ELc78ELc67EKPK16rocblas_bfloat16S4_KPS1_EEvlllT_PT11_llS9_llS7_PT12_llPT13_lli
; %bb.0:
	s_load_b32 s3, s[0:1], 0x88
	s_bfe_u32 s2, ttmp6, 0x40014
	s_lshr_b32 s4, ttmp7, 16
	s_add_co_i32 s2, s2, 1
	s_bfe_u32 s6, ttmp6, 0x40008
	s_mul_i32 s5, s4, s2
	s_getreg_b32 s2, hwreg(HW_REG_IB_STS2, 6, 4)
	s_add_co_i32 s6, s6, s5
	s_cmp_eq_u32 s2, 0
	s_mov_b32 s29, 0
	s_cselect_b32 s28, s4, s6
	s_wait_kmcnt 0x0
	s_cmp_ge_i32 s28, s3
	s_cbranch_scc1 .LBB147_202
; %bb.1:
	v_bfe_u32 v2, v0, 10, 10
	s_clause 0x2
	s_load_b256 s[4:11], s[0:1], 0x20
	s_load_b128 s[20:23], s[0:1], 0x40
	s_load_b32 s30, s[0:1], 0x50
	v_and_b32_e32 v6, 0x3ff, v0
	s_bfe_u32 s33, ttmp6, 0x4000c
	s_bfe_u32 s34, ttmp6, 0x40010
	v_dual_mov_b32 v3, 0 :: v_dual_lshlrev_b32 v16, 4, v2
	s_add_co_i32 s33, s33, 1
	s_and_b32 s35, ttmp7, 0xffff
	s_add_co_i32 s34, s34, 1
	s_clause 0x1
	s_load_b128 s[24:27], s[0:1], 0x78
	s_load_b256 s[12:19], s[0:1], 0x58
	s_and_b32 s31, ttmp6, 15
	s_mul_i32 s33, ttmp9, s33
	s_mul_i32 s34, s35, s34
	s_bfe_u32 s36, ttmp6, 0x40004
	v_dual_add_nc_u32 v14, v16, v6 :: v_dual_bitop2_b32 v7, 3, v0 bitop3:0x40
	s_add_co_i32 s31, s31, s33
	s_add_co_i32 s36, s36, s34
	s_cmp_eq_u32 s2, 0
	s_delay_alu instid0(VALU_DEP_1)
	v_dual_mov_b32 v9, v3 :: v_dual_lshrrev_b32 v8, 2, v14
	s_cselect_b32 s34, ttmp9, s31
	v_dual_lshrrev_b32 v17, 6, v14 :: v_dual_bitop2_b32 v14, 63, v14 bitop3:0x40
	s_cselect_b32 s2, s35, s36
	s_ashr_i32 s35, s34, 31
	s_lshl_b32 s36, s2, 6
	s_lshl_b64 s[34:35], s[34:35], 6
	s_wait_kmcnt 0x0
	v_mad_nc_u64_u32 v[10:11], s20, v7, v[8:9]
	s_mov_b32 s37, s29
	v_mad_nc_u64_u32 v[12:13], s6, v17, s[34:35]
	v_add_nc_u64_e32 v[4:5], s[36:37], v[2:3]
	s_load_b96 s[0:2], s[0:1], 0x10
	v_dual_mov_b32 v15, v3 :: v_dual_lshlrev_b32 v2, 2, v7
	v_lshlrev_b32_e32 v18, 2, v14
	v_lshlrev_b32_e32 v37, 2, v6
	s_cmp_eq_f32 s30, 0
	s_delay_alu instid0(VALU_DEP_4)
	v_mul_u64_e32 v[0:1], s[24:25], v[4:5]
	v_mul_u64_e32 v[4:5], s[14:15], v[4:5]
	v_mad_u32 v11, s21, v7, v11
	v_mad_u32 v13, s7, v17, v13
	v_lshl_or_b32 v19, v8, 4, v2
	v_mov_b32_e32 v7, v3
	v_lshl_or_b32 v2, v17, 8, v18
	v_add_nc_u32_e32 v38, 0x400, v16
	s_cselect_b32 s31, -1, 0
	v_add_nc_u32_e32 v36, 0x400, v19
	v_add_nc_u64_e32 v[6:7], s[34:35], v[6:7]
	s_lshl_b64 s[24:25], s[24:25], 4
	s_lshl_b64 s[14:15], s[14:15], 4
	v_add_nc_u64_e32 v[8:9], s[36:37], v[10:11]
	v_add_nc_u64_e32 v[10:11], v[12:13], v[14:15]
	s_wait_kmcnt 0x0
	v_cmp_gt_i64_e64 s33, s[0:1], 0
	s_lshl_b64 s[20:21], s[20:21], 3
	s_lshl_b64 s[6:7], s[6:7], 3
	;; [unrolled: 1-line block ×3, first 2 shown]
	v_lshlrev_b64_e32 v[8:9], 1, v[8:9]
	v_lshlrev_b64_e32 v[10:11], 1, v[10:11]
	s_delay_alu instid0(VALU_DEP_2) | instskip(NEXT) | instid1(VALU_DEP_2)
	v_lshl_add_u64 v[8:9], s[22:23], 1, v[8:9]
	v_lshl_add_u64 v[10:11], s[8:9], 1, v[10:11]
	s_lshl_b64 s[8:9], s[26:27], 1
	s_branch .LBB147_4
.LBB147_2:                              ;   in Loop: Header=BB147_4 Depth=1
	s_or_b32 exec_lo, exec_lo, s22
	flat_store_d16_hi_b16 v[18:19], v13 offset:96
.LBB147_3:                              ;   in Loop: Header=BB147_4 Depth=1
	s_add_co_i32 s28, s28, 0x10000
	s_delay_alu instid0(SALU_CYCLE_1)
	s_cmp_lt_i32 s28, s3
	s_cbranch_scc0 .LBB147_202
.LBB147_4:                              ; =>This Loop Header: Depth=1
                                        ;     Child Loop BB147_6 Depth 2
	v_dual_mov_b32 v12, s28 :: v_dual_mov_b32 v27, 0
	v_dual_mov_b32 v26, 0 :: v_dual_mov_b32 v25, 0
	;; [unrolled: 1-line block ×3, first 2 shown]
	s_clause 0x1
	global_load_b64 v[28:29], v12, s[12:13] scale_offset
	global_load_b64 v[30:31], v12, s[18:19] scale_offset
	v_dual_mov_b32 v22, 0 :: v_dual_mov_b32 v21, 0
	s_wait_xcnt 0x2
	v_dual_mov_b32 v20, 0 :: v_dual_mov_b32 v19, 0
	v_dual_mov_b32 v18, 0 :: v_dual_mov_b32 v17, 0
	;; [unrolled: 1-line block ×4, first 2 shown]
	s_wait_xcnt 0x0
	v_mov_b32_e32 v12, 0
	s_and_not1_b32 vcc_lo, exec_lo, s33
	s_cbranch_vccnz .LBB147_7
; %bb.5:                                ;   in Loop: Header=BB147_4 Depth=1
	s_lshl_b64 s[22:23], s[28:29], 3
	v_mov_b32_e32 v12, 0
	s_add_nc_u64 s[26:27], s[10:11], s[22:23]
	s_add_nc_u64 s[22:23], s[4:5], s[22:23]
	s_clause 0x1
	global_load_b64 v[26:27], v3, s[26:27]
	global_load_b64 v[34:35], v3, s[22:23]
	s_wait_xcnt 0x0
	s_mov_b64 s[22:23], 0
	v_dual_mov_b32 v13, v12 :: v_dual_mov_b32 v14, v12
	v_dual_mov_b32 v15, v12 :: v_dual_mov_b32 v16, v12
	;; [unrolled: 1-line block ×6, first 2 shown]
	v_mov_b32_e32 v25, v12
	s_wait_loadcnt 0x1
	v_add_nc_u64_e32 v[32:33], v[26:27], v[8:9]
	s_wait_loadcnt 0x0
	v_add_nc_u64_e32 v[34:35], v[34:35], v[10:11]
	v_dual_mov_b32 v26, v12 :: v_dual_mov_b32 v27, v12
.LBB147_6:                              ;   Parent Loop BB147_4 Depth=1
                                        ; =>  This Inner Loop Header: Depth=2
	flat_load_u16 v39, v[34:35]
	flat_load_u16 v40, v[32:33]
	s_add_nc_u64 s[22:23], s[22:23], 4
	s_wait_xcnt 0x0
	v_add_nc_u64_e32 v[32:33], s[20:21], v[32:33]
	v_cmp_lt_i64_e64 s26, s[22:23], s[0:1]
	v_add_nc_u64_e32 v[34:35], s[6:7], v[34:35]
	s_and_b32 vcc_lo, exec_lo, s26
	s_wait_loadcnt_dscnt 0x0
	v_dual_lshlrev_b32 v39, 16, v39 :: v_dual_lshlrev_b32 v40, 16, v40
	ds_store_b32 v2, v39
	ds_store_b32 v36, v40
	s_wait_dscnt 0x0
	s_barrier_signal -1
	s_barrier_wait -1
	ds_load_b128 v[40:43], v38
	ds_load_2addr_b32 v[56:57], v37 offset1:16
	ds_load_2addr_b32 v[58:59], v37 offset0:32 offset1:48
	ds_load_b128 v[44:47], v38 offset:256
	ds_load_b128 v[48:51], v38 offset:512
	;; [unrolled: 1-line block ×3, first 2 shown]
	ds_load_2addr_b32 v[60:61], v37 offset0:64 offset1:80
	ds_load_2addr_b32 v[62:63], v37 offset0:96 offset1:112
	;; [unrolled: 1-line block ×6, first 2 shown]
	s_wait_dscnt 0x0
	s_barrier_signal -1
	s_barrier_wait -1
	v_mov_b32_e32 v72, v43
	v_pk_fma_f32 v[26:27], v[56:57], v[40:41], v[26:27] op_sel_hi:[1,0,1]
	v_pk_fma_f32 v[24:25], v[58:59], v[40:41], v[24:25] op_sel_hi:[1,0,1]
	;; [unrolled: 1-line block ×8, first 2 shown]
	v_pk_fma_f32 v[26:27], v[60:61], v[40:41], v[26:27] op_sel:[0,1,0]
	v_pk_fma_f32 v[24:25], v[62:63], v[40:41], v[24:25] op_sel:[0,1,0]
	;; [unrolled: 1-line block ×8, first 2 shown]
	v_dual_mov_b32 v56, v47 :: v_dual_mov_b32 v58, v51
	v_mov_b32_e32 v74, v55
	v_pk_fma_f32 v[26:27], v[64:65], v[42:43], v[26:27] op_sel_hi:[1,0,1]
	v_pk_fma_f32 v[24:25], v[66:67], v[42:43], v[24:25] op_sel_hi:[1,0,1]
	;; [unrolled: 1-line block ×16, first 2 shown]
	s_cbranch_vccnz .LBB147_6
.LBB147_7:                              ;   in Loop: Header=BB147_4 Depth=1
	s_wait_loadcnt 0x0
	v_add_nc_u64_e32 v[30:31], s[8:9], v[30:31]
	s_and_not1_b32 vcc_lo, exec_lo, s31
	s_cbranch_vccnz .LBB147_73
; %bb.8:                                ;   in Loop: Header=BB147_4 Depth=1
	v_mul_f32_e32 v32, s2, v26
	s_mov_b32 s22, exec_lo
                                        ; implicit-def: $vgpr39
	s_delay_alu instid0(VALU_DEP_1) | instskip(NEXT) | instid1(VALU_DEP_1)
	v_and_b32_e32 v33, 0x7f800000, v32
	v_cmpx_ne_u32_e32 0x7f800000, v33
	s_xor_b32 s22, exec_lo, s22
; %bb.9:                                ;   in Loop: Header=BB147_4 Depth=1
	v_bfe_u32 v33, v32, 16, 1
	s_delay_alu instid0(VALU_DEP_1)
	v_add3_u32 v39, v32, v33, 0x7fff
                                        ; implicit-def: $vgpr32
; %bb.10:                               ;   in Loop: Header=BB147_4 Depth=1
	s_and_not1_saveexec_b32 s22, s22
; %bb.11:                               ;   in Loop: Header=BB147_4 Depth=1
	v_and_b32_e32 v33, 0xffff, v32
	v_or_b32_e32 v34, 0x10000, v32
	s_delay_alu instid0(VALU_DEP_2) | instskip(NEXT) | instid1(VALU_DEP_2)
	v_cmp_eq_u32_e32 vcc_lo, 0, v33
	v_cndmask_b32_e32 v39, v34, v32, vcc_lo
; %bb.12:                               ;   in Loop: Header=BB147_4 Depth=1
	s_or_b32 exec_lo, exec_lo, s22
	v_mul_f32_e32 v40, s2, v27
	v_lshl_add_u64 v[32:33], v[0:1], 1, v[30:31]
	s_delay_alu instid0(VALU_DEP_2) | instskip(NEXT) | instid1(VALU_DEP_2)
	v_and_b32_e32 v41, 0x7f800000, v40
	v_lshl_add_u64 v[34:35], v[6:7], 1, v[32:33]
	s_delay_alu instid0(VALU_DEP_2) | instskip(SKIP_3) | instid1(SALU_CYCLE_1)
	v_cmp_ne_u32_e32 vcc_lo, 0x7f800000, v41
	flat_store_d16_hi_b16 v[34:35], v39
                                        ; implicit-def: $vgpr41
	s_wait_xcnt 0x0
	s_and_saveexec_b32 s22, vcc_lo
	s_xor_b32 s22, exec_lo, s22
; %bb.13:                               ;   in Loop: Header=BB147_4 Depth=1
	v_bfe_u32 v39, v40, 16, 1
	s_delay_alu instid0(VALU_DEP_1)
	v_add3_u32 v41, v40, v39, 0x7fff
                                        ; implicit-def: $vgpr40
; %bb.14:                               ;   in Loop: Header=BB147_4 Depth=1
	s_and_not1_saveexec_b32 s22, s22
; %bb.15:                               ;   in Loop: Header=BB147_4 Depth=1
	v_and_b32_e32 v39, 0xffff, v40
	v_or_b32_e32 v41, 0x10000, v40
	s_delay_alu instid0(VALU_DEP_2) | instskip(NEXT) | instid1(VALU_DEP_2)
	v_cmp_eq_u32_e32 vcc_lo, 0, v39
	v_cndmask_b32_e32 v41, v41, v40, vcc_lo
; %bb.16:                               ;   in Loop: Header=BB147_4 Depth=1
	s_or_b32 exec_lo, exec_lo, s22
	v_mul_f32_e32 v39, s2, v24
	flat_store_d16_hi_b16 v[34:35], v41 offset:32
	v_and_b32_e32 v40, 0x7f800000, v39
	s_delay_alu instid0(VALU_DEP_1) | instskip(SKIP_2) | instid1(SALU_CYCLE_1)
	v_cmp_ne_u32_e32 vcc_lo, 0x7f800000, v40
                                        ; implicit-def: $vgpr40
	s_wait_xcnt 0x0
	s_and_saveexec_b32 s22, vcc_lo
	s_xor_b32 s22, exec_lo, s22
; %bb.17:                               ;   in Loop: Header=BB147_4 Depth=1
	v_bfe_u32 v40, v39, 16, 1
	s_delay_alu instid0(VALU_DEP_1)
	v_add3_u32 v40, v39, v40, 0x7fff
                                        ; implicit-def: $vgpr39
; %bb.18:                               ;   in Loop: Header=BB147_4 Depth=1
	s_and_not1_saveexec_b32 s22, s22
; %bb.19:                               ;   in Loop: Header=BB147_4 Depth=1
	v_and_b32_e32 v40, 0xffff, v39
	v_or_b32_e32 v41, 0x10000, v39
	s_delay_alu instid0(VALU_DEP_2) | instskip(NEXT) | instid1(VALU_DEP_2)
	v_cmp_eq_u32_e32 vcc_lo, 0, v40
	v_cndmask_b32_e32 v40, v41, v39, vcc_lo
; %bb.20:                               ;   in Loop: Header=BB147_4 Depth=1
	s_or_b32 exec_lo, exec_lo, s22
	v_mul_f32_e32 v39, s2, v25
	flat_store_d16_hi_b16 v[34:35], v40 offset:64
	v_and_b32_e32 v41, 0x7f800000, v39
	s_delay_alu instid0(VALU_DEP_1) | instskip(SKIP_2) | instid1(SALU_CYCLE_1)
	v_cmp_ne_u32_e32 vcc_lo, 0x7f800000, v41
                                        ; implicit-def: $vgpr41
	s_wait_xcnt 0x0
	s_and_saveexec_b32 s22, vcc_lo
	s_xor_b32 s22, exec_lo, s22
; %bb.21:                               ;   in Loop: Header=BB147_4 Depth=1
	v_bfe_u32 v40, v39, 16, 1
	s_delay_alu instid0(VALU_DEP_1)
	v_add3_u32 v41, v39, v40, 0x7fff
                                        ; implicit-def: $vgpr39
; %bb.22:                               ;   in Loop: Header=BB147_4 Depth=1
	s_and_not1_saveexec_b32 s22, s22
; %bb.23:                               ;   in Loop: Header=BB147_4 Depth=1
	v_and_b32_e32 v40, 0xffff, v39
	v_or_b32_e32 v41, 0x10000, v39
	s_delay_alu instid0(VALU_DEP_2) | instskip(NEXT) | instid1(VALU_DEP_2)
	v_cmp_eq_u32_e32 vcc_lo, 0, v40
	v_cndmask_b32_e32 v41, v41, v39, vcc_lo
; %bb.24:                               ;   in Loop: Header=BB147_4 Depth=1
	s_or_b32 exec_lo, exec_lo, s22
	v_mul_f32_e32 v40, s2, v22
	flat_store_d16_hi_b16 v[34:35], v41 offset:96
	v_and_b32_e32 v39, 0x7f800000, v40
	s_delay_alu instid0(VALU_DEP_1) | instskip(SKIP_2) | instid1(SALU_CYCLE_1)
	v_cmp_ne_u32_e32 vcc_lo, 0x7f800000, v39
                                        ; implicit-def: $vgpr39
	s_wait_xcnt 0x0
	s_and_saveexec_b32 s22, vcc_lo
	s_xor_b32 s22, exec_lo, s22
; %bb.25:                               ;   in Loop: Header=BB147_4 Depth=1
	v_bfe_u32 v34, v40, 16, 1
	s_delay_alu instid0(VALU_DEP_1)
	v_add3_u32 v39, v40, v34, 0x7fff
                                        ; implicit-def: $vgpr40
; %bb.26:                               ;   in Loop: Header=BB147_4 Depth=1
	s_and_not1_saveexec_b32 s22, s22
; %bb.27:                               ;   in Loop: Header=BB147_4 Depth=1
	v_and_b32_e32 v34, 0xffff, v40
	v_or_b32_e32 v35, 0x10000, v40
	s_delay_alu instid0(VALU_DEP_2) | instskip(NEXT) | instid1(VALU_DEP_2)
	v_cmp_eq_u32_e32 vcc_lo, 0, v34
	v_cndmask_b32_e32 v39, v35, v40, vcc_lo
; %bb.28:                               ;   in Loop: Header=BB147_4 Depth=1
	s_or_b32 exec_lo, exec_lo, s22
	v_mul_f32_e32 v40, s2, v23
	v_lshl_add_u64 v[32:33], s[24:25], 1, v[32:33]
	s_delay_alu instid0(VALU_DEP_2) | instskip(NEXT) | instid1(VALU_DEP_2)
	v_and_b32_e32 v41, 0x7f800000, v40
	v_lshl_add_u64 v[34:35], v[6:7], 1, v[32:33]
	s_delay_alu instid0(VALU_DEP_2) | instskip(SKIP_3) | instid1(SALU_CYCLE_1)
	v_cmp_ne_u32_e32 vcc_lo, 0x7f800000, v41
	flat_store_d16_hi_b16 v[34:35], v39
                                        ; implicit-def: $vgpr41
	s_wait_xcnt 0x0
	s_and_saveexec_b32 s22, vcc_lo
	s_xor_b32 s22, exec_lo, s22
; %bb.29:                               ;   in Loop: Header=BB147_4 Depth=1
	v_bfe_u32 v39, v40, 16, 1
	s_delay_alu instid0(VALU_DEP_1)
	v_add3_u32 v41, v40, v39, 0x7fff
                                        ; implicit-def: $vgpr40
; %bb.30:                               ;   in Loop: Header=BB147_4 Depth=1
	s_and_not1_saveexec_b32 s22, s22
; %bb.31:                               ;   in Loop: Header=BB147_4 Depth=1
	v_and_b32_e32 v39, 0xffff, v40
	v_or_b32_e32 v41, 0x10000, v40
	s_delay_alu instid0(VALU_DEP_2) | instskip(NEXT) | instid1(VALU_DEP_2)
	v_cmp_eq_u32_e32 vcc_lo, 0, v39
	v_cndmask_b32_e32 v41, v41, v40, vcc_lo
; %bb.32:                               ;   in Loop: Header=BB147_4 Depth=1
	s_or_b32 exec_lo, exec_lo, s22
	v_mul_f32_e32 v39, s2, v20
	flat_store_d16_hi_b16 v[34:35], v41 offset:32
	v_and_b32_e32 v40, 0x7f800000, v39
	s_delay_alu instid0(VALU_DEP_1) | instskip(SKIP_2) | instid1(SALU_CYCLE_1)
	v_cmp_ne_u32_e32 vcc_lo, 0x7f800000, v40
                                        ; implicit-def: $vgpr40
	s_wait_xcnt 0x0
	s_and_saveexec_b32 s22, vcc_lo
	s_xor_b32 s22, exec_lo, s22
; %bb.33:                               ;   in Loop: Header=BB147_4 Depth=1
	v_bfe_u32 v40, v39, 16, 1
	s_delay_alu instid0(VALU_DEP_1)
	v_add3_u32 v40, v39, v40, 0x7fff
                                        ; implicit-def: $vgpr39
; %bb.34:                               ;   in Loop: Header=BB147_4 Depth=1
	s_and_not1_saveexec_b32 s22, s22
; %bb.35:                               ;   in Loop: Header=BB147_4 Depth=1
	v_and_b32_e32 v40, 0xffff, v39
	v_or_b32_e32 v41, 0x10000, v39
	s_delay_alu instid0(VALU_DEP_2) | instskip(NEXT) | instid1(VALU_DEP_2)
	v_cmp_eq_u32_e32 vcc_lo, 0, v40
	v_cndmask_b32_e32 v40, v41, v39, vcc_lo
; %bb.36:                               ;   in Loop: Header=BB147_4 Depth=1
	s_or_b32 exec_lo, exec_lo, s22
	v_mul_f32_e32 v39, s2, v21
	flat_store_d16_hi_b16 v[34:35], v40 offset:64
	v_and_b32_e32 v41, 0x7f800000, v39
	s_delay_alu instid0(VALU_DEP_1) | instskip(SKIP_2) | instid1(SALU_CYCLE_1)
	v_cmp_ne_u32_e32 vcc_lo, 0x7f800000, v41
                                        ; implicit-def: $vgpr41
	s_wait_xcnt 0x0
	s_and_saveexec_b32 s22, vcc_lo
	s_xor_b32 s22, exec_lo, s22
; %bb.37:                               ;   in Loop: Header=BB147_4 Depth=1
	v_bfe_u32 v40, v39, 16, 1
	s_delay_alu instid0(VALU_DEP_1)
	v_add3_u32 v41, v39, v40, 0x7fff
                                        ; implicit-def: $vgpr39
; %bb.38:                               ;   in Loop: Header=BB147_4 Depth=1
	s_and_not1_saveexec_b32 s22, s22
; %bb.39:                               ;   in Loop: Header=BB147_4 Depth=1
	v_and_b32_e32 v40, 0xffff, v39
	v_or_b32_e32 v41, 0x10000, v39
	s_delay_alu instid0(VALU_DEP_2) | instskip(NEXT) | instid1(VALU_DEP_2)
	v_cmp_eq_u32_e32 vcc_lo, 0, v40
	v_cndmask_b32_e32 v41, v41, v39, vcc_lo
; %bb.40:                               ;   in Loop: Header=BB147_4 Depth=1
	s_or_b32 exec_lo, exec_lo, s22
	v_mul_f32_e32 v40, s2, v18
	flat_store_d16_hi_b16 v[34:35], v41 offset:96
	v_and_b32_e32 v39, 0x7f800000, v40
	s_delay_alu instid0(VALU_DEP_1) | instskip(SKIP_2) | instid1(SALU_CYCLE_1)
	v_cmp_ne_u32_e32 vcc_lo, 0x7f800000, v39
                                        ; implicit-def: $vgpr39
	s_wait_xcnt 0x0
	s_and_saveexec_b32 s22, vcc_lo
	s_xor_b32 s22, exec_lo, s22
; %bb.41:                               ;   in Loop: Header=BB147_4 Depth=1
	v_bfe_u32 v34, v40, 16, 1
	s_delay_alu instid0(VALU_DEP_1)
	v_add3_u32 v39, v40, v34, 0x7fff
                                        ; implicit-def: $vgpr40
; %bb.42:                               ;   in Loop: Header=BB147_4 Depth=1
	s_and_not1_saveexec_b32 s22, s22
; %bb.43:                               ;   in Loop: Header=BB147_4 Depth=1
	v_and_b32_e32 v34, 0xffff, v40
	v_or_b32_e32 v35, 0x10000, v40
	s_delay_alu instid0(VALU_DEP_2) | instskip(NEXT) | instid1(VALU_DEP_2)
	v_cmp_eq_u32_e32 vcc_lo, 0, v34
	v_cndmask_b32_e32 v39, v35, v40, vcc_lo
; %bb.44:                               ;   in Loop: Header=BB147_4 Depth=1
	s_or_b32 exec_lo, exec_lo, s22
	v_mul_f32_e32 v40, s2, v19
	v_lshl_add_u64 v[32:33], s[24:25], 1, v[32:33]
	s_delay_alu instid0(VALU_DEP_2) | instskip(NEXT) | instid1(VALU_DEP_2)
	v_and_b32_e32 v41, 0x7f800000, v40
	v_lshl_add_u64 v[34:35], v[6:7], 1, v[32:33]
	s_delay_alu instid0(VALU_DEP_2) | instskip(SKIP_3) | instid1(SALU_CYCLE_1)
	v_cmp_ne_u32_e32 vcc_lo, 0x7f800000, v41
	flat_store_d16_hi_b16 v[34:35], v39
                                        ; implicit-def: $vgpr41
	s_wait_xcnt 0x0
	s_and_saveexec_b32 s22, vcc_lo
	s_xor_b32 s22, exec_lo, s22
; %bb.45:                               ;   in Loop: Header=BB147_4 Depth=1
	v_bfe_u32 v39, v40, 16, 1
	s_delay_alu instid0(VALU_DEP_1)
	v_add3_u32 v41, v40, v39, 0x7fff
                                        ; implicit-def: $vgpr40
; %bb.46:                               ;   in Loop: Header=BB147_4 Depth=1
	s_and_not1_saveexec_b32 s22, s22
; %bb.47:                               ;   in Loop: Header=BB147_4 Depth=1
	v_and_b32_e32 v39, 0xffff, v40
	v_or_b32_e32 v41, 0x10000, v40
	s_delay_alu instid0(VALU_DEP_2) | instskip(NEXT) | instid1(VALU_DEP_2)
	v_cmp_eq_u32_e32 vcc_lo, 0, v39
	v_cndmask_b32_e32 v41, v41, v40, vcc_lo
; %bb.48:                               ;   in Loop: Header=BB147_4 Depth=1
	s_or_b32 exec_lo, exec_lo, s22
	v_mul_f32_e32 v39, s2, v16
	flat_store_d16_hi_b16 v[34:35], v41 offset:32
	v_and_b32_e32 v40, 0x7f800000, v39
	s_delay_alu instid0(VALU_DEP_1) | instskip(SKIP_2) | instid1(SALU_CYCLE_1)
	v_cmp_ne_u32_e32 vcc_lo, 0x7f800000, v40
                                        ; implicit-def: $vgpr40
	s_wait_xcnt 0x0
	s_and_saveexec_b32 s22, vcc_lo
	s_xor_b32 s22, exec_lo, s22
; %bb.49:                               ;   in Loop: Header=BB147_4 Depth=1
	v_bfe_u32 v40, v39, 16, 1
	s_delay_alu instid0(VALU_DEP_1)
	v_add3_u32 v40, v39, v40, 0x7fff
                                        ; implicit-def: $vgpr39
; %bb.50:                               ;   in Loop: Header=BB147_4 Depth=1
	s_and_not1_saveexec_b32 s22, s22
; %bb.51:                               ;   in Loop: Header=BB147_4 Depth=1
	v_and_b32_e32 v40, 0xffff, v39
	v_or_b32_e32 v41, 0x10000, v39
	s_delay_alu instid0(VALU_DEP_2) | instskip(NEXT) | instid1(VALU_DEP_2)
	v_cmp_eq_u32_e32 vcc_lo, 0, v40
	v_cndmask_b32_e32 v40, v41, v39, vcc_lo
; %bb.52:                               ;   in Loop: Header=BB147_4 Depth=1
	s_or_b32 exec_lo, exec_lo, s22
	v_mul_f32_e32 v39, s2, v17
	s_mov_b32 s22, exec_lo
	flat_store_d16_hi_b16 v[34:35], v40 offset:64
                                        ; implicit-def: $vgpr40
	v_and_b32_e32 v41, 0x7f800000, v39
	s_wait_xcnt 0x0
	s_delay_alu instid0(VALU_DEP_1)
	v_cmpx_ne_u32_e32 0x7f800000, v41
	s_xor_b32 s22, exec_lo, s22
; %bb.53:                               ;   in Loop: Header=BB147_4 Depth=1
	v_bfe_u32 v40, v39, 16, 1
	s_delay_alu instid0(VALU_DEP_1)
	v_add3_u32 v40, v39, v40, 0x7fff
                                        ; implicit-def: $vgpr39
; %bb.54:                               ;   in Loop: Header=BB147_4 Depth=1
	s_and_not1_saveexec_b32 s22, s22
; %bb.55:                               ;   in Loop: Header=BB147_4 Depth=1
	v_and_b32_e32 v40, 0xffff, v39
	v_or_b32_e32 v41, 0x10000, v39
	s_delay_alu instid0(VALU_DEP_2) | instskip(NEXT) | instid1(VALU_DEP_2)
	v_cmp_eq_u32_e32 vcc_lo, 0, v40
	v_cndmask_b32_e32 v40, v41, v39, vcc_lo
; %bb.56:                               ;   in Loop: Header=BB147_4 Depth=1
	s_or_b32 exec_lo, exec_lo, s22
	v_mul_f32_e32 v39, s2, v14
	s_mov_b32 s22, exec_lo
	flat_store_d16_hi_b16 v[34:35], v40 offset:96
                                        ; implicit-def: $vgpr34
	v_and_b32_e32 v41, 0x7f800000, v39
	s_wait_xcnt 0x0
	s_delay_alu instid0(VALU_DEP_1)
	v_cmpx_ne_u32_e32 0x7f800000, v41
	s_xor_b32 s22, exec_lo, s22
; %bb.57:                               ;   in Loop: Header=BB147_4 Depth=1
	v_bfe_u32 v34, v39, 16, 1
	s_delay_alu instid0(VALU_DEP_1)
	v_add3_u32 v34, v39, v34, 0x7fff
                                        ; implicit-def: $vgpr39
; %bb.58:                               ;   in Loop: Header=BB147_4 Depth=1
	s_and_not1_saveexec_b32 s22, s22
; %bb.59:                               ;   in Loop: Header=BB147_4 Depth=1
	v_and_b32_e32 v34, 0xffff, v39
	v_or_b32_e32 v35, 0x10000, v39
	s_delay_alu instid0(VALU_DEP_2) | instskip(NEXT) | instid1(VALU_DEP_2)
	v_cmp_eq_u32_e32 vcc_lo, 0, v34
	v_cndmask_b32_e32 v34, v35, v39, vcc_lo
; %bb.60:                               ;   in Loop: Header=BB147_4 Depth=1
	s_or_b32 exec_lo, exec_lo, s22
	v_mul_f32_e32 v35, s2, v15
	v_lshl_add_u64 v[32:33], s[24:25], 1, v[32:33]
	s_delay_alu instid0(VALU_DEP_2) | instskip(NEXT) | instid1(VALU_DEP_2)
	v_and_b32_e32 v39, 0x7f800000, v35
	v_lshl_add_u64 v[32:33], v[6:7], 1, v[32:33]
	s_delay_alu instid0(VALU_DEP_2) | instskip(SKIP_3) | instid1(SALU_CYCLE_1)
	v_cmp_ne_u32_e32 vcc_lo, 0x7f800000, v39
	flat_store_d16_hi_b16 v[32:33], v34
                                        ; implicit-def: $vgpr39
	s_wait_xcnt 0x0
	s_and_saveexec_b32 s22, vcc_lo
	s_xor_b32 s22, exec_lo, s22
; %bb.61:                               ;   in Loop: Header=BB147_4 Depth=1
	v_bfe_u32 v34, v35, 16, 1
	s_delay_alu instid0(VALU_DEP_1)
	v_add3_u32 v39, v35, v34, 0x7fff
                                        ; implicit-def: $vgpr35
; %bb.62:                               ;   in Loop: Header=BB147_4 Depth=1
	s_and_not1_saveexec_b32 s22, s22
; %bb.63:                               ;   in Loop: Header=BB147_4 Depth=1
	v_and_b32_e32 v34, 0xffff, v35
	v_or_b32_e32 v39, 0x10000, v35
	s_delay_alu instid0(VALU_DEP_2) | instskip(NEXT) | instid1(VALU_DEP_2)
	v_cmp_eq_u32_e32 vcc_lo, 0, v34
	v_cndmask_b32_e32 v39, v39, v35, vcc_lo
; %bb.64:                               ;   in Loop: Header=BB147_4 Depth=1
	s_or_b32 exec_lo, exec_lo, s22
	v_mul_f32_e32 v34, s2, v12
	flat_store_d16_hi_b16 v[32:33], v39 offset:32
	v_and_b32_e32 v35, 0x7f800000, v34
	s_delay_alu instid0(VALU_DEP_1) | instskip(SKIP_2) | instid1(SALU_CYCLE_1)
	v_cmp_ne_u32_e32 vcc_lo, 0x7f800000, v35
                                        ; implicit-def: $vgpr35
	s_wait_xcnt 0x0
	s_and_saveexec_b32 s22, vcc_lo
	s_xor_b32 s22, exec_lo, s22
; %bb.65:                               ;   in Loop: Header=BB147_4 Depth=1
	v_bfe_u32 v35, v34, 16, 1
	s_delay_alu instid0(VALU_DEP_1)
	v_add3_u32 v35, v34, v35, 0x7fff
                                        ; implicit-def: $vgpr34
; %bb.66:                               ;   in Loop: Header=BB147_4 Depth=1
	s_and_not1_saveexec_b32 s22, s22
; %bb.67:                               ;   in Loop: Header=BB147_4 Depth=1
	v_and_b32_e32 v35, 0xffff, v34
	v_or_b32_e32 v39, 0x10000, v34
	s_delay_alu instid0(VALU_DEP_2) | instskip(NEXT) | instid1(VALU_DEP_2)
	v_cmp_eq_u32_e32 vcc_lo, 0, v35
	v_cndmask_b32_e32 v35, v39, v34, vcc_lo
; %bb.68:                               ;   in Loop: Header=BB147_4 Depth=1
	s_or_b32 exec_lo, exec_lo, s22
	v_mul_f32_e32 v34, s2, v13
	s_mov_b32 s22, exec_lo
	flat_store_d16_hi_b16 v[32:33], v35 offset:64
                                        ; implicit-def: $vgpr35
	v_and_b32_e32 v39, 0x7f800000, v34
	s_wait_xcnt 0x0
	s_delay_alu instid0(VALU_DEP_1)
	v_cmpx_ne_u32_e32 0x7f800000, v39
	s_xor_b32 s22, exec_lo, s22
; %bb.69:                               ;   in Loop: Header=BB147_4 Depth=1
	v_bfe_u32 v35, v34, 16, 1
	s_delay_alu instid0(VALU_DEP_1)
	v_add3_u32 v35, v34, v35, 0x7fff
                                        ; implicit-def: $vgpr34
; %bb.70:                               ;   in Loop: Header=BB147_4 Depth=1
	s_and_not1_saveexec_b32 s22, s22
; %bb.71:                               ;   in Loop: Header=BB147_4 Depth=1
	v_and_b32_e32 v35, 0xffff, v34
	v_or_b32_e32 v39, 0x10000, v34
	s_delay_alu instid0(VALU_DEP_2) | instskip(NEXT) | instid1(VALU_DEP_2)
	v_cmp_eq_u32_e32 vcc_lo, 0, v35
	v_cndmask_b32_e32 v35, v39, v34, vcc_lo
; %bb.72:                               ;   in Loop: Header=BB147_4 Depth=1
	s_or_b32 exec_lo, exec_lo, s22
	flat_store_d16_hi_b16 v[32:33], v35 offset:96
	s_branch .LBB147_3
.LBB147_73:                             ;   in Loop: Header=BB147_4 Depth=1
	s_cbranch_execz .LBB147_3
; %bb.74:                               ;   in Loop: Header=BB147_4 Depth=1
	v_add_nc_u64_e32 v[28:29], s[16:17], v[28:29]
	s_delay_alu instid0(VALU_DEP_1) | instskip(SKIP_1) | instid1(VALU_DEP_1)
	v_lshl_add_u64 v[28:29], v[4:5], 1, v[28:29]
	s_wait_xcnt 0x0
	v_lshl_add_u64 v[32:33], v[6:7], 1, v[28:29]
	flat_load_u16 v34, v[32:33]
	s_wait_loadcnt_dscnt 0x0
	v_lshlrev_b32_e32 v34, 16, v34
	s_delay_alu instid0(VALU_DEP_1) | instskip(NEXT) | instid1(VALU_DEP_1)
	v_mul_f32_e32 v34, s30, v34
	v_and_b32_e32 v35, 0x7f800000, v34
	s_delay_alu instid0(VALU_DEP_1) | instskip(SKIP_2) | instid1(SALU_CYCLE_1)
	v_cmp_ne_u32_e32 vcc_lo, 0x7f800000, v35
                                        ; implicit-def: $vgpr35
	s_wait_xcnt 0x0
	s_and_saveexec_b32 s22, vcc_lo
	s_xor_b32 s22, exec_lo, s22
; %bb.75:                               ;   in Loop: Header=BB147_4 Depth=1
	v_bfe_u32 v35, v34, 16, 1
	s_delay_alu instid0(VALU_DEP_1)
	v_add3_u32 v35, v34, v35, 0x7fff
                                        ; implicit-def: $vgpr34
; %bb.76:                               ;   in Loop: Header=BB147_4 Depth=1
	s_and_not1_saveexec_b32 s22, s22
; %bb.77:                               ;   in Loop: Header=BB147_4 Depth=1
	v_and_b32_e32 v35, 0xffff, v34
	v_or_b32_e32 v39, 0x10000, v34
	s_delay_alu instid0(VALU_DEP_2) | instskip(NEXT) | instid1(VALU_DEP_2)
	v_cmp_eq_u32_e32 vcc_lo, 0, v35
	v_cndmask_b32_e32 v35, v39, v34, vcc_lo
; %bb.78:                               ;   in Loop: Header=BB147_4 Depth=1
	s_or_b32 exec_lo, exec_lo, s22
	s_delay_alu instid0(VALU_DEP_1) | instskip(SKIP_1) | instid1(VALU_DEP_1)
	v_fma_mix_f32_bf16 v26, s2, v26, v35 op_sel:[0,0,1] op_sel_hi:[0,0,1]
	s_mov_b32 s22, exec_lo
                                        ; implicit-def: $vgpr39
	v_and_b32_e32 v34, 0x7f800000, v26
	s_delay_alu instid0(VALU_DEP_1)
	v_cmpx_ne_u32_e32 0x7f800000, v34
	s_xor_b32 s22, exec_lo, s22
; %bb.79:                               ;   in Loop: Header=BB147_4 Depth=1
	v_bfe_u32 v34, v26, 16, 1
	s_delay_alu instid0(VALU_DEP_1)
	v_add3_u32 v39, v26, v34, 0x7fff
                                        ; implicit-def: $vgpr26
; %bb.80:                               ;   in Loop: Header=BB147_4 Depth=1
	s_and_not1_saveexec_b32 s22, s22
; %bb.81:                               ;   in Loop: Header=BB147_4 Depth=1
	v_and_b32_e32 v34, 0xffff, v26
	v_or_b32_e32 v35, 0x10000, v26
	s_delay_alu instid0(VALU_DEP_2) | instskip(NEXT) | instid1(VALU_DEP_2)
	v_cmp_eq_u32_e32 vcc_lo, 0, v34
	v_cndmask_b32_e32 v39, v35, v26, vcc_lo
; %bb.82:                               ;   in Loop: Header=BB147_4 Depth=1
	s_or_b32 exec_lo, exec_lo, s22
	v_lshl_add_u64 v[30:31], v[0:1], 1, v[30:31]
	s_delay_alu instid0(VALU_DEP_1) | instskip(SKIP_4) | instid1(VALU_DEP_1)
	v_lshl_add_u64 v[34:35], v[6:7], 1, v[30:31]
	flat_store_d16_hi_b16 v[34:35], v39
	flat_load_u16 v26, v[32:33] offset:32
	s_wait_loadcnt_dscnt 0x0
	v_lshlrev_b32_e32 v26, 16, v26
	v_mul_f32_e32 v26, s30, v26
	s_wait_xcnt 0x1
	s_delay_alu instid0(VALU_DEP_1) | instskip(NEXT) | instid1(VALU_DEP_1)
	v_and_b32_e32 v39, 0x7f800000, v26
	v_cmp_ne_u32_e32 vcc_lo, 0x7f800000, v39
                                        ; implicit-def: $vgpr39
	s_wait_xcnt 0x0
	s_and_saveexec_b32 s22, vcc_lo
	s_delay_alu instid0(SALU_CYCLE_1)
	s_xor_b32 s22, exec_lo, s22
; %bb.83:                               ;   in Loop: Header=BB147_4 Depth=1
	v_bfe_u32 v39, v26, 16, 1
	s_delay_alu instid0(VALU_DEP_1)
	v_add3_u32 v39, v26, v39, 0x7fff
                                        ; implicit-def: $vgpr26
; %bb.84:                               ;   in Loop: Header=BB147_4 Depth=1
	s_and_not1_saveexec_b32 s22, s22
; %bb.85:                               ;   in Loop: Header=BB147_4 Depth=1
	v_and_b32_e32 v39, 0xffff, v26
	v_or_b32_e32 v40, 0x10000, v26
	s_delay_alu instid0(VALU_DEP_2) | instskip(NEXT) | instid1(VALU_DEP_2)
	v_cmp_eq_u32_e32 vcc_lo, 0, v39
	v_cndmask_b32_e32 v39, v40, v26, vcc_lo
; %bb.86:                               ;   in Loop: Header=BB147_4 Depth=1
	s_or_b32 exec_lo, exec_lo, s22
	s_delay_alu instid0(VALU_DEP_1) | instskip(NEXT) | instid1(VALU_DEP_1)
	v_fma_mix_f32_bf16 v26, s2, v27, v39 op_sel:[0,0,1] op_sel_hi:[0,0,1]
	v_and_b32_e32 v27, 0x7f800000, v26
	s_delay_alu instid0(VALU_DEP_1) | instskip(SKIP_1) | instid1(SALU_CYCLE_1)
	v_cmp_ne_u32_e32 vcc_lo, 0x7f800000, v27
                                        ; implicit-def: $vgpr27
	s_and_saveexec_b32 s22, vcc_lo
	s_xor_b32 s22, exec_lo, s22
; %bb.87:                               ;   in Loop: Header=BB147_4 Depth=1
	v_bfe_u32 v27, v26, 16, 1
	s_delay_alu instid0(VALU_DEP_1)
	v_add3_u32 v27, v26, v27, 0x7fff
                                        ; implicit-def: $vgpr26
; %bb.88:                               ;   in Loop: Header=BB147_4 Depth=1
	s_and_not1_saveexec_b32 s22, s22
; %bb.89:                               ;   in Loop: Header=BB147_4 Depth=1
	v_and_b32_e32 v27, 0xffff, v26
	v_or_b32_e32 v39, 0x10000, v26
	s_delay_alu instid0(VALU_DEP_2) | instskip(NEXT) | instid1(VALU_DEP_2)
	v_cmp_eq_u32_e32 vcc_lo, 0, v27
	v_cndmask_b32_e32 v27, v39, v26, vcc_lo
; %bb.90:                               ;   in Loop: Header=BB147_4 Depth=1
	s_or_b32 exec_lo, exec_lo, s22
	flat_store_d16_hi_b16 v[34:35], v27 offset:32
	flat_load_u16 v26, v[32:33] offset:64
	s_wait_loadcnt_dscnt 0x0
	v_lshlrev_b32_e32 v26, 16, v26
	s_delay_alu instid0(VALU_DEP_1) | instskip(SKIP_1) | instid1(VALU_DEP_1)
	v_mul_f32_e32 v26, s30, v26
	s_wait_xcnt 0x1
	v_and_b32_e32 v27, 0x7f800000, v26
	s_delay_alu instid0(VALU_DEP_1) | instskip(SKIP_2) | instid1(SALU_CYCLE_1)
	v_cmp_ne_u32_e32 vcc_lo, 0x7f800000, v27
                                        ; implicit-def: $vgpr27
	s_wait_xcnt 0x0
	s_and_saveexec_b32 s22, vcc_lo
	s_xor_b32 s22, exec_lo, s22
; %bb.91:                               ;   in Loop: Header=BB147_4 Depth=1
	v_bfe_u32 v27, v26, 16, 1
	s_delay_alu instid0(VALU_DEP_1)
	v_add3_u32 v27, v26, v27, 0x7fff
                                        ; implicit-def: $vgpr26
; %bb.92:                               ;   in Loop: Header=BB147_4 Depth=1
	s_and_not1_saveexec_b32 s22, s22
; %bb.93:                               ;   in Loop: Header=BB147_4 Depth=1
	v_and_b32_e32 v27, 0xffff, v26
	v_or_b32_e32 v39, 0x10000, v26
	s_delay_alu instid0(VALU_DEP_2) | instskip(NEXT) | instid1(VALU_DEP_2)
	v_cmp_eq_u32_e32 vcc_lo, 0, v27
	v_cndmask_b32_e32 v27, v39, v26, vcc_lo
; %bb.94:                               ;   in Loop: Header=BB147_4 Depth=1
	s_or_b32 exec_lo, exec_lo, s22
	s_delay_alu instid0(VALU_DEP_1) | instskip(NEXT) | instid1(VALU_DEP_1)
	v_fma_mix_f32_bf16 v24, s2, v24, v27 op_sel:[0,0,1] op_sel_hi:[0,0,1]
	v_and_b32_e32 v26, 0x7f800000, v24
	s_delay_alu instid0(VALU_DEP_1) | instskip(SKIP_1) | instid1(SALU_CYCLE_1)
	v_cmp_ne_u32_e32 vcc_lo, 0x7f800000, v26
                                        ; implicit-def: $vgpr26
	s_and_saveexec_b32 s22, vcc_lo
	s_xor_b32 s22, exec_lo, s22
; %bb.95:                               ;   in Loop: Header=BB147_4 Depth=1
	v_bfe_u32 v26, v24, 16, 1
	s_delay_alu instid0(VALU_DEP_1)
	v_add3_u32 v26, v24, v26, 0x7fff
                                        ; implicit-def: $vgpr24
; %bb.96:                               ;   in Loop: Header=BB147_4 Depth=1
	s_and_not1_saveexec_b32 s22, s22
; %bb.97:                               ;   in Loop: Header=BB147_4 Depth=1
	v_and_b32_e32 v26, 0xffff, v24
	v_or_b32_e32 v27, 0x10000, v24
	s_delay_alu instid0(VALU_DEP_2) | instskip(NEXT) | instid1(VALU_DEP_2)
	v_cmp_eq_u32_e32 vcc_lo, 0, v26
	v_cndmask_b32_e32 v26, v27, v24, vcc_lo
; %bb.98:                               ;   in Loop: Header=BB147_4 Depth=1
	s_or_b32 exec_lo, exec_lo, s22
	flat_store_d16_hi_b16 v[34:35], v26 offset:64
	flat_load_u16 v24, v[32:33] offset:96
	s_wait_loadcnt_dscnt 0x0
	v_lshlrev_b32_e32 v24, 16, v24
	s_delay_alu instid0(VALU_DEP_1) | instskip(SKIP_1) | instid1(VALU_DEP_1)
	v_mul_f32_e32 v24, s30, v24
	s_wait_xcnt 0x1
	v_and_b32_e32 v26, 0x7f800000, v24
	s_delay_alu instid0(VALU_DEP_1) | instskip(SKIP_2) | instid1(SALU_CYCLE_1)
	v_cmp_ne_u32_e32 vcc_lo, 0x7f800000, v26
                                        ; implicit-def: $vgpr26
	s_wait_xcnt 0x0
	s_and_saveexec_b32 s22, vcc_lo
	s_xor_b32 s22, exec_lo, s22
; %bb.99:                               ;   in Loop: Header=BB147_4 Depth=1
	v_bfe_u32 v26, v24, 16, 1
	s_delay_alu instid0(VALU_DEP_1)
	v_add3_u32 v26, v24, v26, 0x7fff
                                        ; implicit-def: $vgpr24
; %bb.100:                              ;   in Loop: Header=BB147_4 Depth=1
	s_and_not1_saveexec_b32 s22, s22
; %bb.101:                              ;   in Loop: Header=BB147_4 Depth=1
	v_and_b32_e32 v26, 0xffff, v24
	v_or_b32_e32 v27, 0x10000, v24
	s_delay_alu instid0(VALU_DEP_2) | instskip(NEXT) | instid1(VALU_DEP_2)
	v_cmp_eq_u32_e32 vcc_lo, 0, v26
	v_cndmask_b32_e32 v26, v27, v24, vcc_lo
; %bb.102:                              ;   in Loop: Header=BB147_4 Depth=1
	s_or_b32 exec_lo, exec_lo, s22
	s_delay_alu instid0(VALU_DEP_1) | instskip(SKIP_1) | instid1(VALU_DEP_1)
	v_fma_mix_f32_bf16 v24, s2, v25, v26 op_sel:[0,0,1] op_sel_hi:[0,0,1]
	s_mov_b32 s22, exec_lo
                                        ; implicit-def: $vgpr26
	v_and_b32_e32 v25, 0x7f800000, v24
	s_delay_alu instid0(VALU_DEP_1)
	v_cmpx_ne_u32_e32 0x7f800000, v25
	s_xor_b32 s22, exec_lo, s22
; %bb.103:                              ;   in Loop: Header=BB147_4 Depth=1
	v_bfe_u32 v25, v24, 16, 1
	s_delay_alu instid0(VALU_DEP_1)
	v_add3_u32 v26, v24, v25, 0x7fff
                                        ; implicit-def: $vgpr24
; %bb.104:                              ;   in Loop: Header=BB147_4 Depth=1
	s_and_not1_saveexec_b32 s22, s22
; %bb.105:                              ;   in Loop: Header=BB147_4 Depth=1
	v_and_b32_e32 v25, 0xffff, v24
	v_or_b32_e32 v26, 0x10000, v24
	s_delay_alu instid0(VALU_DEP_2) | instskip(NEXT) | instid1(VALU_DEP_2)
	v_cmp_eq_u32_e32 vcc_lo, 0, v25
	v_cndmask_b32_e32 v26, v26, v24, vcc_lo
; %bb.106:                              ;   in Loop: Header=BB147_4 Depth=1
	s_or_b32 exec_lo, exec_lo, s22
	v_lshl_add_u64 v[24:25], s[14:15], 1, v[28:29]
	flat_store_d16_hi_b16 v[34:35], v26 offset:96
	v_lshl_add_u64 v[28:29], v[6:7], 1, v[24:25]
	flat_load_u16 v26, v[28:29]
	s_wait_loadcnt_dscnt 0x0
	v_lshlrev_b32_e32 v26, 16, v26
	s_delay_alu instid0(VALU_DEP_1) | instskip(NEXT) | instid1(VALU_DEP_1)
	v_mul_f32_e32 v26, s30, v26
	v_and_b32_e32 v27, 0x7f800000, v26
	s_delay_alu instid0(VALU_DEP_1) | instskip(SKIP_2) | instid1(SALU_CYCLE_1)
	v_cmp_ne_u32_e32 vcc_lo, 0x7f800000, v27
                                        ; implicit-def: $vgpr27
	s_wait_xcnt 0x0
	s_and_saveexec_b32 s22, vcc_lo
	s_xor_b32 s22, exec_lo, s22
; %bb.107:                              ;   in Loop: Header=BB147_4 Depth=1
	v_bfe_u32 v27, v26, 16, 1
	s_delay_alu instid0(VALU_DEP_1)
	v_add3_u32 v27, v26, v27, 0x7fff
                                        ; implicit-def: $vgpr26
; %bb.108:                              ;   in Loop: Header=BB147_4 Depth=1
	s_and_not1_saveexec_b32 s22, s22
; %bb.109:                              ;   in Loop: Header=BB147_4 Depth=1
	v_and_b32_e32 v27, 0xffff, v26
	v_or_b32_e32 v32, 0x10000, v26
	s_delay_alu instid0(VALU_DEP_2) | instskip(NEXT) | instid1(VALU_DEP_2)
	v_cmp_eq_u32_e32 vcc_lo, 0, v27
	v_cndmask_b32_e32 v27, v32, v26, vcc_lo
; %bb.110:                              ;   in Loop: Header=BB147_4 Depth=1
	s_or_b32 exec_lo, exec_lo, s22
	s_delay_alu instid0(VALU_DEP_1) | instskip(SKIP_1) | instid1(VALU_DEP_1)
	v_fma_mix_f32_bf16 v22, s2, v22, v27 op_sel:[0,0,1] op_sel_hi:[0,0,1]
	s_mov_b32 s22, exec_lo
                                        ; implicit-def: $vgpr32
	v_and_b32_e32 v26, 0x7f800000, v22
	s_delay_alu instid0(VALU_DEP_1)
	v_cmpx_ne_u32_e32 0x7f800000, v26
	s_xor_b32 s22, exec_lo, s22
; %bb.111:                              ;   in Loop: Header=BB147_4 Depth=1
	v_bfe_u32 v26, v22, 16, 1
	s_delay_alu instid0(VALU_DEP_1)
	v_add3_u32 v32, v22, v26, 0x7fff
                                        ; implicit-def: $vgpr22
; %bb.112:                              ;   in Loop: Header=BB147_4 Depth=1
	s_and_not1_saveexec_b32 s22, s22
; %bb.113:                              ;   in Loop: Header=BB147_4 Depth=1
	v_and_b32_e32 v26, 0xffff, v22
	v_or_b32_e32 v27, 0x10000, v22
	s_delay_alu instid0(VALU_DEP_2) | instskip(NEXT) | instid1(VALU_DEP_2)
	v_cmp_eq_u32_e32 vcc_lo, 0, v26
	v_cndmask_b32_e32 v32, v27, v22, vcc_lo
; %bb.114:                              ;   in Loop: Header=BB147_4 Depth=1
	s_or_b32 exec_lo, exec_lo, s22
	v_lshl_add_u64 v[26:27], s[24:25], 1, v[30:31]
	s_delay_alu instid0(VALU_DEP_1) | instskip(SKIP_4) | instid1(VALU_DEP_1)
	v_lshl_add_u64 v[30:31], v[6:7], 1, v[26:27]
	flat_store_d16_hi_b16 v[30:31], v32
	flat_load_u16 v22, v[28:29] offset:32
	s_wait_loadcnt_dscnt 0x0
	v_lshlrev_b32_e32 v22, 16, v22
	v_mul_f32_e32 v22, s30, v22
	s_wait_xcnt 0x1
	s_delay_alu instid0(VALU_DEP_1) | instskip(NEXT) | instid1(VALU_DEP_1)
	v_and_b32_e32 v32, 0x7f800000, v22
	v_cmp_ne_u32_e32 vcc_lo, 0x7f800000, v32
                                        ; implicit-def: $vgpr32
	s_wait_xcnt 0x0
	s_and_saveexec_b32 s22, vcc_lo
	s_delay_alu instid0(SALU_CYCLE_1)
	s_xor_b32 s22, exec_lo, s22
; %bb.115:                              ;   in Loop: Header=BB147_4 Depth=1
	v_bfe_u32 v32, v22, 16, 1
	s_delay_alu instid0(VALU_DEP_1)
	v_add3_u32 v32, v22, v32, 0x7fff
                                        ; implicit-def: $vgpr22
; %bb.116:                              ;   in Loop: Header=BB147_4 Depth=1
	s_and_not1_saveexec_b32 s22, s22
; %bb.117:                              ;   in Loop: Header=BB147_4 Depth=1
	v_and_b32_e32 v32, 0xffff, v22
	v_or_b32_e32 v33, 0x10000, v22
	s_delay_alu instid0(VALU_DEP_2) | instskip(NEXT) | instid1(VALU_DEP_2)
	v_cmp_eq_u32_e32 vcc_lo, 0, v32
	v_cndmask_b32_e32 v32, v33, v22, vcc_lo
; %bb.118:                              ;   in Loop: Header=BB147_4 Depth=1
	s_or_b32 exec_lo, exec_lo, s22
	s_delay_alu instid0(VALU_DEP_1) | instskip(NEXT) | instid1(VALU_DEP_1)
	v_fma_mix_f32_bf16 v22, s2, v23, v32 op_sel:[0,0,1] op_sel_hi:[0,0,1]
	v_and_b32_e32 v23, 0x7f800000, v22
	s_delay_alu instid0(VALU_DEP_1) | instskip(SKIP_1) | instid1(SALU_CYCLE_1)
	v_cmp_ne_u32_e32 vcc_lo, 0x7f800000, v23
                                        ; implicit-def: $vgpr23
	s_and_saveexec_b32 s22, vcc_lo
	s_xor_b32 s22, exec_lo, s22
; %bb.119:                              ;   in Loop: Header=BB147_4 Depth=1
	v_bfe_u32 v23, v22, 16, 1
	s_delay_alu instid0(VALU_DEP_1)
	v_add3_u32 v23, v22, v23, 0x7fff
                                        ; implicit-def: $vgpr22
; %bb.120:                              ;   in Loop: Header=BB147_4 Depth=1
	s_and_not1_saveexec_b32 s22, s22
; %bb.121:                              ;   in Loop: Header=BB147_4 Depth=1
	v_and_b32_e32 v23, 0xffff, v22
	v_or_b32_e32 v32, 0x10000, v22
	s_delay_alu instid0(VALU_DEP_2) | instskip(NEXT) | instid1(VALU_DEP_2)
	v_cmp_eq_u32_e32 vcc_lo, 0, v23
	v_cndmask_b32_e32 v23, v32, v22, vcc_lo
; %bb.122:                              ;   in Loop: Header=BB147_4 Depth=1
	s_or_b32 exec_lo, exec_lo, s22
	flat_store_d16_hi_b16 v[30:31], v23 offset:32
	flat_load_u16 v22, v[28:29] offset:64
	s_wait_loadcnt_dscnt 0x0
	v_lshlrev_b32_e32 v22, 16, v22
	s_delay_alu instid0(VALU_DEP_1) | instskip(SKIP_1) | instid1(VALU_DEP_1)
	v_mul_f32_e32 v22, s30, v22
	s_wait_xcnt 0x1
	v_and_b32_e32 v23, 0x7f800000, v22
	s_delay_alu instid0(VALU_DEP_1) | instskip(SKIP_2) | instid1(SALU_CYCLE_1)
	v_cmp_ne_u32_e32 vcc_lo, 0x7f800000, v23
                                        ; implicit-def: $vgpr23
	s_wait_xcnt 0x0
	s_and_saveexec_b32 s22, vcc_lo
	s_xor_b32 s22, exec_lo, s22
; %bb.123:                              ;   in Loop: Header=BB147_4 Depth=1
	v_bfe_u32 v23, v22, 16, 1
	s_delay_alu instid0(VALU_DEP_1)
	v_add3_u32 v23, v22, v23, 0x7fff
                                        ; implicit-def: $vgpr22
; %bb.124:                              ;   in Loop: Header=BB147_4 Depth=1
	s_and_not1_saveexec_b32 s22, s22
; %bb.125:                              ;   in Loop: Header=BB147_4 Depth=1
	v_and_b32_e32 v23, 0xffff, v22
	v_or_b32_e32 v32, 0x10000, v22
	s_delay_alu instid0(VALU_DEP_2) | instskip(NEXT) | instid1(VALU_DEP_2)
	v_cmp_eq_u32_e32 vcc_lo, 0, v23
	v_cndmask_b32_e32 v23, v32, v22, vcc_lo
; %bb.126:                              ;   in Loop: Header=BB147_4 Depth=1
	s_or_b32 exec_lo, exec_lo, s22
	s_delay_alu instid0(VALU_DEP_1) | instskip(NEXT) | instid1(VALU_DEP_1)
	v_fma_mix_f32_bf16 v20, s2, v20, v23 op_sel:[0,0,1] op_sel_hi:[0,0,1]
	v_and_b32_e32 v22, 0x7f800000, v20
	s_delay_alu instid0(VALU_DEP_1) | instskip(SKIP_1) | instid1(SALU_CYCLE_1)
	v_cmp_ne_u32_e32 vcc_lo, 0x7f800000, v22
                                        ; implicit-def: $vgpr22
	s_and_saveexec_b32 s22, vcc_lo
	s_xor_b32 s22, exec_lo, s22
; %bb.127:                              ;   in Loop: Header=BB147_4 Depth=1
	v_bfe_u32 v22, v20, 16, 1
	s_delay_alu instid0(VALU_DEP_1)
	v_add3_u32 v22, v20, v22, 0x7fff
                                        ; implicit-def: $vgpr20
; %bb.128:                              ;   in Loop: Header=BB147_4 Depth=1
	s_and_not1_saveexec_b32 s22, s22
; %bb.129:                              ;   in Loop: Header=BB147_4 Depth=1
	v_and_b32_e32 v22, 0xffff, v20
	v_or_b32_e32 v23, 0x10000, v20
	s_delay_alu instid0(VALU_DEP_2) | instskip(NEXT) | instid1(VALU_DEP_2)
	v_cmp_eq_u32_e32 vcc_lo, 0, v22
	v_cndmask_b32_e32 v22, v23, v20, vcc_lo
; %bb.130:                              ;   in Loop: Header=BB147_4 Depth=1
	s_or_b32 exec_lo, exec_lo, s22
	flat_store_d16_hi_b16 v[30:31], v22 offset:64
	flat_load_u16 v20, v[28:29] offset:96
	s_wait_loadcnt_dscnt 0x0
	v_lshlrev_b32_e32 v20, 16, v20
	s_delay_alu instid0(VALU_DEP_1) | instskip(SKIP_1) | instid1(VALU_DEP_1)
	v_mul_f32_e32 v20, s30, v20
	s_wait_xcnt 0x1
	v_and_b32_e32 v22, 0x7f800000, v20
	s_delay_alu instid0(VALU_DEP_1) | instskip(SKIP_2) | instid1(SALU_CYCLE_1)
	v_cmp_ne_u32_e32 vcc_lo, 0x7f800000, v22
                                        ; implicit-def: $vgpr22
	s_wait_xcnt 0x0
	s_and_saveexec_b32 s22, vcc_lo
	s_xor_b32 s22, exec_lo, s22
; %bb.131:                              ;   in Loop: Header=BB147_4 Depth=1
	v_bfe_u32 v22, v20, 16, 1
	s_delay_alu instid0(VALU_DEP_1)
	v_add3_u32 v22, v20, v22, 0x7fff
                                        ; implicit-def: $vgpr20
; %bb.132:                              ;   in Loop: Header=BB147_4 Depth=1
	s_and_not1_saveexec_b32 s22, s22
; %bb.133:                              ;   in Loop: Header=BB147_4 Depth=1
	v_and_b32_e32 v22, 0xffff, v20
	v_or_b32_e32 v23, 0x10000, v20
	s_delay_alu instid0(VALU_DEP_2) | instskip(NEXT) | instid1(VALU_DEP_2)
	v_cmp_eq_u32_e32 vcc_lo, 0, v22
	v_cndmask_b32_e32 v22, v23, v20, vcc_lo
; %bb.134:                              ;   in Loop: Header=BB147_4 Depth=1
	s_or_b32 exec_lo, exec_lo, s22
	s_delay_alu instid0(VALU_DEP_1) | instskip(SKIP_1) | instid1(VALU_DEP_1)
	v_fma_mix_f32_bf16 v20, s2, v21, v22 op_sel:[0,0,1] op_sel_hi:[0,0,1]
	s_mov_b32 s22, exec_lo
                                        ; implicit-def: $vgpr22
	v_and_b32_e32 v21, 0x7f800000, v20
	s_delay_alu instid0(VALU_DEP_1)
	v_cmpx_ne_u32_e32 0x7f800000, v21
	s_xor_b32 s22, exec_lo, s22
; %bb.135:                              ;   in Loop: Header=BB147_4 Depth=1
	v_bfe_u32 v21, v20, 16, 1
	s_delay_alu instid0(VALU_DEP_1)
	v_add3_u32 v22, v20, v21, 0x7fff
                                        ; implicit-def: $vgpr20
; %bb.136:                              ;   in Loop: Header=BB147_4 Depth=1
	s_and_not1_saveexec_b32 s22, s22
; %bb.137:                              ;   in Loop: Header=BB147_4 Depth=1
	v_and_b32_e32 v21, 0xffff, v20
	v_or_b32_e32 v22, 0x10000, v20
	s_delay_alu instid0(VALU_DEP_2) | instskip(NEXT) | instid1(VALU_DEP_2)
	v_cmp_eq_u32_e32 vcc_lo, 0, v21
	v_cndmask_b32_e32 v22, v22, v20, vcc_lo
; %bb.138:                              ;   in Loop: Header=BB147_4 Depth=1
	s_or_b32 exec_lo, exec_lo, s22
	v_lshl_add_u64 v[20:21], s[14:15], 1, v[24:25]
	flat_store_d16_hi_b16 v[30:31], v22 offset:96
	v_lshl_add_u64 v[24:25], v[6:7], 1, v[20:21]
	flat_load_u16 v22, v[24:25]
	s_wait_loadcnt_dscnt 0x0
	v_lshlrev_b32_e32 v22, 16, v22
	s_delay_alu instid0(VALU_DEP_1) | instskip(NEXT) | instid1(VALU_DEP_1)
	v_mul_f32_e32 v22, s30, v22
	v_and_b32_e32 v23, 0x7f800000, v22
	s_delay_alu instid0(VALU_DEP_1) | instskip(SKIP_2) | instid1(SALU_CYCLE_1)
	v_cmp_ne_u32_e32 vcc_lo, 0x7f800000, v23
                                        ; implicit-def: $vgpr23
	s_wait_xcnt 0x0
	s_and_saveexec_b32 s22, vcc_lo
	s_xor_b32 s22, exec_lo, s22
; %bb.139:                              ;   in Loop: Header=BB147_4 Depth=1
	v_bfe_u32 v23, v22, 16, 1
	s_delay_alu instid0(VALU_DEP_1)
	v_add3_u32 v23, v22, v23, 0x7fff
                                        ; implicit-def: $vgpr22
; %bb.140:                              ;   in Loop: Header=BB147_4 Depth=1
	s_and_not1_saveexec_b32 s22, s22
; %bb.141:                              ;   in Loop: Header=BB147_4 Depth=1
	v_and_b32_e32 v23, 0xffff, v22
	v_or_b32_e32 v28, 0x10000, v22
	s_delay_alu instid0(VALU_DEP_2) | instskip(NEXT) | instid1(VALU_DEP_2)
	v_cmp_eq_u32_e32 vcc_lo, 0, v23
	v_cndmask_b32_e32 v23, v28, v22, vcc_lo
; %bb.142:                              ;   in Loop: Header=BB147_4 Depth=1
	s_or_b32 exec_lo, exec_lo, s22
	s_delay_alu instid0(VALU_DEP_1) | instskip(SKIP_1) | instid1(VALU_DEP_1)
	v_fma_mix_f32_bf16 v18, s2, v18, v23 op_sel:[0,0,1] op_sel_hi:[0,0,1]
	s_mov_b32 s22, exec_lo
                                        ; implicit-def: $vgpr28
	v_and_b32_e32 v22, 0x7f800000, v18
	s_delay_alu instid0(VALU_DEP_1)
	v_cmpx_ne_u32_e32 0x7f800000, v22
	s_xor_b32 s22, exec_lo, s22
; %bb.143:                              ;   in Loop: Header=BB147_4 Depth=1
	v_bfe_u32 v22, v18, 16, 1
	s_delay_alu instid0(VALU_DEP_1)
	v_add3_u32 v28, v18, v22, 0x7fff
                                        ; implicit-def: $vgpr18
; %bb.144:                              ;   in Loop: Header=BB147_4 Depth=1
	s_and_not1_saveexec_b32 s22, s22
; %bb.145:                              ;   in Loop: Header=BB147_4 Depth=1
	v_and_b32_e32 v22, 0xffff, v18
	v_or_b32_e32 v23, 0x10000, v18
	s_delay_alu instid0(VALU_DEP_2) | instskip(NEXT) | instid1(VALU_DEP_2)
	v_cmp_eq_u32_e32 vcc_lo, 0, v22
	v_cndmask_b32_e32 v28, v23, v18, vcc_lo
; %bb.146:                              ;   in Loop: Header=BB147_4 Depth=1
	s_or_b32 exec_lo, exec_lo, s22
	v_lshl_add_u64 v[22:23], s[24:25], 1, v[26:27]
	s_delay_alu instid0(VALU_DEP_1) | instskip(SKIP_4) | instid1(VALU_DEP_1)
	v_lshl_add_u64 v[26:27], v[6:7], 1, v[22:23]
	flat_store_d16_hi_b16 v[26:27], v28
	flat_load_u16 v18, v[24:25] offset:32
	s_wait_loadcnt_dscnt 0x0
	v_lshlrev_b32_e32 v18, 16, v18
	v_mul_f32_e32 v18, s30, v18
	s_wait_xcnt 0x1
	s_delay_alu instid0(VALU_DEP_1) | instskip(NEXT) | instid1(VALU_DEP_1)
	v_and_b32_e32 v28, 0x7f800000, v18
	v_cmp_ne_u32_e32 vcc_lo, 0x7f800000, v28
                                        ; implicit-def: $vgpr28
	s_wait_xcnt 0x0
	s_and_saveexec_b32 s22, vcc_lo
	s_delay_alu instid0(SALU_CYCLE_1)
	s_xor_b32 s22, exec_lo, s22
; %bb.147:                              ;   in Loop: Header=BB147_4 Depth=1
	v_bfe_u32 v28, v18, 16, 1
	s_delay_alu instid0(VALU_DEP_1)
	v_add3_u32 v28, v18, v28, 0x7fff
                                        ; implicit-def: $vgpr18
; %bb.148:                              ;   in Loop: Header=BB147_4 Depth=1
	s_and_not1_saveexec_b32 s22, s22
; %bb.149:                              ;   in Loop: Header=BB147_4 Depth=1
	v_and_b32_e32 v28, 0xffff, v18
	v_or_b32_e32 v29, 0x10000, v18
	s_delay_alu instid0(VALU_DEP_2) | instskip(NEXT) | instid1(VALU_DEP_2)
	v_cmp_eq_u32_e32 vcc_lo, 0, v28
	v_cndmask_b32_e32 v28, v29, v18, vcc_lo
; %bb.150:                              ;   in Loop: Header=BB147_4 Depth=1
	s_or_b32 exec_lo, exec_lo, s22
	s_delay_alu instid0(VALU_DEP_1) | instskip(NEXT) | instid1(VALU_DEP_1)
	v_fma_mix_f32_bf16 v18, s2, v19, v28 op_sel:[0,0,1] op_sel_hi:[0,0,1]
	v_and_b32_e32 v19, 0x7f800000, v18
	s_delay_alu instid0(VALU_DEP_1) | instskip(SKIP_1) | instid1(SALU_CYCLE_1)
	v_cmp_ne_u32_e32 vcc_lo, 0x7f800000, v19
                                        ; implicit-def: $vgpr19
	s_and_saveexec_b32 s22, vcc_lo
	s_xor_b32 s22, exec_lo, s22
; %bb.151:                              ;   in Loop: Header=BB147_4 Depth=1
	v_bfe_u32 v19, v18, 16, 1
	s_delay_alu instid0(VALU_DEP_1)
	v_add3_u32 v19, v18, v19, 0x7fff
                                        ; implicit-def: $vgpr18
; %bb.152:                              ;   in Loop: Header=BB147_4 Depth=1
	s_and_not1_saveexec_b32 s22, s22
; %bb.153:                              ;   in Loop: Header=BB147_4 Depth=1
	v_and_b32_e32 v19, 0xffff, v18
	v_or_b32_e32 v28, 0x10000, v18
	s_delay_alu instid0(VALU_DEP_2) | instskip(NEXT) | instid1(VALU_DEP_2)
	v_cmp_eq_u32_e32 vcc_lo, 0, v19
	v_cndmask_b32_e32 v19, v28, v18, vcc_lo
; %bb.154:                              ;   in Loop: Header=BB147_4 Depth=1
	s_or_b32 exec_lo, exec_lo, s22
	flat_store_d16_hi_b16 v[26:27], v19 offset:32
	flat_load_u16 v18, v[24:25] offset:64
	s_wait_loadcnt_dscnt 0x0
	v_lshlrev_b32_e32 v18, 16, v18
	s_delay_alu instid0(VALU_DEP_1) | instskip(SKIP_1) | instid1(VALU_DEP_1)
	v_mul_f32_e32 v18, s30, v18
	s_wait_xcnt 0x1
	v_and_b32_e32 v19, 0x7f800000, v18
	s_delay_alu instid0(VALU_DEP_1) | instskip(SKIP_2) | instid1(SALU_CYCLE_1)
	v_cmp_ne_u32_e32 vcc_lo, 0x7f800000, v19
                                        ; implicit-def: $vgpr19
	s_wait_xcnt 0x0
	s_and_saveexec_b32 s22, vcc_lo
	s_xor_b32 s22, exec_lo, s22
; %bb.155:                              ;   in Loop: Header=BB147_4 Depth=1
	v_bfe_u32 v19, v18, 16, 1
	s_delay_alu instid0(VALU_DEP_1)
	v_add3_u32 v19, v18, v19, 0x7fff
                                        ; implicit-def: $vgpr18
; %bb.156:                              ;   in Loop: Header=BB147_4 Depth=1
	s_and_not1_saveexec_b32 s22, s22
; %bb.157:                              ;   in Loop: Header=BB147_4 Depth=1
	v_and_b32_e32 v19, 0xffff, v18
	v_or_b32_e32 v28, 0x10000, v18
	s_delay_alu instid0(VALU_DEP_2) | instskip(NEXT) | instid1(VALU_DEP_2)
	v_cmp_eq_u32_e32 vcc_lo, 0, v19
	v_cndmask_b32_e32 v19, v28, v18, vcc_lo
; %bb.158:                              ;   in Loop: Header=BB147_4 Depth=1
	s_or_b32 exec_lo, exec_lo, s22
	s_delay_alu instid0(VALU_DEP_1) | instskip(NEXT) | instid1(VALU_DEP_1)
	v_fma_mix_f32_bf16 v16, s2, v16, v19 op_sel:[0,0,1] op_sel_hi:[0,0,1]
	v_and_b32_e32 v18, 0x7f800000, v16
	s_delay_alu instid0(VALU_DEP_1) | instskip(SKIP_1) | instid1(SALU_CYCLE_1)
	v_cmp_ne_u32_e32 vcc_lo, 0x7f800000, v18
                                        ; implicit-def: $vgpr18
	s_and_saveexec_b32 s22, vcc_lo
	s_xor_b32 s22, exec_lo, s22
; %bb.159:                              ;   in Loop: Header=BB147_4 Depth=1
	v_bfe_u32 v18, v16, 16, 1
	s_delay_alu instid0(VALU_DEP_1)
	v_add3_u32 v18, v16, v18, 0x7fff
                                        ; implicit-def: $vgpr16
; %bb.160:                              ;   in Loop: Header=BB147_4 Depth=1
	s_and_not1_saveexec_b32 s22, s22
; %bb.161:                              ;   in Loop: Header=BB147_4 Depth=1
	v_and_b32_e32 v18, 0xffff, v16
	v_or_b32_e32 v19, 0x10000, v16
	s_delay_alu instid0(VALU_DEP_2) | instskip(NEXT) | instid1(VALU_DEP_2)
	v_cmp_eq_u32_e32 vcc_lo, 0, v18
	v_cndmask_b32_e32 v18, v19, v16, vcc_lo
; %bb.162:                              ;   in Loop: Header=BB147_4 Depth=1
	s_or_b32 exec_lo, exec_lo, s22
	flat_store_d16_hi_b16 v[26:27], v18 offset:64
	flat_load_u16 v16, v[24:25] offset:96
	s_wait_loadcnt_dscnt 0x0
	v_lshlrev_b32_e32 v16, 16, v16
	s_delay_alu instid0(VALU_DEP_1) | instskip(SKIP_1) | instid1(VALU_DEP_1)
	v_mul_f32_e32 v16, s30, v16
	s_wait_xcnt 0x1
	v_and_b32_e32 v18, 0x7f800000, v16
	s_delay_alu instid0(VALU_DEP_1) | instskip(SKIP_2) | instid1(SALU_CYCLE_1)
	v_cmp_ne_u32_e32 vcc_lo, 0x7f800000, v18
                                        ; implicit-def: $vgpr18
	s_wait_xcnt 0x0
	s_and_saveexec_b32 s22, vcc_lo
	s_xor_b32 s22, exec_lo, s22
; %bb.163:                              ;   in Loop: Header=BB147_4 Depth=1
	v_bfe_u32 v18, v16, 16, 1
	s_delay_alu instid0(VALU_DEP_1)
	v_add3_u32 v18, v16, v18, 0x7fff
                                        ; implicit-def: $vgpr16
; %bb.164:                              ;   in Loop: Header=BB147_4 Depth=1
	s_and_not1_saveexec_b32 s22, s22
; %bb.165:                              ;   in Loop: Header=BB147_4 Depth=1
	v_and_b32_e32 v18, 0xffff, v16
	v_or_b32_e32 v19, 0x10000, v16
	s_delay_alu instid0(VALU_DEP_2) | instskip(NEXT) | instid1(VALU_DEP_2)
	v_cmp_eq_u32_e32 vcc_lo, 0, v18
	v_cndmask_b32_e32 v18, v19, v16, vcc_lo
; %bb.166:                              ;   in Loop: Header=BB147_4 Depth=1
	s_or_b32 exec_lo, exec_lo, s22
	s_delay_alu instid0(VALU_DEP_1) | instskip(SKIP_1) | instid1(VALU_DEP_1)
	v_fma_mix_f32_bf16 v16, s2, v17, v18 op_sel:[0,0,1] op_sel_hi:[0,0,1]
	s_mov_b32 s22, exec_lo
                                        ; implicit-def: $vgpr18
	v_and_b32_e32 v17, 0x7f800000, v16
	s_delay_alu instid0(VALU_DEP_1)
	v_cmpx_ne_u32_e32 0x7f800000, v17
	s_xor_b32 s22, exec_lo, s22
; %bb.167:                              ;   in Loop: Header=BB147_4 Depth=1
	v_bfe_u32 v17, v16, 16, 1
	s_delay_alu instid0(VALU_DEP_1)
	v_add3_u32 v18, v16, v17, 0x7fff
                                        ; implicit-def: $vgpr16
; %bb.168:                              ;   in Loop: Header=BB147_4 Depth=1
	s_and_not1_saveexec_b32 s22, s22
; %bb.169:                              ;   in Loop: Header=BB147_4 Depth=1
	v_and_b32_e32 v17, 0xffff, v16
	v_or_b32_e32 v18, 0x10000, v16
	s_delay_alu instid0(VALU_DEP_2) | instskip(NEXT) | instid1(VALU_DEP_2)
	v_cmp_eq_u32_e32 vcc_lo, 0, v17
	v_cndmask_b32_e32 v18, v18, v16, vcc_lo
; %bb.170:                              ;   in Loop: Header=BB147_4 Depth=1
	s_or_b32 exec_lo, exec_lo, s22
	v_lshl_add_u64 v[16:17], s[14:15], 1, v[20:21]
	flat_store_d16_hi_b16 v[26:27], v18 offset:96
	v_lshl_add_u64 v[16:17], v[6:7], 1, v[16:17]
	flat_load_u16 v18, v[16:17]
	s_wait_loadcnt_dscnt 0x0
	v_lshlrev_b32_e32 v18, 16, v18
	s_delay_alu instid0(VALU_DEP_1) | instskip(NEXT) | instid1(VALU_DEP_1)
	v_mul_f32_e32 v18, s30, v18
	v_and_b32_e32 v19, 0x7f800000, v18
	s_delay_alu instid0(VALU_DEP_1) | instskip(SKIP_2) | instid1(SALU_CYCLE_1)
	v_cmp_ne_u32_e32 vcc_lo, 0x7f800000, v19
                                        ; implicit-def: $vgpr19
	s_wait_xcnt 0x0
	s_and_saveexec_b32 s22, vcc_lo
	s_xor_b32 s22, exec_lo, s22
; %bb.171:                              ;   in Loop: Header=BB147_4 Depth=1
	v_bfe_u32 v19, v18, 16, 1
	s_delay_alu instid0(VALU_DEP_1)
	v_add3_u32 v19, v18, v19, 0x7fff
                                        ; implicit-def: $vgpr18
; %bb.172:                              ;   in Loop: Header=BB147_4 Depth=1
	s_and_not1_saveexec_b32 s22, s22
; %bb.173:                              ;   in Loop: Header=BB147_4 Depth=1
	v_and_b32_e32 v19, 0xffff, v18
	v_or_b32_e32 v20, 0x10000, v18
	s_delay_alu instid0(VALU_DEP_2) | instskip(NEXT) | instid1(VALU_DEP_2)
	v_cmp_eq_u32_e32 vcc_lo, 0, v19
	v_cndmask_b32_e32 v19, v20, v18, vcc_lo
; %bb.174:                              ;   in Loop: Header=BB147_4 Depth=1
	s_or_b32 exec_lo, exec_lo, s22
	s_delay_alu instid0(VALU_DEP_1) | instskip(SKIP_1) | instid1(VALU_DEP_1)
	v_fma_mix_f32_bf16 v14, s2, v14, v19 op_sel:[0,0,1] op_sel_hi:[0,0,1]
	s_mov_b32 s22, exec_lo
                                        ; implicit-def: $vgpr20
	v_and_b32_e32 v18, 0x7f800000, v14
	s_delay_alu instid0(VALU_DEP_1)
	v_cmpx_ne_u32_e32 0x7f800000, v18
	s_xor_b32 s22, exec_lo, s22
; %bb.175:                              ;   in Loop: Header=BB147_4 Depth=1
	v_bfe_u32 v18, v14, 16, 1
	s_delay_alu instid0(VALU_DEP_1)
	v_add3_u32 v20, v14, v18, 0x7fff
                                        ; implicit-def: $vgpr14
; %bb.176:                              ;   in Loop: Header=BB147_4 Depth=1
	s_and_not1_saveexec_b32 s22, s22
; %bb.177:                              ;   in Loop: Header=BB147_4 Depth=1
	v_and_b32_e32 v18, 0xffff, v14
	v_or_b32_e32 v19, 0x10000, v14
	s_delay_alu instid0(VALU_DEP_2) | instskip(NEXT) | instid1(VALU_DEP_2)
	v_cmp_eq_u32_e32 vcc_lo, 0, v18
	v_cndmask_b32_e32 v20, v19, v14, vcc_lo
; %bb.178:                              ;   in Loop: Header=BB147_4 Depth=1
	s_or_b32 exec_lo, exec_lo, s22
	v_lshl_add_u64 v[18:19], s[24:25], 1, v[22:23]
	s_delay_alu instid0(VALU_DEP_1) | instskip(SKIP_4) | instid1(VALU_DEP_1)
	v_lshl_add_u64 v[18:19], v[6:7], 1, v[18:19]
	flat_store_d16_hi_b16 v[18:19], v20
	flat_load_u16 v14, v[16:17] offset:32
	s_wait_loadcnt_dscnt 0x0
	v_lshlrev_b32_e32 v14, 16, v14
	v_mul_f32_e32 v14, s30, v14
	s_wait_xcnt 0x1
	s_delay_alu instid0(VALU_DEP_1) | instskip(NEXT) | instid1(VALU_DEP_1)
	v_and_b32_e32 v20, 0x7f800000, v14
	v_cmp_ne_u32_e32 vcc_lo, 0x7f800000, v20
                                        ; implicit-def: $vgpr20
	s_wait_xcnt 0x0
	s_and_saveexec_b32 s22, vcc_lo
	s_delay_alu instid0(SALU_CYCLE_1)
	s_xor_b32 s22, exec_lo, s22
; %bb.179:                              ;   in Loop: Header=BB147_4 Depth=1
	v_bfe_u32 v20, v14, 16, 1
	s_delay_alu instid0(VALU_DEP_1)
	v_add3_u32 v20, v14, v20, 0x7fff
                                        ; implicit-def: $vgpr14
; %bb.180:                              ;   in Loop: Header=BB147_4 Depth=1
	s_and_not1_saveexec_b32 s22, s22
; %bb.181:                              ;   in Loop: Header=BB147_4 Depth=1
	v_and_b32_e32 v20, 0xffff, v14
	v_or_b32_e32 v21, 0x10000, v14
	s_delay_alu instid0(VALU_DEP_2) | instskip(NEXT) | instid1(VALU_DEP_2)
	v_cmp_eq_u32_e32 vcc_lo, 0, v20
	v_cndmask_b32_e32 v20, v21, v14, vcc_lo
; %bb.182:                              ;   in Loop: Header=BB147_4 Depth=1
	s_or_b32 exec_lo, exec_lo, s22
	s_delay_alu instid0(VALU_DEP_1) | instskip(NEXT) | instid1(VALU_DEP_1)
	v_fma_mix_f32_bf16 v14, s2, v15, v20 op_sel:[0,0,1] op_sel_hi:[0,0,1]
	v_and_b32_e32 v15, 0x7f800000, v14
	s_delay_alu instid0(VALU_DEP_1) | instskip(SKIP_1) | instid1(SALU_CYCLE_1)
	v_cmp_ne_u32_e32 vcc_lo, 0x7f800000, v15
                                        ; implicit-def: $vgpr15
	s_and_saveexec_b32 s22, vcc_lo
	s_xor_b32 s22, exec_lo, s22
; %bb.183:                              ;   in Loop: Header=BB147_4 Depth=1
	v_bfe_u32 v15, v14, 16, 1
	s_delay_alu instid0(VALU_DEP_1)
	v_add3_u32 v15, v14, v15, 0x7fff
                                        ; implicit-def: $vgpr14
; %bb.184:                              ;   in Loop: Header=BB147_4 Depth=1
	s_and_not1_saveexec_b32 s22, s22
; %bb.185:                              ;   in Loop: Header=BB147_4 Depth=1
	v_and_b32_e32 v15, 0xffff, v14
	v_or_b32_e32 v20, 0x10000, v14
	s_delay_alu instid0(VALU_DEP_2) | instskip(NEXT) | instid1(VALU_DEP_2)
	v_cmp_eq_u32_e32 vcc_lo, 0, v15
	v_cndmask_b32_e32 v15, v20, v14, vcc_lo
; %bb.186:                              ;   in Loop: Header=BB147_4 Depth=1
	s_or_b32 exec_lo, exec_lo, s22
	flat_store_d16_hi_b16 v[18:19], v15 offset:32
	flat_load_u16 v14, v[16:17] offset:64
	s_wait_loadcnt_dscnt 0x0
	v_lshlrev_b32_e32 v14, 16, v14
	s_delay_alu instid0(VALU_DEP_1) | instskip(SKIP_1) | instid1(VALU_DEP_1)
	v_mul_f32_e32 v14, s30, v14
	s_wait_xcnt 0x1
	v_and_b32_e32 v15, 0x7f800000, v14
	s_delay_alu instid0(VALU_DEP_1) | instskip(SKIP_2) | instid1(SALU_CYCLE_1)
	v_cmp_ne_u32_e32 vcc_lo, 0x7f800000, v15
                                        ; implicit-def: $vgpr15
	s_wait_xcnt 0x0
	s_and_saveexec_b32 s22, vcc_lo
	s_xor_b32 s22, exec_lo, s22
; %bb.187:                              ;   in Loop: Header=BB147_4 Depth=1
	v_bfe_u32 v15, v14, 16, 1
	s_delay_alu instid0(VALU_DEP_1)
	v_add3_u32 v15, v14, v15, 0x7fff
                                        ; implicit-def: $vgpr14
; %bb.188:                              ;   in Loop: Header=BB147_4 Depth=1
	s_and_not1_saveexec_b32 s22, s22
; %bb.189:                              ;   in Loop: Header=BB147_4 Depth=1
	v_and_b32_e32 v15, 0xffff, v14
	v_or_b32_e32 v20, 0x10000, v14
	s_delay_alu instid0(VALU_DEP_2) | instskip(NEXT) | instid1(VALU_DEP_2)
	v_cmp_eq_u32_e32 vcc_lo, 0, v15
	v_cndmask_b32_e32 v15, v20, v14, vcc_lo
; %bb.190:                              ;   in Loop: Header=BB147_4 Depth=1
	s_or_b32 exec_lo, exec_lo, s22
	s_delay_alu instid0(VALU_DEP_1) | instskip(NEXT) | instid1(VALU_DEP_1)
	v_fma_mix_f32_bf16 v12, s2, v12, v15 op_sel:[0,0,1] op_sel_hi:[0,0,1]
	v_and_b32_e32 v14, 0x7f800000, v12
	s_delay_alu instid0(VALU_DEP_1) | instskip(SKIP_1) | instid1(SALU_CYCLE_1)
	v_cmp_ne_u32_e32 vcc_lo, 0x7f800000, v14
                                        ; implicit-def: $vgpr14
	s_and_saveexec_b32 s22, vcc_lo
	s_xor_b32 s22, exec_lo, s22
; %bb.191:                              ;   in Loop: Header=BB147_4 Depth=1
	v_bfe_u32 v14, v12, 16, 1
	s_delay_alu instid0(VALU_DEP_1)
	v_add3_u32 v14, v12, v14, 0x7fff
                                        ; implicit-def: $vgpr12
; %bb.192:                              ;   in Loop: Header=BB147_4 Depth=1
	s_and_not1_saveexec_b32 s22, s22
; %bb.193:                              ;   in Loop: Header=BB147_4 Depth=1
	v_and_b32_e32 v14, 0xffff, v12
	v_or_b32_e32 v15, 0x10000, v12
	s_delay_alu instid0(VALU_DEP_2) | instskip(NEXT) | instid1(VALU_DEP_2)
	v_cmp_eq_u32_e32 vcc_lo, 0, v14
	v_cndmask_b32_e32 v14, v15, v12, vcc_lo
; %bb.194:                              ;   in Loop: Header=BB147_4 Depth=1
	s_or_b32 exec_lo, exec_lo, s22
	flat_store_d16_hi_b16 v[18:19], v14 offset:64
	flat_load_u16 v12, v[16:17] offset:96
	s_wait_loadcnt_dscnt 0x0
	v_lshlrev_b32_e32 v12, 16, v12
	s_delay_alu instid0(VALU_DEP_1) | instskip(SKIP_1) | instid1(VALU_DEP_1)
	v_mul_f32_e32 v12, s30, v12
	s_wait_xcnt 0x1
	v_and_b32_e32 v14, 0x7f800000, v12
	s_delay_alu instid0(VALU_DEP_1) | instskip(SKIP_2) | instid1(SALU_CYCLE_1)
	v_cmp_ne_u32_e32 vcc_lo, 0x7f800000, v14
                                        ; implicit-def: $vgpr14
	s_wait_xcnt 0x0
	s_and_saveexec_b32 s22, vcc_lo
	s_xor_b32 s22, exec_lo, s22
; %bb.195:                              ;   in Loop: Header=BB147_4 Depth=1
	v_bfe_u32 v14, v12, 16, 1
	s_delay_alu instid0(VALU_DEP_1)
	v_add3_u32 v14, v12, v14, 0x7fff
                                        ; implicit-def: $vgpr12
; %bb.196:                              ;   in Loop: Header=BB147_4 Depth=1
	s_and_not1_saveexec_b32 s22, s22
; %bb.197:                              ;   in Loop: Header=BB147_4 Depth=1
	v_and_b32_e32 v14, 0xffff, v12
	v_or_b32_e32 v15, 0x10000, v12
	s_delay_alu instid0(VALU_DEP_2) | instskip(NEXT) | instid1(VALU_DEP_2)
	v_cmp_eq_u32_e32 vcc_lo, 0, v14
	v_cndmask_b32_e32 v14, v15, v12, vcc_lo
; %bb.198:                              ;   in Loop: Header=BB147_4 Depth=1
	s_or_b32 exec_lo, exec_lo, s22
	s_delay_alu instid0(VALU_DEP_1) | instskip(NEXT) | instid1(VALU_DEP_1)
	v_fma_mix_f32_bf16 v12, s2, v13, v14 op_sel:[0,0,1] op_sel_hi:[0,0,1]
	v_and_b32_e32 v13, 0x7f800000, v12
	s_delay_alu instid0(VALU_DEP_1) | instskip(SKIP_1) | instid1(SALU_CYCLE_1)
	v_cmp_ne_u32_e32 vcc_lo, 0x7f800000, v13
                                        ; implicit-def: $vgpr13
	s_and_saveexec_b32 s22, vcc_lo
	s_xor_b32 s22, exec_lo, s22
; %bb.199:                              ;   in Loop: Header=BB147_4 Depth=1
	v_bfe_u32 v13, v12, 16, 1
	s_delay_alu instid0(VALU_DEP_1)
	v_add3_u32 v13, v12, v13, 0x7fff
                                        ; implicit-def: $vgpr12
; %bb.200:                              ;   in Loop: Header=BB147_4 Depth=1
	s_and_not1_saveexec_b32 s22, s22
	s_cbranch_execz .LBB147_2
; %bb.201:                              ;   in Loop: Header=BB147_4 Depth=1
	v_and_b32_e32 v13, 0xffff, v12
	v_or_b32_e32 v14, 0x10000, v12
	s_delay_alu instid0(VALU_DEP_2) | instskip(NEXT) | instid1(VALU_DEP_2)
	v_cmp_eq_u32_e32 vcc_lo, 0, v13
	v_cndmask_b32_e32 v13, v14, v12, vcc_lo
	s_branch .LBB147_2
.LBB147_202:
	s_sendmsg sendmsg(MSG_DEALLOC_VGPRS)
	s_endpgm
	.section	.rodata,"a",@progbits
	.p2align	6, 0x0
	.amdhsa_kernel _ZN12_GLOBAL__N_127rocblas_gemm_batched_kernelIfLi16ELi16ELi64ELi64ELi4ELi64ELi4ELi4ELi64ELc78ELc67EKPK16rocblas_bfloat16S4_KPS1_EEvlllT_PT11_llS9_llS7_PT12_llPT13_lli
		.amdhsa_group_segment_fixed_size 2048
		.amdhsa_private_segment_fixed_size 0
		.amdhsa_kernarg_size 140
		.amdhsa_user_sgpr_count 2
		.amdhsa_user_sgpr_dispatch_ptr 0
		.amdhsa_user_sgpr_queue_ptr 0
		.amdhsa_user_sgpr_kernarg_segment_ptr 1
		.amdhsa_user_sgpr_dispatch_id 0
		.amdhsa_user_sgpr_kernarg_preload_length 0
		.amdhsa_user_sgpr_kernarg_preload_offset 0
		.amdhsa_user_sgpr_private_segment_size 0
		.amdhsa_wavefront_size32 1
		.amdhsa_uses_dynamic_stack 0
		.amdhsa_enable_private_segment 0
		.amdhsa_system_sgpr_workgroup_id_x 1
		.amdhsa_system_sgpr_workgroup_id_y 1
		.amdhsa_system_sgpr_workgroup_id_z 1
		.amdhsa_system_sgpr_workgroup_info 0
		.amdhsa_system_vgpr_workitem_id 1
		.amdhsa_next_free_vgpr 76
		.amdhsa_next_free_sgpr 38
		.amdhsa_named_barrier_count 0
		.amdhsa_reserve_vcc 1
		.amdhsa_float_round_mode_32 0
		.amdhsa_float_round_mode_16_64 0
		.amdhsa_float_denorm_mode_32 3
		.amdhsa_float_denorm_mode_16_64 3
		.amdhsa_fp16_overflow 0
		.amdhsa_memory_ordered 1
		.amdhsa_forward_progress 1
		.amdhsa_inst_pref_size 55
		.amdhsa_round_robin_scheduling 0
		.amdhsa_exception_fp_ieee_invalid_op 0
		.amdhsa_exception_fp_denorm_src 0
		.amdhsa_exception_fp_ieee_div_zero 0
		.amdhsa_exception_fp_ieee_overflow 0
		.amdhsa_exception_fp_ieee_underflow 0
		.amdhsa_exception_fp_ieee_inexact 0
		.amdhsa_exception_int_div_zero 0
	.end_amdhsa_kernel
	.section	.text._ZN12_GLOBAL__N_127rocblas_gemm_batched_kernelIfLi16ELi16ELi64ELi64ELi4ELi64ELi4ELi4ELi64ELc78ELc67EKPK16rocblas_bfloat16S4_KPS1_EEvlllT_PT11_llS9_llS7_PT12_llPT13_lli,"axG",@progbits,_ZN12_GLOBAL__N_127rocblas_gemm_batched_kernelIfLi16ELi16ELi64ELi64ELi4ELi64ELi4ELi4ELi64ELc78ELc67EKPK16rocblas_bfloat16S4_KPS1_EEvlllT_PT11_llS9_llS7_PT12_llPT13_lli,comdat
.Lfunc_end147:
	.size	_ZN12_GLOBAL__N_127rocblas_gemm_batched_kernelIfLi16ELi16ELi64ELi64ELi4ELi64ELi4ELi4ELi64ELc78ELc67EKPK16rocblas_bfloat16S4_KPS1_EEvlllT_PT11_llS9_llS7_PT12_llPT13_lli, .Lfunc_end147-_ZN12_GLOBAL__N_127rocblas_gemm_batched_kernelIfLi16ELi16ELi64ELi64ELi4ELi64ELi4ELi4ELi64ELc78ELc67EKPK16rocblas_bfloat16S4_KPS1_EEvlllT_PT11_llS9_llS7_PT12_llPT13_lli
                                        ; -- End function
	.set _ZN12_GLOBAL__N_127rocblas_gemm_batched_kernelIfLi16ELi16ELi64ELi64ELi4ELi64ELi4ELi4ELi64ELc78ELc67EKPK16rocblas_bfloat16S4_KPS1_EEvlllT_PT11_llS9_llS7_PT12_llPT13_lli.num_vgpr, 76
	.set _ZN12_GLOBAL__N_127rocblas_gemm_batched_kernelIfLi16ELi16ELi64ELi64ELi4ELi64ELi4ELi4ELi64ELc78ELc67EKPK16rocblas_bfloat16S4_KPS1_EEvlllT_PT11_llS9_llS7_PT12_llPT13_lli.num_agpr, 0
	.set _ZN12_GLOBAL__N_127rocblas_gemm_batched_kernelIfLi16ELi16ELi64ELi64ELi4ELi64ELi4ELi4ELi64ELc78ELc67EKPK16rocblas_bfloat16S4_KPS1_EEvlllT_PT11_llS9_llS7_PT12_llPT13_lli.numbered_sgpr, 38
	.set _ZN12_GLOBAL__N_127rocblas_gemm_batched_kernelIfLi16ELi16ELi64ELi64ELi4ELi64ELi4ELi4ELi64ELc78ELc67EKPK16rocblas_bfloat16S4_KPS1_EEvlllT_PT11_llS9_llS7_PT12_llPT13_lli.num_named_barrier, 0
	.set _ZN12_GLOBAL__N_127rocblas_gemm_batched_kernelIfLi16ELi16ELi64ELi64ELi4ELi64ELi4ELi4ELi64ELc78ELc67EKPK16rocblas_bfloat16S4_KPS1_EEvlllT_PT11_llS9_llS7_PT12_llPT13_lli.private_seg_size, 0
	.set _ZN12_GLOBAL__N_127rocblas_gemm_batched_kernelIfLi16ELi16ELi64ELi64ELi4ELi64ELi4ELi4ELi64ELc78ELc67EKPK16rocblas_bfloat16S4_KPS1_EEvlllT_PT11_llS9_llS7_PT12_llPT13_lli.uses_vcc, 1
	.set _ZN12_GLOBAL__N_127rocblas_gemm_batched_kernelIfLi16ELi16ELi64ELi64ELi4ELi64ELi4ELi4ELi64ELc78ELc67EKPK16rocblas_bfloat16S4_KPS1_EEvlllT_PT11_llS9_llS7_PT12_llPT13_lli.uses_flat_scratch, 0
	.set _ZN12_GLOBAL__N_127rocblas_gemm_batched_kernelIfLi16ELi16ELi64ELi64ELi4ELi64ELi4ELi4ELi64ELc78ELc67EKPK16rocblas_bfloat16S4_KPS1_EEvlllT_PT11_llS9_llS7_PT12_llPT13_lli.has_dyn_sized_stack, 0
	.set _ZN12_GLOBAL__N_127rocblas_gemm_batched_kernelIfLi16ELi16ELi64ELi64ELi4ELi64ELi4ELi4ELi64ELc78ELc67EKPK16rocblas_bfloat16S4_KPS1_EEvlllT_PT11_llS9_llS7_PT12_llPT13_lli.has_recursion, 0
	.set _ZN12_GLOBAL__N_127rocblas_gemm_batched_kernelIfLi16ELi16ELi64ELi64ELi4ELi64ELi4ELi4ELi64ELc78ELc67EKPK16rocblas_bfloat16S4_KPS1_EEvlllT_PT11_llS9_llS7_PT12_llPT13_lli.has_indirect_call, 0
	.section	.AMDGPU.csdata,"",@progbits
; Kernel info:
; codeLenInByte = 6968
; TotalNumSgprs: 40
; NumVgprs: 76
; ScratchSize: 0
; MemoryBound: 0
; FloatMode: 240
; IeeeMode: 1
; LDSByteSize: 2048 bytes/workgroup (compile time only)
; SGPRBlocks: 0
; VGPRBlocks: 4
; NumSGPRsForWavesPerEU: 40
; NumVGPRsForWavesPerEU: 76
; NamedBarCnt: 0
; Occupancy: 12
; WaveLimiterHint : 1
; COMPUTE_PGM_RSRC2:SCRATCH_EN: 0
; COMPUTE_PGM_RSRC2:USER_SGPR: 2
; COMPUTE_PGM_RSRC2:TRAP_HANDLER: 0
; COMPUTE_PGM_RSRC2:TGID_X_EN: 1
; COMPUTE_PGM_RSRC2:TGID_Y_EN: 1
; COMPUTE_PGM_RSRC2:TGID_Z_EN: 1
; COMPUTE_PGM_RSRC2:TIDIG_COMP_CNT: 1
	.section	.text._ZN12_GLOBAL__N_127rocblas_gemm_batched_kernelIfLi16ELi16ELi64ELi64ELi4ELi64ELi4ELi4ELi64ELc84ELc67EKPK16rocblas_bfloat16S4_KPS1_EEvlllT_PT11_llS9_llS7_PT12_llPT13_lli,"axG",@progbits,_ZN12_GLOBAL__N_127rocblas_gemm_batched_kernelIfLi16ELi16ELi64ELi64ELi4ELi64ELi4ELi4ELi64ELc84ELc67EKPK16rocblas_bfloat16S4_KPS1_EEvlllT_PT11_llS9_llS7_PT12_llPT13_lli,comdat
	.globl	_ZN12_GLOBAL__N_127rocblas_gemm_batched_kernelIfLi16ELi16ELi64ELi64ELi4ELi64ELi4ELi4ELi64ELc84ELc67EKPK16rocblas_bfloat16S4_KPS1_EEvlllT_PT11_llS9_llS7_PT12_llPT13_lli ; -- Begin function _ZN12_GLOBAL__N_127rocblas_gemm_batched_kernelIfLi16ELi16ELi64ELi64ELi4ELi64ELi4ELi4ELi64ELc84ELc67EKPK16rocblas_bfloat16S4_KPS1_EEvlllT_PT11_llS9_llS7_PT12_llPT13_lli
	.p2align	8
	.type	_ZN12_GLOBAL__N_127rocblas_gemm_batched_kernelIfLi16ELi16ELi64ELi64ELi4ELi64ELi4ELi4ELi64ELc84ELc67EKPK16rocblas_bfloat16S4_KPS1_EEvlllT_PT11_llS9_llS7_PT12_llPT13_lli,@function
_ZN12_GLOBAL__N_127rocblas_gemm_batched_kernelIfLi16ELi16ELi64ELi64ELi4ELi64ELi4ELi4ELi64ELc84ELc67EKPK16rocblas_bfloat16S4_KPS1_EEvlllT_PT11_llS9_llS7_PT12_llPT13_lli: ; @_ZN12_GLOBAL__N_127rocblas_gemm_batched_kernelIfLi16ELi16ELi64ELi64ELi4ELi64ELi4ELi4ELi64ELc84ELc67EKPK16rocblas_bfloat16S4_KPS1_EEvlllT_PT11_llS9_llS7_PT12_llPT13_lli
; %bb.0:
	s_load_b32 s3, s[0:1], 0x88
	s_bfe_u32 s2, ttmp6, 0x40014
	s_lshr_b32 s4, ttmp7, 16
	s_add_co_i32 s2, s2, 1
	s_bfe_u32 s6, ttmp6, 0x40008
	s_mul_i32 s5, s4, s2
	s_getreg_b32 s2, hwreg(HW_REG_IB_STS2, 6, 4)
	s_add_co_i32 s6, s6, s5
	s_cmp_eq_u32 s2, 0
	s_mov_b32 s29, 0
	s_cselect_b32 s28, s4, s6
	s_wait_kmcnt 0x0
	s_cmp_ge_i32 s28, s3
	s_cbranch_scc1 .LBB148_202
; %bb.1:
	v_bfe_u32 v2, v0, 10, 10
	v_and_b32_e32 v6, 0x3ff, v0
	s_bfe_u32 s31, ttmp6, 0x4000c
	s_bfe_u32 s33, ttmp6, 0x40010
	s_clause 0x2
	s_load_b256 s[4:11], s[0:1], 0x20
	s_load_b128 s[24:27], s[0:1], 0x40
	s_load_b128 s[20:23], s[0:1], 0x78
	v_dual_mov_b32 v3, 0 :: v_dual_lshlrev_b32 v14, 4, v2
	s_add_co_i32 s31, s31, 1
	s_and_b32 s34, ttmp7, 0xffff
	s_add_co_i32 s33, s33, 1
	s_and_b32 s30, ttmp6, 15
	s_mul_i32 s31, ttmp9, s31
	s_mul_i32 s33, s34, s33
	s_bfe_u32 s35, ttmp6, 0x40004
	v_dual_add_nc_u32 v15, v14, v6 :: v_dual_bitop2_b32 v17, 3, v0 bitop3:0x40
	s_add_co_i32 s30, s30, s31
	s_add_co_i32 s35, s35, s33
	s_cmp_eq_u32 s2, 0
	s_delay_alu instid0(VALU_DEP_1)
	v_dual_lshrrev_b32 v8, 2, v15 :: v_dual_bitop2_b32 v16, 63, v15 bitop3:0x40
	s_cselect_b32 s30, ttmp9, s30
	s_cselect_b32 s2, s34, s35
	s_ashr_i32 s31, s30, 31
	s_load_b256 s[12:19], s[0:1], 0x58
	s_lshl_b64 s[34:35], s[30:31], 6
	v_dual_mov_b32 v9, v3 :: v_dual_mov_b32 v7, v3
	v_dual_mov_b32 v1, s35 :: v_dual_bitop2_b32 v0, s34, v16 bitop3:0x54
	s_lshl_b32 s36, s2, 6
	s_wait_kmcnt 0x0
	s_delay_alu instid0(VALU_DEP_2)
	v_mad_nc_u64_u32 v[12:13], s24, v17, v[8:9]
	s_mov_b32 s37, s29
	s_load_b32 s30, s[0:1], 0x50
	v_mul_u64_e32 v[10:11], s[6:7], v[0:1]
	v_add_nc_u64_e32 v[4:5], s[36:37], v[2:3]
	s_wait_xcnt 0x0
	s_load_b96 s[0:2], s[0:1], 0x10
	v_dual_lshlrev_b32 v2, 2, v17 :: v_dual_lshlrev_b32 v36, 2, v6
	v_dual_lshrrev_b32 v15, 6, v15 :: v_dual_lshlrev_b32 v9, 2, v16
	v_add_nc_u64_e32 v[6:7], s[34:35], v[6:7]
	s_delay_alu instid0(VALU_DEP_4)
	v_mul_u64_e32 v[0:1], s[20:21], v[4:5]
	v_mad_u32 v13, s25, v17, v13
	v_mul_u64_e32 v[4:5], s[14:15], v[4:5]
	v_lshl_or_b32 v2, v8, 4, v2
	v_lshl_or_b32 v38, v15, 8, v9
	v_add_nc_u32_e32 v37, 0x400, v14
	s_delay_alu instid0(VALU_DEP_3)
	v_add_nc_u32_e32 v39, 0x400, v2
	v_lshlrev_b32_e32 v2, 1, v15
	s_wait_kmcnt 0x0
	s_cmp_eq_f32 s30, 0
	v_add_nc_u64_e32 v[12:13], s[36:37], v[12:13]
	s_cselect_b32 s31, -1, 0
	s_lshl_b64 s[6:7], s[8:9], 1
	s_lshl_b64 s[8:9], s[14:15], 4
	;; [unrolled: 1-line block ×3, first 2 shown]
	s_delay_alu instid0(VALU_DEP_1) | instskip(SKIP_3) | instid1(VALU_DEP_2)
	v_lshlrev_b64_e32 v[8:9], 1, v[12:13]
	s_lshl_b64 s[16:17], s[16:17], 1
	v_lshl_add_u64 v[10:11], v[10:11], 1, s[6:7]
	s_lshl_b64 s[6:7], s[20:21], 4
	v_lshl_add_u64 v[8:9], s[26:27], 1, v[8:9]
	v_cmp_gt_i64_e64 s26, s[0:1], 0
	s_lshl_b64 s[20:21], s[22:23], 1
	v_add_nc_u64_e32 v[10:11], v[10:11], v[2:3]
	s_branch .LBB148_4
.LBB148_2:                              ;   in Loop: Header=BB148_4 Depth=1
	s_or_b32 exec_lo, exec_lo, s22
	flat_store_d16_hi_b16 v[18:19], v12 offset:96
.LBB148_3:                              ;   in Loop: Header=BB148_4 Depth=1
	s_add_co_i32 s28, s28, 0x10000
	s_delay_alu instid0(SALU_CYCLE_1)
	s_cmp_lt_i32 s28, s3
	s_cbranch_scc0 .LBB148_202
.LBB148_4:                              ; =>This Loop Header: Depth=1
                                        ;     Child Loop BB148_6 Depth 2
	s_wait_xcnt 0x0
	v_dual_mov_b32 v2, s28 :: v_dual_mov_b32 v27, 0
	v_dual_mov_b32 v26, 0 :: v_dual_mov_b32 v25, 0
	;; [unrolled: 1-line block ×3, first 2 shown]
	s_clause 0x1
	global_load_b64 v[28:29], v2, s[12:13] scale_offset
	global_load_b64 v[30:31], v2, s[18:19] scale_offset
	v_dual_mov_b32 v22, 0 :: v_dual_mov_b32 v21, 0
	s_wait_xcnt 0x2
	v_dual_mov_b32 v20, 0 :: v_dual_mov_b32 v19, 0
	v_dual_mov_b32 v18, 0 :: v_dual_mov_b32 v17, 0
	;; [unrolled: 1-line block ×4, first 2 shown]
	v_mov_b32_e32 v12, 0
	s_and_not1_b32 vcc_lo, exec_lo, s26
	s_cbranch_vccnz .LBB148_7
; %bb.5:                                ;   in Loop: Header=BB148_4 Depth=1
	s_lshl_b64 s[22:23], s[28:29], 3
	v_mov_b32_e32 v12, 0
	s_add_nc_u64 s[24:25], s[10:11], s[22:23]
	s_add_nc_u64 s[22:23], s[4:5], s[22:23]
	s_clause 0x1
	global_load_b64 v[26:27], v3, s[24:25]
	global_load_b64 v[34:35], v3, s[22:23]
	s_wait_xcnt 0x0
	s_mov_b64 s[22:23], 0
	v_dual_mov_b32 v13, v12 :: v_dual_mov_b32 v14, v12
	v_dual_mov_b32 v15, v12 :: v_dual_mov_b32 v16, v12
	;; [unrolled: 1-line block ×6, first 2 shown]
	v_mov_b32_e32 v25, v12
	s_wait_loadcnt 0x1
	v_add_nc_u64_e32 v[32:33], v[26:27], v[8:9]
	s_wait_loadcnt 0x0
	v_add_nc_u64_e32 v[34:35], v[34:35], v[10:11]
	v_dual_mov_b32 v26, v12 :: v_dual_mov_b32 v27, v12
.LBB148_6:                              ;   Parent Loop BB148_4 Depth=1
                                        ; =>  This Inner Loop Header: Depth=2
	flat_load_u16 v2, v[34:35]
	flat_load_u16 v40, v[32:33]
	s_add_nc_u64 s[22:23], s[22:23], 4
	s_wait_xcnt 0x0
	v_add_nc_u64_e32 v[32:33], s[14:15], v[32:33]
	v_cmp_lt_i64_e64 s24, s[22:23], s[0:1]
	v_add_nc_u64_e32 v[34:35], 8, v[34:35]
	s_and_b32 vcc_lo, exec_lo, s24
	s_wait_loadcnt_dscnt 0x0
	v_dual_lshlrev_b32 v2, 16, v2 :: v_dual_lshlrev_b32 v40, 16, v40
	ds_store_b32 v38, v2
	ds_store_b32 v39, v40
	s_wait_dscnt 0x0
	s_barrier_signal -1
	s_barrier_wait -1
	ds_load_b128 v[40:43], v37
	ds_load_2addr_b32 v[56:57], v36 offset1:16
	ds_load_2addr_b32 v[58:59], v36 offset0:32 offset1:48
	ds_load_b128 v[44:47], v37 offset:256
	ds_load_b128 v[48:51], v37 offset:512
	;; [unrolled: 1-line block ×3, first 2 shown]
	ds_load_2addr_b32 v[60:61], v36 offset0:64 offset1:80
	ds_load_2addr_b32 v[62:63], v36 offset0:96 offset1:112
	;; [unrolled: 1-line block ×6, first 2 shown]
	s_wait_dscnt 0x0
	s_barrier_signal -1
	s_barrier_wait -1
	v_mov_b32_e32 v2, v43
	v_pk_fma_f32 v[26:27], v[56:57], v[40:41], v[26:27] op_sel_hi:[1,0,1]
	v_pk_fma_f32 v[24:25], v[58:59], v[40:41], v[24:25] op_sel_hi:[1,0,1]
	;; [unrolled: 1-line block ×8, first 2 shown]
	v_pk_fma_f32 v[26:27], v[60:61], v[40:41], v[26:27] op_sel:[0,1,0]
	v_pk_fma_f32 v[24:25], v[62:63], v[40:41], v[24:25] op_sel:[0,1,0]
	;; [unrolled: 1-line block ×8, first 2 shown]
	v_dual_mov_b32 v56, v47 :: v_dual_mov_b32 v58, v51
	v_mov_b32_e32 v72, v55
	v_pk_fma_f32 v[26:27], v[64:65], v[42:43], v[26:27] op_sel_hi:[1,0,1]
	v_pk_fma_f32 v[24:25], v[66:67], v[42:43], v[24:25] op_sel_hi:[1,0,1]
	;; [unrolled: 1-line block ×16, first 2 shown]
	s_cbranch_vccnz .LBB148_6
.LBB148_7:                              ;   in Loop: Header=BB148_4 Depth=1
	s_wait_loadcnt 0x0
	v_add_nc_u64_e32 v[30:31], s[20:21], v[30:31]
	s_and_not1_b32 vcc_lo, exec_lo, s31
	s_cbranch_vccnz .LBB148_73
; %bb.8:                                ;   in Loop: Header=BB148_4 Depth=1
	v_mul_f32_e32 v32, s2, v26
	s_wait_xcnt 0x0
	s_delay_alu instid0(VALU_DEP_1) | instskip(NEXT) | instid1(VALU_DEP_1)
	v_and_b32_e32 v2, 0x7f800000, v32
	v_cmp_ne_u32_e32 vcc_lo, 0x7f800000, v2
                                        ; implicit-def: $vgpr2
	s_and_saveexec_b32 s22, vcc_lo
	s_delay_alu instid0(SALU_CYCLE_1)
	s_xor_b32 s22, exec_lo, s22
; %bb.9:                                ;   in Loop: Header=BB148_4 Depth=1
	v_bfe_u32 v2, v32, 16, 1
	s_delay_alu instid0(VALU_DEP_1)
	v_add3_u32 v2, v32, v2, 0x7fff
                                        ; implicit-def: $vgpr32
; %bb.10:                               ;   in Loop: Header=BB148_4 Depth=1
	s_and_not1_saveexec_b32 s22, s22
; %bb.11:                               ;   in Loop: Header=BB148_4 Depth=1
	v_and_b32_e32 v2, 0xffff, v32
	v_or_b32_e32 v33, 0x10000, v32
	s_delay_alu instid0(VALU_DEP_2) | instskip(NEXT) | instid1(VALU_DEP_2)
	v_cmp_eq_u32_e32 vcc_lo, 0, v2
	v_cndmask_b32_e32 v2, v33, v32, vcc_lo
; %bb.12:                               ;   in Loop: Header=BB148_4 Depth=1
	s_or_b32 exec_lo, exec_lo, s22
	v_mul_f32_e32 v40, s2, v27
	v_lshl_add_u64 v[32:33], v[0:1], 1, v[30:31]
	s_delay_alu instid0(VALU_DEP_2) | instskip(NEXT) | instid1(VALU_DEP_2)
	v_and_b32_e32 v41, 0x7f800000, v40
	v_lshl_add_u64 v[34:35], v[6:7], 1, v[32:33]
	s_delay_alu instid0(VALU_DEP_2) | instskip(SKIP_3) | instid1(SALU_CYCLE_1)
	v_cmp_ne_u32_e32 vcc_lo, 0x7f800000, v41
	flat_store_d16_hi_b16 v[34:35], v2
                                        ; implicit-def: $vgpr41
	s_wait_xcnt 0x0
	s_and_saveexec_b32 s22, vcc_lo
	s_xor_b32 s22, exec_lo, s22
; %bb.13:                               ;   in Loop: Header=BB148_4 Depth=1
	v_bfe_u32 v2, v40, 16, 1
	s_delay_alu instid0(VALU_DEP_1)
	v_add3_u32 v41, v40, v2, 0x7fff
                                        ; implicit-def: $vgpr40
; %bb.14:                               ;   in Loop: Header=BB148_4 Depth=1
	s_and_not1_saveexec_b32 s22, s22
; %bb.15:                               ;   in Loop: Header=BB148_4 Depth=1
	v_and_b32_e32 v2, 0xffff, v40
	v_or_b32_e32 v41, 0x10000, v40
	s_delay_alu instid0(VALU_DEP_2) | instskip(NEXT) | instid1(VALU_DEP_2)
	v_cmp_eq_u32_e32 vcc_lo, 0, v2
	v_cndmask_b32_e32 v41, v41, v40, vcc_lo
; %bb.16:                               ;   in Loop: Header=BB148_4 Depth=1
	s_or_b32 exec_lo, exec_lo, s22
	v_mul_f32_e32 v2, s2, v24
	flat_store_d16_hi_b16 v[34:35], v41 offset:32
	v_and_b32_e32 v40, 0x7f800000, v2
	s_delay_alu instid0(VALU_DEP_1) | instskip(SKIP_2) | instid1(SALU_CYCLE_1)
	v_cmp_ne_u32_e32 vcc_lo, 0x7f800000, v40
                                        ; implicit-def: $vgpr40
	s_wait_xcnt 0x0
	s_and_saveexec_b32 s22, vcc_lo
	s_xor_b32 s22, exec_lo, s22
; %bb.17:                               ;   in Loop: Header=BB148_4 Depth=1
	v_bfe_u32 v40, v2, 16, 1
	s_delay_alu instid0(VALU_DEP_1)
	v_add3_u32 v40, v2, v40, 0x7fff
                                        ; implicit-def: $vgpr2
; %bb.18:                               ;   in Loop: Header=BB148_4 Depth=1
	s_and_not1_saveexec_b32 s22, s22
; %bb.19:                               ;   in Loop: Header=BB148_4 Depth=1
	v_and_b32_e32 v40, 0xffff, v2
	v_or_b32_e32 v41, 0x10000, v2
	s_delay_alu instid0(VALU_DEP_2) | instskip(NEXT) | instid1(VALU_DEP_2)
	v_cmp_eq_u32_e32 vcc_lo, 0, v40
	v_cndmask_b32_e32 v40, v41, v2, vcc_lo
; %bb.20:                               ;   in Loop: Header=BB148_4 Depth=1
	s_or_b32 exec_lo, exec_lo, s22
	v_mul_f32_e32 v2, s2, v25
	flat_store_d16_hi_b16 v[34:35], v40 offset:64
	v_and_b32_e32 v41, 0x7f800000, v2
	s_delay_alu instid0(VALU_DEP_1) | instskip(SKIP_2) | instid1(SALU_CYCLE_1)
	v_cmp_ne_u32_e32 vcc_lo, 0x7f800000, v41
                                        ; implicit-def: $vgpr41
	s_wait_xcnt 0x0
	s_and_saveexec_b32 s22, vcc_lo
	s_xor_b32 s22, exec_lo, s22
; %bb.21:                               ;   in Loop: Header=BB148_4 Depth=1
	v_bfe_u32 v40, v2, 16, 1
	s_delay_alu instid0(VALU_DEP_1)
	v_add3_u32 v41, v2, v40, 0x7fff
                                        ; implicit-def: $vgpr2
; %bb.22:                               ;   in Loop: Header=BB148_4 Depth=1
	s_and_not1_saveexec_b32 s22, s22
; %bb.23:                               ;   in Loop: Header=BB148_4 Depth=1
	v_and_b32_e32 v40, 0xffff, v2
	v_or_b32_e32 v41, 0x10000, v2
	s_delay_alu instid0(VALU_DEP_2) | instskip(NEXT) | instid1(VALU_DEP_2)
	v_cmp_eq_u32_e32 vcc_lo, 0, v40
	v_cndmask_b32_e32 v41, v41, v2, vcc_lo
; %bb.24:                               ;   in Loop: Header=BB148_4 Depth=1
	s_or_b32 exec_lo, exec_lo, s22
	v_mul_f32_e32 v40, s2, v22
	flat_store_d16_hi_b16 v[34:35], v41 offset:96
	v_and_b32_e32 v2, 0x7f800000, v40
	s_delay_alu instid0(VALU_DEP_1) | instskip(SKIP_2) | instid1(SALU_CYCLE_1)
	v_cmp_ne_u32_e32 vcc_lo, 0x7f800000, v2
                                        ; implicit-def: $vgpr2
	s_wait_xcnt 0x0
	s_and_saveexec_b32 s22, vcc_lo
	s_xor_b32 s22, exec_lo, s22
; %bb.25:                               ;   in Loop: Header=BB148_4 Depth=1
	v_bfe_u32 v2, v40, 16, 1
	s_delay_alu instid0(VALU_DEP_1)
	v_add3_u32 v2, v40, v2, 0x7fff
                                        ; implicit-def: $vgpr40
; %bb.26:                               ;   in Loop: Header=BB148_4 Depth=1
	s_and_not1_saveexec_b32 s22, s22
; %bb.27:                               ;   in Loop: Header=BB148_4 Depth=1
	v_and_b32_e32 v2, 0xffff, v40
	v_or_b32_e32 v34, 0x10000, v40
	s_delay_alu instid0(VALU_DEP_2) | instskip(NEXT) | instid1(VALU_DEP_2)
	v_cmp_eq_u32_e32 vcc_lo, 0, v2
	v_cndmask_b32_e32 v2, v34, v40, vcc_lo
; %bb.28:                               ;   in Loop: Header=BB148_4 Depth=1
	s_or_b32 exec_lo, exec_lo, s22
	v_mul_f32_e32 v40, s2, v23
	v_lshl_add_u64 v[32:33], s[6:7], 1, v[32:33]
	s_delay_alu instid0(VALU_DEP_2) | instskip(NEXT) | instid1(VALU_DEP_2)
	v_and_b32_e32 v41, 0x7f800000, v40
	v_lshl_add_u64 v[34:35], v[6:7], 1, v[32:33]
	s_delay_alu instid0(VALU_DEP_2) | instskip(SKIP_3) | instid1(SALU_CYCLE_1)
	v_cmp_ne_u32_e32 vcc_lo, 0x7f800000, v41
	flat_store_d16_hi_b16 v[34:35], v2
                                        ; implicit-def: $vgpr41
	s_wait_xcnt 0x0
	s_and_saveexec_b32 s22, vcc_lo
	s_xor_b32 s22, exec_lo, s22
; %bb.29:                               ;   in Loop: Header=BB148_4 Depth=1
	v_bfe_u32 v2, v40, 16, 1
	s_delay_alu instid0(VALU_DEP_1)
	v_add3_u32 v41, v40, v2, 0x7fff
                                        ; implicit-def: $vgpr40
; %bb.30:                               ;   in Loop: Header=BB148_4 Depth=1
	s_and_not1_saveexec_b32 s22, s22
; %bb.31:                               ;   in Loop: Header=BB148_4 Depth=1
	v_and_b32_e32 v2, 0xffff, v40
	v_or_b32_e32 v41, 0x10000, v40
	s_delay_alu instid0(VALU_DEP_2) | instskip(NEXT) | instid1(VALU_DEP_2)
	v_cmp_eq_u32_e32 vcc_lo, 0, v2
	v_cndmask_b32_e32 v41, v41, v40, vcc_lo
; %bb.32:                               ;   in Loop: Header=BB148_4 Depth=1
	s_or_b32 exec_lo, exec_lo, s22
	v_mul_f32_e32 v2, s2, v20
	flat_store_d16_hi_b16 v[34:35], v41 offset:32
	v_and_b32_e32 v40, 0x7f800000, v2
	s_delay_alu instid0(VALU_DEP_1) | instskip(SKIP_2) | instid1(SALU_CYCLE_1)
	v_cmp_ne_u32_e32 vcc_lo, 0x7f800000, v40
                                        ; implicit-def: $vgpr40
	s_wait_xcnt 0x0
	s_and_saveexec_b32 s22, vcc_lo
	s_xor_b32 s22, exec_lo, s22
; %bb.33:                               ;   in Loop: Header=BB148_4 Depth=1
	v_bfe_u32 v40, v2, 16, 1
	s_delay_alu instid0(VALU_DEP_1)
	v_add3_u32 v40, v2, v40, 0x7fff
                                        ; implicit-def: $vgpr2
; %bb.34:                               ;   in Loop: Header=BB148_4 Depth=1
	s_and_not1_saveexec_b32 s22, s22
; %bb.35:                               ;   in Loop: Header=BB148_4 Depth=1
	v_and_b32_e32 v40, 0xffff, v2
	v_or_b32_e32 v41, 0x10000, v2
	s_delay_alu instid0(VALU_DEP_2) | instskip(NEXT) | instid1(VALU_DEP_2)
	v_cmp_eq_u32_e32 vcc_lo, 0, v40
	v_cndmask_b32_e32 v40, v41, v2, vcc_lo
; %bb.36:                               ;   in Loop: Header=BB148_4 Depth=1
	s_or_b32 exec_lo, exec_lo, s22
	v_mul_f32_e32 v2, s2, v21
	flat_store_d16_hi_b16 v[34:35], v40 offset:64
	v_and_b32_e32 v41, 0x7f800000, v2
	s_delay_alu instid0(VALU_DEP_1) | instskip(SKIP_2) | instid1(SALU_CYCLE_1)
	v_cmp_ne_u32_e32 vcc_lo, 0x7f800000, v41
                                        ; implicit-def: $vgpr41
	s_wait_xcnt 0x0
	s_and_saveexec_b32 s22, vcc_lo
	s_xor_b32 s22, exec_lo, s22
; %bb.37:                               ;   in Loop: Header=BB148_4 Depth=1
	v_bfe_u32 v40, v2, 16, 1
	s_delay_alu instid0(VALU_DEP_1)
	v_add3_u32 v41, v2, v40, 0x7fff
                                        ; implicit-def: $vgpr2
; %bb.38:                               ;   in Loop: Header=BB148_4 Depth=1
	s_and_not1_saveexec_b32 s22, s22
; %bb.39:                               ;   in Loop: Header=BB148_4 Depth=1
	v_and_b32_e32 v40, 0xffff, v2
	v_or_b32_e32 v41, 0x10000, v2
	s_delay_alu instid0(VALU_DEP_2) | instskip(NEXT) | instid1(VALU_DEP_2)
	v_cmp_eq_u32_e32 vcc_lo, 0, v40
	v_cndmask_b32_e32 v41, v41, v2, vcc_lo
; %bb.40:                               ;   in Loop: Header=BB148_4 Depth=1
	s_or_b32 exec_lo, exec_lo, s22
	v_mul_f32_e32 v40, s2, v18
	flat_store_d16_hi_b16 v[34:35], v41 offset:96
	v_and_b32_e32 v2, 0x7f800000, v40
	s_delay_alu instid0(VALU_DEP_1) | instskip(SKIP_2) | instid1(SALU_CYCLE_1)
	v_cmp_ne_u32_e32 vcc_lo, 0x7f800000, v2
                                        ; implicit-def: $vgpr2
	s_wait_xcnt 0x0
	s_and_saveexec_b32 s22, vcc_lo
	s_xor_b32 s22, exec_lo, s22
; %bb.41:                               ;   in Loop: Header=BB148_4 Depth=1
	v_bfe_u32 v2, v40, 16, 1
	s_delay_alu instid0(VALU_DEP_1)
	v_add3_u32 v2, v40, v2, 0x7fff
                                        ; implicit-def: $vgpr40
; %bb.42:                               ;   in Loop: Header=BB148_4 Depth=1
	s_and_not1_saveexec_b32 s22, s22
; %bb.43:                               ;   in Loop: Header=BB148_4 Depth=1
	v_and_b32_e32 v2, 0xffff, v40
	v_or_b32_e32 v34, 0x10000, v40
	s_delay_alu instid0(VALU_DEP_2) | instskip(NEXT) | instid1(VALU_DEP_2)
	v_cmp_eq_u32_e32 vcc_lo, 0, v2
	v_cndmask_b32_e32 v2, v34, v40, vcc_lo
; %bb.44:                               ;   in Loop: Header=BB148_4 Depth=1
	s_or_b32 exec_lo, exec_lo, s22
	v_mul_f32_e32 v40, s2, v19
	v_lshl_add_u64 v[32:33], s[6:7], 1, v[32:33]
	s_delay_alu instid0(VALU_DEP_2) | instskip(NEXT) | instid1(VALU_DEP_2)
	v_and_b32_e32 v41, 0x7f800000, v40
	v_lshl_add_u64 v[34:35], v[6:7], 1, v[32:33]
	s_delay_alu instid0(VALU_DEP_2) | instskip(SKIP_3) | instid1(SALU_CYCLE_1)
	v_cmp_ne_u32_e32 vcc_lo, 0x7f800000, v41
	flat_store_d16_hi_b16 v[34:35], v2
                                        ; implicit-def: $vgpr41
	s_wait_xcnt 0x0
	s_and_saveexec_b32 s22, vcc_lo
	s_xor_b32 s22, exec_lo, s22
; %bb.45:                               ;   in Loop: Header=BB148_4 Depth=1
	v_bfe_u32 v2, v40, 16, 1
	s_delay_alu instid0(VALU_DEP_1)
	v_add3_u32 v41, v40, v2, 0x7fff
                                        ; implicit-def: $vgpr40
; %bb.46:                               ;   in Loop: Header=BB148_4 Depth=1
	s_and_not1_saveexec_b32 s22, s22
; %bb.47:                               ;   in Loop: Header=BB148_4 Depth=1
	v_and_b32_e32 v2, 0xffff, v40
	v_or_b32_e32 v41, 0x10000, v40
	s_delay_alu instid0(VALU_DEP_2) | instskip(NEXT) | instid1(VALU_DEP_2)
	v_cmp_eq_u32_e32 vcc_lo, 0, v2
	v_cndmask_b32_e32 v41, v41, v40, vcc_lo
; %bb.48:                               ;   in Loop: Header=BB148_4 Depth=1
	s_or_b32 exec_lo, exec_lo, s22
	v_mul_f32_e32 v2, s2, v16
	flat_store_d16_hi_b16 v[34:35], v41 offset:32
	v_and_b32_e32 v40, 0x7f800000, v2
	s_delay_alu instid0(VALU_DEP_1) | instskip(SKIP_2) | instid1(SALU_CYCLE_1)
	v_cmp_ne_u32_e32 vcc_lo, 0x7f800000, v40
                                        ; implicit-def: $vgpr40
	s_wait_xcnt 0x0
	s_and_saveexec_b32 s22, vcc_lo
	s_xor_b32 s22, exec_lo, s22
; %bb.49:                               ;   in Loop: Header=BB148_4 Depth=1
	v_bfe_u32 v40, v2, 16, 1
	s_delay_alu instid0(VALU_DEP_1)
	v_add3_u32 v40, v2, v40, 0x7fff
                                        ; implicit-def: $vgpr2
; %bb.50:                               ;   in Loop: Header=BB148_4 Depth=1
	s_and_not1_saveexec_b32 s22, s22
; %bb.51:                               ;   in Loop: Header=BB148_4 Depth=1
	v_and_b32_e32 v40, 0xffff, v2
	v_or_b32_e32 v41, 0x10000, v2
	s_delay_alu instid0(VALU_DEP_2) | instskip(NEXT) | instid1(VALU_DEP_2)
	v_cmp_eq_u32_e32 vcc_lo, 0, v40
	v_cndmask_b32_e32 v40, v41, v2, vcc_lo
; %bb.52:                               ;   in Loop: Header=BB148_4 Depth=1
	s_or_b32 exec_lo, exec_lo, s22
	v_mul_f32_e32 v2, s2, v17
	flat_store_d16_hi_b16 v[34:35], v40 offset:64
	v_and_b32_e32 v41, 0x7f800000, v2
	s_delay_alu instid0(VALU_DEP_1) | instskip(SKIP_2) | instid1(SALU_CYCLE_1)
	v_cmp_ne_u32_e32 vcc_lo, 0x7f800000, v41
                                        ; implicit-def: $vgpr41
	s_wait_xcnt 0x0
	s_and_saveexec_b32 s22, vcc_lo
	s_xor_b32 s22, exec_lo, s22
; %bb.53:                               ;   in Loop: Header=BB148_4 Depth=1
	v_bfe_u32 v40, v2, 16, 1
	s_delay_alu instid0(VALU_DEP_1)
	v_add3_u32 v41, v2, v40, 0x7fff
                                        ; implicit-def: $vgpr2
; %bb.54:                               ;   in Loop: Header=BB148_4 Depth=1
	s_and_not1_saveexec_b32 s22, s22
; %bb.55:                               ;   in Loop: Header=BB148_4 Depth=1
	v_and_b32_e32 v40, 0xffff, v2
	v_or_b32_e32 v41, 0x10000, v2
	s_delay_alu instid0(VALU_DEP_2) | instskip(NEXT) | instid1(VALU_DEP_2)
	v_cmp_eq_u32_e32 vcc_lo, 0, v40
	v_cndmask_b32_e32 v41, v41, v2, vcc_lo
; %bb.56:                               ;   in Loop: Header=BB148_4 Depth=1
	s_or_b32 exec_lo, exec_lo, s22
	v_mul_f32_e32 v40, s2, v14
	flat_store_d16_hi_b16 v[34:35], v41 offset:96
	v_and_b32_e32 v2, 0x7f800000, v40
	s_delay_alu instid0(VALU_DEP_1) | instskip(SKIP_2) | instid1(SALU_CYCLE_1)
	v_cmp_ne_u32_e32 vcc_lo, 0x7f800000, v2
                                        ; implicit-def: $vgpr2
	s_wait_xcnt 0x0
	s_and_saveexec_b32 s22, vcc_lo
	s_xor_b32 s22, exec_lo, s22
; %bb.57:                               ;   in Loop: Header=BB148_4 Depth=1
	v_bfe_u32 v2, v40, 16, 1
	s_delay_alu instid0(VALU_DEP_1)
	v_add3_u32 v2, v40, v2, 0x7fff
                                        ; implicit-def: $vgpr40
; %bb.58:                               ;   in Loop: Header=BB148_4 Depth=1
	s_and_not1_saveexec_b32 s22, s22
; %bb.59:                               ;   in Loop: Header=BB148_4 Depth=1
	v_and_b32_e32 v2, 0xffff, v40
	v_or_b32_e32 v34, 0x10000, v40
	s_delay_alu instid0(VALU_DEP_2) | instskip(NEXT) | instid1(VALU_DEP_2)
	v_cmp_eq_u32_e32 vcc_lo, 0, v2
	v_cndmask_b32_e32 v2, v34, v40, vcc_lo
; %bb.60:                               ;   in Loop: Header=BB148_4 Depth=1
	s_or_b32 exec_lo, exec_lo, s22
	v_mul_f32_e32 v34, s2, v15
	v_lshl_add_u64 v[32:33], s[6:7], 1, v[32:33]
	s_delay_alu instid0(VALU_DEP_2) | instskip(NEXT) | instid1(VALU_DEP_2)
	v_and_b32_e32 v35, 0x7f800000, v34
	v_lshl_add_u64 v[32:33], v[6:7], 1, v[32:33]
	s_delay_alu instid0(VALU_DEP_2) | instskip(SKIP_3) | instid1(SALU_CYCLE_1)
	v_cmp_ne_u32_e32 vcc_lo, 0x7f800000, v35
	flat_store_d16_hi_b16 v[32:33], v2
                                        ; implicit-def: $vgpr35
	s_wait_xcnt 0x0
	s_and_saveexec_b32 s22, vcc_lo
	s_xor_b32 s22, exec_lo, s22
; %bb.61:                               ;   in Loop: Header=BB148_4 Depth=1
	v_bfe_u32 v2, v34, 16, 1
	s_delay_alu instid0(VALU_DEP_1)
	v_add3_u32 v35, v34, v2, 0x7fff
                                        ; implicit-def: $vgpr34
; %bb.62:                               ;   in Loop: Header=BB148_4 Depth=1
	s_and_not1_saveexec_b32 s22, s22
; %bb.63:                               ;   in Loop: Header=BB148_4 Depth=1
	v_and_b32_e32 v2, 0xffff, v34
	v_or_b32_e32 v35, 0x10000, v34
	s_delay_alu instid0(VALU_DEP_2) | instskip(NEXT) | instid1(VALU_DEP_2)
	v_cmp_eq_u32_e32 vcc_lo, 0, v2
	v_cndmask_b32_e32 v35, v35, v34, vcc_lo
; %bb.64:                               ;   in Loop: Header=BB148_4 Depth=1
	s_or_b32 exec_lo, exec_lo, s22
	v_mul_f32_e32 v2, s2, v12
	flat_store_d16_hi_b16 v[32:33], v35 offset:32
	v_and_b32_e32 v34, 0x7f800000, v2
	s_delay_alu instid0(VALU_DEP_1) | instskip(SKIP_2) | instid1(SALU_CYCLE_1)
	v_cmp_ne_u32_e32 vcc_lo, 0x7f800000, v34
                                        ; implicit-def: $vgpr34
	s_wait_xcnt 0x0
	s_and_saveexec_b32 s22, vcc_lo
	s_xor_b32 s22, exec_lo, s22
; %bb.65:                               ;   in Loop: Header=BB148_4 Depth=1
	v_bfe_u32 v34, v2, 16, 1
	s_delay_alu instid0(VALU_DEP_1)
	v_add3_u32 v34, v2, v34, 0x7fff
                                        ; implicit-def: $vgpr2
; %bb.66:                               ;   in Loop: Header=BB148_4 Depth=1
	s_and_not1_saveexec_b32 s22, s22
; %bb.67:                               ;   in Loop: Header=BB148_4 Depth=1
	v_and_b32_e32 v34, 0xffff, v2
	v_or_b32_e32 v35, 0x10000, v2
	s_delay_alu instid0(VALU_DEP_2) | instskip(NEXT) | instid1(VALU_DEP_2)
	v_cmp_eq_u32_e32 vcc_lo, 0, v34
	v_cndmask_b32_e32 v34, v35, v2, vcc_lo
; %bb.68:                               ;   in Loop: Header=BB148_4 Depth=1
	s_or_b32 exec_lo, exec_lo, s22
	v_mul_f32_e32 v2, s2, v13
	s_mov_b32 s22, exec_lo
	flat_store_d16_hi_b16 v[32:33], v34 offset:64
                                        ; implicit-def: $vgpr34
	v_and_b32_e32 v35, 0x7f800000, v2
	s_wait_xcnt 0x0
	s_delay_alu instid0(VALU_DEP_1)
	v_cmpx_ne_u32_e32 0x7f800000, v35
	s_xor_b32 s22, exec_lo, s22
; %bb.69:                               ;   in Loop: Header=BB148_4 Depth=1
	v_bfe_u32 v34, v2, 16, 1
	s_delay_alu instid0(VALU_DEP_1)
	v_add3_u32 v34, v2, v34, 0x7fff
                                        ; implicit-def: $vgpr2
; %bb.70:                               ;   in Loop: Header=BB148_4 Depth=1
	s_and_not1_saveexec_b32 s22, s22
; %bb.71:                               ;   in Loop: Header=BB148_4 Depth=1
	v_and_b32_e32 v34, 0xffff, v2
	v_or_b32_e32 v35, 0x10000, v2
	s_delay_alu instid0(VALU_DEP_2) | instskip(NEXT) | instid1(VALU_DEP_2)
	v_cmp_eq_u32_e32 vcc_lo, 0, v34
	v_cndmask_b32_e32 v34, v35, v2, vcc_lo
; %bb.72:                               ;   in Loop: Header=BB148_4 Depth=1
	s_or_b32 exec_lo, exec_lo, s22
	flat_store_d16_hi_b16 v[32:33], v34 offset:96
	s_branch .LBB148_3
.LBB148_73:                             ;   in Loop: Header=BB148_4 Depth=1
	s_cbranch_execz .LBB148_3
; %bb.74:                               ;   in Loop: Header=BB148_4 Depth=1
	v_add_nc_u64_e32 v[28:29], s[16:17], v[28:29]
	s_delay_alu instid0(VALU_DEP_1) | instskip(SKIP_1) | instid1(VALU_DEP_1)
	v_lshl_add_u64 v[28:29], v[4:5], 1, v[28:29]
	s_wait_xcnt 0x0
	v_lshl_add_u64 v[32:33], v[6:7], 1, v[28:29]
	flat_load_u16 v2, v[32:33]
	s_wait_loadcnt_dscnt 0x0
	v_lshlrev_b32_e32 v2, 16, v2
	s_delay_alu instid0(VALU_DEP_1) | instskip(NEXT) | instid1(VALU_DEP_1)
	v_mul_f32_e32 v2, s30, v2
	v_and_b32_e32 v34, 0x7f800000, v2
	s_delay_alu instid0(VALU_DEP_1) | instskip(SKIP_2) | instid1(SALU_CYCLE_1)
	v_cmp_ne_u32_e32 vcc_lo, 0x7f800000, v34
                                        ; implicit-def: $vgpr34
	s_wait_xcnt 0x0
	s_and_saveexec_b32 s22, vcc_lo
	s_xor_b32 s22, exec_lo, s22
; %bb.75:                               ;   in Loop: Header=BB148_4 Depth=1
	v_bfe_u32 v34, v2, 16, 1
	s_delay_alu instid0(VALU_DEP_1)
	v_add3_u32 v34, v2, v34, 0x7fff
                                        ; implicit-def: $vgpr2
; %bb.76:                               ;   in Loop: Header=BB148_4 Depth=1
	s_and_not1_saveexec_b32 s22, s22
; %bb.77:                               ;   in Loop: Header=BB148_4 Depth=1
	v_and_b32_e32 v34, 0xffff, v2
	v_or_b32_e32 v35, 0x10000, v2
	s_delay_alu instid0(VALU_DEP_2) | instskip(NEXT) | instid1(VALU_DEP_2)
	v_cmp_eq_u32_e32 vcc_lo, 0, v34
	v_cndmask_b32_e32 v34, v35, v2, vcc_lo
; %bb.78:                               ;   in Loop: Header=BB148_4 Depth=1
	s_or_b32 exec_lo, exec_lo, s22
	s_delay_alu instid0(VALU_DEP_1) | instskip(NEXT) | instid1(VALU_DEP_1)
	v_fma_mix_f32_bf16 v2, s2, v26, v34 op_sel:[0,0,1] op_sel_hi:[0,0,1]
	v_and_b32_e32 v26, 0x7f800000, v2
	s_delay_alu instid0(VALU_DEP_1) | instskip(SKIP_1) | instid1(SALU_CYCLE_1)
	v_cmp_ne_u32_e32 vcc_lo, 0x7f800000, v26
                                        ; implicit-def: $vgpr26
	s_and_saveexec_b32 s22, vcc_lo
	s_xor_b32 s22, exec_lo, s22
; %bb.79:                               ;   in Loop: Header=BB148_4 Depth=1
	v_bfe_u32 v26, v2, 16, 1
	s_delay_alu instid0(VALU_DEP_1)
	v_add3_u32 v26, v2, v26, 0x7fff
                                        ; implicit-def: $vgpr2
; %bb.80:                               ;   in Loop: Header=BB148_4 Depth=1
	s_and_not1_saveexec_b32 s22, s22
; %bb.81:                               ;   in Loop: Header=BB148_4 Depth=1
	v_and_b32_e32 v26, 0xffff, v2
	v_or_b32_e32 v34, 0x10000, v2
	s_delay_alu instid0(VALU_DEP_2) | instskip(NEXT) | instid1(VALU_DEP_2)
	v_cmp_eq_u32_e32 vcc_lo, 0, v26
	v_cndmask_b32_e32 v26, v34, v2, vcc_lo
; %bb.82:                               ;   in Loop: Header=BB148_4 Depth=1
	s_or_b32 exec_lo, exec_lo, s22
	v_lshl_add_u64 v[30:31], v[0:1], 1, v[30:31]
	s_delay_alu instid0(VALU_DEP_1) | instskip(SKIP_4) | instid1(VALU_DEP_1)
	v_lshl_add_u64 v[34:35], v[6:7], 1, v[30:31]
	flat_store_d16_hi_b16 v[34:35], v26
	flat_load_u16 v2, v[32:33] offset:32
	s_wait_loadcnt_dscnt 0x0
	v_lshlrev_b32_e32 v2, 16, v2
	v_mul_f32_e32 v2, s30, v2
	s_wait_xcnt 0x1
	s_delay_alu instid0(VALU_DEP_1) | instskip(NEXT) | instid1(VALU_DEP_1)
	v_and_b32_e32 v26, 0x7f800000, v2
	v_cmp_ne_u32_e32 vcc_lo, 0x7f800000, v26
                                        ; implicit-def: $vgpr26
	s_wait_xcnt 0x0
	s_and_saveexec_b32 s22, vcc_lo
	s_delay_alu instid0(SALU_CYCLE_1)
	s_xor_b32 s22, exec_lo, s22
; %bb.83:                               ;   in Loop: Header=BB148_4 Depth=1
	v_bfe_u32 v26, v2, 16, 1
	s_delay_alu instid0(VALU_DEP_1)
	v_add3_u32 v26, v2, v26, 0x7fff
                                        ; implicit-def: $vgpr2
; %bb.84:                               ;   in Loop: Header=BB148_4 Depth=1
	s_and_not1_saveexec_b32 s22, s22
; %bb.85:                               ;   in Loop: Header=BB148_4 Depth=1
	v_and_b32_e32 v26, 0xffff, v2
	v_or_b32_e32 v40, 0x10000, v2
	s_delay_alu instid0(VALU_DEP_2) | instskip(NEXT) | instid1(VALU_DEP_2)
	v_cmp_eq_u32_e32 vcc_lo, 0, v26
	v_cndmask_b32_e32 v26, v40, v2, vcc_lo
; %bb.86:                               ;   in Loop: Header=BB148_4 Depth=1
	s_or_b32 exec_lo, exec_lo, s22
	s_delay_alu instid0(VALU_DEP_1) | instskip(NEXT) | instid1(VALU_DEP_1)
	v_fma_mix_f32_bf16 v2, s2, v27, v26 op_sel:[0,0,1] op_sel_hi:[0,0,1]
	v_and_b32_e32 v26, 0x7f800000, v2
	s_delay_alu instid0(VALU_DEP_1) | instskip(SKIP_1) | instid1(SALU_CYCLE_1)
	v_cmp_ne_u32_e32 vcc_lo, 0x7f800000, v26
                                        ; implicit-def: $vgpr26
	s_and_saveexec_b32 s22, vcc_lo
	s_xor_b32 s22, exec_lo, s22
; %bb.87:                               ;   in Loop: Header=BB148_4 Depth=1
	v_bfe_u32 v26, v2, 16, 1
	s_delay_alu instid0(VALU_DEP_1)
	v_add3_u32 v26, v2, v26, 0x7fff
                                        ; implicit-def: $vgpr2
; %bb.88:                               ;   in Loop: Header=BB148_4 Depth=1
	s_and_not1_saveexec_b32 s22, s22
; %bb.89:                               ;   in Loop: Header=BB148_4 Depth=1
	v_and_b32_e32 v26, 0xffff, v2
	v_or_b32_e32 v27, 0x10000, v2
	s_delay_alu instid0(VALU_DEP_2) | instskip(NEXT) | instid1(VALU_DEP_2)
	v_cmp_eq_u32_e32 vcc_lo, 0, v26
	v_cndmask_b32_e32 v26, v27, v2, vcc_lo
; %bb.90:                               ;   in Loop: Header=BB148_4 Depth=1
	s_or_b32 exec_lo, exec_lo, s22
	flat_store_d16_hi_b16 v[34:35], v26 offset:32
	flat_load_u16 v2, v[32:33] offset:64
	s_wait_loadcnt_dscnt 0x0
	v_lshlrev_b32_e32 v2, 16, v2
	s_delay_alu instid0(VALU_DEP_1) | instskip(SKIP_1) | instid1(VALU_DEP_1)
	v_mul_f32_e32 v2, s30, v2
	s_wait_xcnt 0x1
	v_and_b32_e32 v26, 0x7f800000, v2
	s_delay_alu instid0(VALU_DEP_1) | instskip(SKIP_2) | instid1(SALU_CYCLE_1)
	v_cmp_ne_u32_e32 vcc_lo, 0x7f800000, v26
                                        ; implicit-def: $vgpr26
	s_wait_xcnt 0x0
	s_and_saveexec_b32 s22, vcc_lo
	s_xor_b32 s22, exec_lo, s22
; %bb.91:                               ;   in Loop: Header=BB148_4 Depth=1
	v_bfe_u32 v26, v2, 16, 1
	s_delay_alu instid0(VALU_DEP_1)
	v_add3_u32 v26, v2, v26, 0x7fff
                                        ; implicit-def: $vgpr2
; %bb.92:                               ;   in Loop: Header=BB148_4 Depth=1
	s_and_not1_saveexec_b32 s22, s22
; %bb.93:                               ;   in Loop: Header=BB148_4 Depth=1
	v_and_b32_e32 v26, 0xffff, v2
	v_or_b32_e32 v27, 0x10000, v2
	s_delay_alu instid0(VALU_DEP_2) | instskip(NEXT) | instid1(VALU_DEP_2)
	v_cmp_eq_u32_e32 vcc_lo, 0, v26
	v_cndmask_b32_e32 v26, v27, v2, vcc_lo
; %bb.94:                               ;   in Loop: Header=BB148_4 Depth=1
	s_or_b32 exec_lo, exec_lo, s22
	s_delay_alu instid0(VALU_DEP_1) | instskip(NEXT) | instid1(VALU_DEP_1)
	v_fma_mix_f32_bf16 v2, s2, v24, v26 op_sel:[0,0,1] op_sel_hi:[0,0,1]
	v_and_b32_e32 v24, 0x7f800000, v2
	s_delay_alu instid0(VALU_DEP_1) | instskip(SKIP_1) | instid1(SALU_CYCLE_1)
	v_cmp_ne_u32_e32 vcc_lo, 0x7f800000, v24
                                        ; implicit-def: $vgpr24
	s_and_saveexec_b32 s22, vcc_lo
	s_xor_b32 s22, exec_lo, s22
; %bb.95:                               ;   in Loop: Header=BB148_4 Depth=1
	v_bfe_u32 v24, v2, 16, 1
	s_delay_alu instid0(VALU_DEP_1)
	v_add3_u32 v24, v2, v24, 0x7fff
                                        ; implicit-def: $vgpr2
; %bb.96:                               ;   in Loop: Header=BB148_4 Depth=1
	s_and_not1_saveexec_b32 s22, s22
; %bb.97:                               ;   in Loop: Header=BB148_4 Depth=1
	v_and_b32_e32 v24, 0xffff, v2
	v_or_b32_e32 v26, 0x10000, v2
	s_delay_alu instid0(VALU_DEP_2) | instskip(NEXT) | instid1(VALU_DEP_2)
	v_cmp_eq_u32_e32 vcc_lo, 0, v24
	v_cndmask_b32_e32 v24, v26, v2, vcc_lo
; %bb.98:                               ;   in Loop: Header=BB148_4 Depth=1
	s_or_b32 exec_lo, exec_lo, s22
	flat_store_d16_hi_b16 v[34:35], v24 offset:64
	flat_load_u16 v2, v[32:33] offset:96
	s_wait_loadcnt_dscnt 0x0
	v_lshlrev_b32_e32 v2, 16, v2
	s_delay_alu instid0(VALU_DEP_1) | instskip(SKIP_1) | instid1(VALU_DEP_1)
	v_mul_f32_e32 v2, s30, v2
	s_wait_xcnt 0x1
	v_and_b32_e32 v24, 0x7f800000, v2
	s_delay_alu instid0(VALU_DEP_1) | instskip(SKIP_2) | instid1(SALU_CYCLE_1)
	v_cmp_ne_u32_e32 vcc_lo, 0x7f800000, v24
                                        ; implicit-def: $vgpr24
	s_wait_xcnt 0x0
	s_and_saveexec_b32 s22, vcc_lo
	s_xor_b32 s22, exec_lo, s22
; %bb.99:                               ;   in Loop: Header=BB148_4 Depth=1
	v_bfe_u32 v24, v2, 16, 1
	s_delay_alu instid0(VALU_DEP_1)
	v_add3_u32 v24, v2, v24, 0x7fff
                                        ; implicit-def: $vgpr2
; %bb.100:                              ;   in Loop: Header=BB148_4 Depth=1
	s_and_not1_saveexec_b32 s22, s22
; %bb.101:                              ;   in Loop: Header=BB148_4 Depth=1
	v_and_b32_e32 v24, 0xffff, v2
	v_or_b32_e32 v26, 0x10000, v2
	s_delay_alu instid0(VALU_DEP_2) | instskip(NEXT) | instid1(VALU_DEP_2)
	v_cmp_eq_u32_e32 vcc_lo, 0, v24
	v_cndmask_b32_e32 v24, v26, v2, vcc_lo
; %bb.102:                              ;   in Loop: Header=BB148_4 Depth=1
	s_or_b32 exec_lo, exec_lo, s22
	s_delay_alu instid0(VALU_DEP_1) | instskip(SKIP_1) | instid1(VALU_DEP_1)
	v_fma_mix_f32_bf16 v2, s2, v25, v24 op_sel:[0,0,1] op_sel_hi:[0,0,1]
	s_mov_b32 s22, exec_lo
                                        ; implicit-def: $vgpr26
	v_and_b32_e32 v24, 0x7f800000, v2
	s_delay_alu instid0(VALU_DEP_1)
	v_cmpx_ne_u32_e32 0x7f800000, v24
	s_xor_b32 s22, exec_lo, s22
; %bb.103:                              ;   in Loop: Header=BB148_4 Depth=1
	v_bfe_u32 v24, v2, 16, 1
	s_delay_alu instid0(VALU_DEP_1)
	v_add3_u32 v26, v2, v24, 0x7fff
                                        ; implicit-def: $vgpr2
; %bb.104:                              ;   in Loop: Header=BB148_4 Depth=1
	s_and_not1_saveexec_b32 s22, s22
; %bb.105:                              ;   in Loop: Header=BB148_4 Depth=1
	v_and_b32_e32 v24, 0xffff, v2
	v_or_b32_e32 v25, 0x10000, v2
	s_delay_alu instid0(VALU_DEP_2) | instskip(NEXT) | instid1(VALU_DEP_2)
	v_cmp_eq_u32_e32 vcc_lo, 0, v24
	v_cndmask_b32_e32 v26, v25, v2, vcc_lo
; %bb.106:                              ;   in Loop: Header=BB148_4 Depth=1
	s_or_b32 exec_lo, exec_lo, s22
	v_lshl_add_u64 v[24:25], s[8:9], 1, v[28:29]
	flat_store_d16_hi_b16 v[34:35], v26 offset:96
	v_lshl_add_u64 v[28:29], v[6:7], 1, v[24:25]
	flat_load_u16 v2, v[28:29]
	s_wait_loadcnt_dscnt 0x0
	v_lshlrev_b32_e32 v2, 16, v2
	s_delay_alu instid0(VALU_DEP_1) | instskip(SKIP_1) | instid1(VALU_DEP_1)
	v_mul_f32_e32 v2, s30, v2
	s_wait_xcnt 0x1
	v_and_b32_e32 v26, 0x7f800000, v2
	s_delay_alu instid0(VALU_DEP_1) | instskip(SKIP_2) | instid1(SALU_CYCLE_1)
	v_cmp_ne_u32_e32 vcc_lo, 0x7f800000, v26
                                        ; implicit-def: $vgpr26
	s_wait_xcnt 0x0
	s_and_saveexec_b32 s22, vcc_lo
	s_xor_b32 s22, exec_lo, s22
; %bb.107:                              ;   in Loop: Header=BB148_4 Depth=1
	v_bfe_u32 v26, v2, 16, 1
	s_delay_alu instid0(VALU_DEP_1)
	v_add3_u32 v26, v2, v26, 0x7fff
                                        ; implicit-def: $vgpr2
; %bb.108:                              ;   in Loop: Header=BB148_4 Depth=1
	s_and_not1_saveexec_b32 s22, s22
; %bb.109:                              ;   in Loop: Header=BB148_4 Depth=1
	v_and_b32_e32 v26, 0xffff, v2
	v_or_b32_e32 v27, 0x10000, v2
	s_delay_alu instid0(VALU_DEP_2) | instskip(NEXT) | instid1(VALU_DEP_2)
	v_cmp_eq_u32_e32 vcc_lo, 0, v26
	v_cndmask_b32_e32 v26, v27, v2, vcc_lo
; %bb.110:                              ;   in Loop: Header=BB148_4 Depth=1
	s_or_b32 exec_lo, exec_lo, s22
	s_delay_alu instid0(VALU_DEP_1) | instskip(NEXT) | instid1(VALU_DEP_1)
	v_fma_mix_f32_bf16 v2, s2, v22, v26 op_sel:[0,0,1] op_sel_hi:[0,0,1]
	v_and_b32_e32 v22, 0x7f800000, v2
	s_delay_alu instid0(VALU_DEP_1) | instskip(SKIP_1) | instid1(SALU_CYCLE_1)
	v_cmp_ne_u32_e32 vcc_lo, 0x7f800000, v22
                                        ; implicit-def: $vgpr22
	s_and_saveexec_b32 s22, vcc_lo
	s_xor_b32 s22, exec_lo, s22
; %bb.111:                              ;   in Loop: Header=BB148_4 Depth=1
	v_bfe_u32 v22, v2, 16, 1
	s_delay_alu instid0(VALU_DEP_1)
	v_add3_u32 v22, v2, v22, 0x7fff
                                        ; implicit-def: $vgpr2
; %bb.112:                              ;   in Loop: Header=BB148_4 Depth=1
	s_and_not1_saveexec_b32 s22, s22
; %bb.113:                              ;   in Loop: Header=BB148_4 Depth=1
	v_and_b32_e32 v22, 0xffff, v2
	v_or_b32_e32 v26, 0x10000, v2
	s_delay_alu instid0(VALU_DEP_2) | instskip(NEXT) | instid1(VALU_DEP_2)
	v_cmp_eq_u32_e32 vcc_lo, 0, v22
	v_cndmask_b32_e32 v22, v26, v2, vcc_lo
; %bb.114:                              ;   in Loop: Header=BB148_4 Depth=1
	s_or_b32 exec_lo, exec_lo, s22
	v_lshl_add_u64 v[26:27], s[6:7], 1, v[30:31]
	s_delay_alu instid0(VALU_DEP_1) | instskip(SKIP_4) | instid1(VALU_DEP_1)
	v_lshl_add_u64 v[30:31], v[6:7], 1, v[26:27]
	flat_store_d16_hi_b16 v[30:31], v22
	flat_load_u16 v2, v[28:29] offset:32
	s_wait_loadcnt_dscnt 0x0
	v_lshlrev_b32_e32 v2, 16, v2
	v_mul_f32_e32 v2, s30, v2
	s_wait_xcnt 0x1
	s_delay_alu instid0(VALU_DEP_1) | instskip(NEXT) | instid1(VALU_DEP_1)
	v_and_b32_e32 v22, 0x7f800000, v2
	v_cmp_ne_u32_e32 vcc_lo, 0x7f800000, v22
                                        ; implicit-def: $vgpr22
	s_wait_xcnt 0x0
	s_and_saveexec_b32 s22, vcc_lo
	s_delay_alu instid0(SALU_CYCLE_1)
	s_xor_b32 s22, exec_lo, s22
; %bb.115:                              ;   in Loop: Header=BB148_4 Depth=1
	v_bfe_u32 v22, v2, 16, 1
	s_delay_alu instid0(VALU_DEP_1)
	v_add3_u32 v22, v2, v22, 0x7fff
                                        ; implicit-def: $vgpr2
; %bb.116:                              ;   in Loop: Header=BB148_4 Depth=1
	s_and_not1_saveexec_b32 s22, s22
; %bb.117:                              ;   in Loop: Header=BB148_4 Depth=1
	v_and_b32_e32 v22, 0xffff, v2
	v_or_b32_e32 v32, 0x10000, v2
	s_delay_alu instid0(VALU_DEP_2) | instskip(NEXT) | instid1(VALU_DEP_2)
	v_cmp_eq_u32_e32 vcc_lo, 0, v22
	v_cndmask_b32_e32 v22, v32, v2, vcc_lo
; %bb.118:                              ;   in Loop: Header=BB148_4 Depth=1
	s_or_b32 exec_lo, exec_lo, s22
	s_delay_alu instid0(VALU_DEP_1) | instskip(NEXT) | instid1(VALU_DEP_1)
	v_fma_mix_f32_bf16 v2, s2, v23, v22 op_sel:[0,0,1] op_sel_hi:[0,0,1]
	v_and_b32_e32 v22, 0x7f800000, v2
	s_delay_alu instid0(VALU_DEP_1) | instskip(SKIP_1) | instid1(SALU_CYCLE_1)
	v_cmp_ne_u32_e32 vcc_lo, 0x7f800000, v22
                                        ; implicit-def: $vgpr22
	s_and_saveexec_b32 s22, vcc_lo
	s_xor_b32 s22, exec_lo, s22
; %bb.119:                              ;   in Loop: Header=BB148_4 Depth=1
	v_bfe_u32 v22, v2, 16, 1
	s_delay_alu instid0(VALU_DEP_1)
	v_add3_u32 v22, v2, v22, 0x7fff
                                        ; implicit-def: $vgpr2
; %bb.120:                              ;   in Loop: Header=BB148_4 Depth=1
	s_and_not1_saveexec_b32 s22, s22
; %bb.121:                              ;   in Loop: Header=BB148_4 Depth=1
	v_and_b32_e32 v22, 0xffff, v2
	v_or_b32_e32 v23, 0x10000, v2
	s_delay_alu instid0(VALU_DEP_2) | instskip(NEXT) | instid1(VALU_DEP_2)
	v_cmp_eq_u32_e32 vcc_lo, 0, v22
	v_cndmask_b32_e32 v22, v23, v2, vcc_lo
; %bb.122:                              ;   in Loop: Header=BB148_4 Depth=1
	s_or_b32 exec_lo, exec_lo, s22
	flat_store_d16_hi_b16 v[30:31], v22 offset:32
	flat_load_u16 v2, v[28:29] offset:64
	s_wait_loadcnt_dscnt 0x0
	v_lshlrev_b32_e32 v2, 16, v2
	s_delay_alu instid0(VALU_DEP_1) | instskip(SKIP_1) | instid1(VALU_DEP_1)
	v_mul_f32_e32 v2, s30, v2
	s_wait_xcnt 0x1
	v_and_b32_e32 v22, 0x7f800000, v2
	s_delay_alu instid0(VALU_DEP_1) | instskip(SKIP_2) | instid1(SALU_CYCLE_1)
	v_cmp_ne_u32_e32 vcc_lo, 0x7f800000, v22
                                        ; implicit-def: $vgpr22
	s_wait_xcnt 0x0
	s_and_saveexec_b32 s22, vcc_lo
	s_xor_b32 s22, exec_lo, s22
; %bb.123:                              ;   in Loop: Header=BB148_4 Depth=1
	v_bfe_u32 v22, v2, 16, 1
	s_delay_alu instid0(VALU_DEP_1)
	v_add3_u32 v22, v2, v22, 0x7fff
                                        ; implicit-def: $vgpr2
; %bb.124:                              ;   in Loop: Header=BB148_4 Depth=1
	s_and_not1_saveexec_b32 s22, s22
; %bb.125:                              ;   in Loop: Header=BB148_4 Depth=1
	v_and_b32_e32 v22, 0xffff, v2
	v_or_b32_e32 v23, 0x10000, v2
	s_delay_alu instid0(VALU_DEP_2) | instskip(NEXT) | instid1(VALU_DEP_2)
	v_cmp_eq_u32_e32 vcc_lo, 0, v22
	v_cndmask_b32_e32 v22, v23, v2, vcc_lo
; %bb.126:                              ;   in Loop: Header=BB148_4 Depth=1
	s_or_b32 exec_lo, exec_lo, s22
	s_delay_alu instid0(VALU_DEP_1) | instskip(NEXT) | instid1(VALU_DEP_1)
	v_fma_mix_f32_bf16 v2, s2, v20, v22 op_sel:[0,0,1] op_sel_hi:[0,0,1]
	v_and_b32_e32 v20, 0x7f800000, v2
	s_delay_alu instid0(VALU_DEP_1) | instskip(SKIP_1) | instid1(SALU_CYCLE_1)
	v_cmp_ne_u32_e32 vcc_lo, 0x7f800000, v20
                                        ; implicit-def: $vgpr20
	s_and_saveexec_b32 s22, vcc_lo
	s_xor_b32 s22, exec_lo, s22
; %bb.127:                              ;   in Loop: Header=BB148_4 Depth=1
	v_bfe_u32 v20, v2, 16, 1
	s_delay_alu instid0(VALU_DEP_1)
	v_add3_u32 v20, v2, v20, 0x7fff
                                        ; implicit-def: $vgpr2
; %bb.128:                              ;   in Loop: Header=BB148_4 Depth=1
	s_and_not1_saveexec_b32 s22, s22
; %bb.129:                              ;   in Loop: Header=BB148_4 Depth=1
	v_and_b32_e32 v20, 0xffff, v2
	v_or_b32_e32 v22, 0x10000, v2
	s_delay_alu instid0(VALU_DEP_2) | instskip(NEXT) | instid1(VALU_DEP_2)
	v_cmp_eq_u32_e32 vcc_lo, 0, v20
	v_cndmask_b32_e32 v20, v22, v2, vcc_lo
; %bb.130:                              ;   in Loop: Header=BB148_4 Depth=1
	s_or_b32 exec_lo, exec_lo, s22
	flat_store_d16_hi_b16 v[30:31], v20 offset:64
	flat_load_u16 v2, v[28:29] offset:96
	s_wait_loadcnt_dscnt 0x0
	v_lshlrev_b32_e32 v2, 16, v2
	s_delay_alu instid0(VALU_DEP_1) | instskip(SKIP_1) | instid1(VALU_DEP_1)
	v_mul_f32_e32 v2, s30, v2
	s_wait_xcnt 0x1
	v_and_b32_e32 v20, 0x7f800000, v2
	s_delay_alu instid0(VALU_DEP_1) | instskip(SKIP_2) | instid1(SALU_CYCLE_1)
	v_cmp_ne_u32_e32 vcc_lo, 0x7f800000, v20
                                        ; implicit-def: $vgpr20
	s_wait_xcnt 0x0
	s_and_saveexec_b32 s22, vcc_lo
	s_xor_b32 s22, exec_lo, s22
; %bb.131:                              ;   in Loop: Header=BB148_4 Depth=1
	v_bfe_u32 v20, v2, 16, 1
	s_delay_alu instid0(VALU_DEP_1)
	v_add3_u32 v20, v2, v20, 0x7fff
                                        ; implicit-def: $vgpr2
; %bb.132:                              ;   in Loop: Header=BB148_4 Depth=1
	s_and_not1_saveexec_b32 s22, s22
; %bb.133:                              ;   in Loop: Header=BB148_4 Depth=1
	v_and_b32_e32 v20, 0xffff, v2
	v_or_b32_e32 v22, 0x10000, v2
	s_delay_alu instid0(VALU_DEP_2) | instskip(NEXT) | instid1(VALU_DEP_2)
	v_cmp_eq_u32_e32 vcc_lo, 0, v20
	v_cndmask_b32_e32 v20, v22, v2, vcc_lo
; %bb.134:                              ;   in Loop: Header=BB148_4 Depth=1
	s_or_b32 exec_lo, exec_lo, s22
	s_delay_alu instid0(VALU_DEP_1) | instskip(SKIP_1) | instid1(VALU_DEP_1)
	v_fma_mix_f32_bf16 v2, s2, v21, v20 op_sel:[0,0,1] op_sel_hi:[0,0,1]
	s_mov_b32 s22, exec_lo
                                        ; implicit-def: $vgpr22
	v_and_b32_e32 v20, 0x7f800000, v2
	s_delay_alu instid0(VALU_DEP_1)
	v_cmpx_ne_u32_e32 0x7f800000, v20
	s_xor_b32 s22, exec_lo, s22
; %bb.135:                              ;   in Loop: Header=BB148_4 Depth=1
	v_bfe_u32 v20, v2, 16, 1
	s_delay_alu instid0(VALU_DEP_1)
	v_add3_u32 v22, v2, v20, 0x7fff
                                        ; implicit-def: $vgpr2
; %bb.136:                              ;   in Loop: Header=BB148_4 Depth=1
	s_and_not1_saveexec_b32 s22, s22
; %bb.137:                              ;   in Loop: Header=BB148_4 Depth=1
	v_and_b32_e32 v20, 0xffff, v2
	v_or_b32_e32 v21, 0x10000, v2
	s_delay_alu instid0(VALU_DEP_2) | instskip(NEXT) | instid1(VALU_DEP_2)
	v_cmp_eq_u32_e32 vcc_lo, 0, v20
	v_cndmask_b32_e32 v22, v21, v2, vcc_lo
; %bb.138:                              ;   in Loop: Header=BB148_4 Depth=1
	s_or_b32 exec_lo, exec_lo, s22
	v_lshl_add_u64 v[20:21], s[8:9], 1, v[24:25]
	flat_store_d16_hi_b16 v[30:31], v22 offset:96
	v_lshl_add_u64 v[24:25], v[6:7], 1, v[20:21]
	flat_load_u16 v2, v[24:25]
	s_wait_loadcnt_dscnt 0x0
	v_lshlrev_b32_e32 v2, 16, v2
	s_delay_alu instid0(VALU_DEP_1) | instskip(SKIP_1) | instid1(VALU_DEP_1)
	v_mul_f32_e32 v2, s30, v2
	s_wait_xcnt 0x1
	v_and_b32_e32 v22, 0x7f800000, v2
	s_delay_alu instid0(VALU_DEP_1) | instskip(SKIP_2) | instid1(SALU_CYCLE_1)
	v_cmp_ne_u32_e32 vcc_lo, 0x7f800000, v22
                                        ; implicit-def: $vgpr22
	s_wait_xcnt 0x0
	s_and_saveexec_b32 s22, vcc_lo
	s_xor_b32 s22, exec_lo, s22
; %bb.139:                              ;   in Loop: Header=BB148_4 Depth=1
	v_bfe_u32 v22, v2, 16, 1
	s_delay_alu instid0(VALU_DEP_1)
	v_add3_u32 v22, v2, v22, 0x7fff
                                        ; implicit-def: $vgpr2
; %bb.140:                              ;   in Loop: Header=BB148_4 Depth=1
	s_and_not1_saveexec_b32 s22, s22
; %bb.141:                              ;   in Loop: Header=BB148_4 Depth=1
	v_and_b32_e32 v22, 0xffff, v2
	v_or_b32_e32 v23, 0x10000, v2
	s_delay_alu instid0(VALU_DEP_2) | instskip(NEXT) | instid1(VALU_DEP_2)
	v_cmp_eq_u32_e32 vcc_lo, 0, v22
	v_cndmask_b32_e32 v22, v23, v2, vcc_lo
; %bb.142:                              ;   in Loop: Header=BB148_4 Depth=1
	s_or_b32 exec_lo, exec_lo, s22
	s_delay_alu instid0(VALU_DEP_1) | instskip(NEXT) | instid1(VALU_DEP_1)
	v_fma_mix_f32_bf16 v2, s2, v18, v22 op_sel:[0,0,1] op_sel_hi:[0,0,1]
	v_and_b32_e32 v18, 0x7f800000, v2
	s_delay_alu instid0(VALU_DEP_1) | instskip(SKIP_1) | instid1(SALU_CYCLE_1)
	v_cmp_ne_u32_e32 vcc_lo, 0x7f800000, v18
                                        ; implicit-def: $vgpr18
	s_and_saveexec_b32 s22, vcc_lo
	s_xor_b32 s22, exec_lo, s22
; %bb.143:                              ;   in Loop: Header=BB148_4 Depth=1
	v_bfe_u32 v18, v2, 16, 1
	s_delay_alu instid0(VALU_DEP_1)
	v_add3_u32 v18, v2, v18, 0x7fff
                                        ; implicit-def: $vgpr2
; %bb.144:                              ;   in Loop: Header=BB148_4 Depth=1
	s_and_not1_saveexec_b32 s22, s22
; %bb.145:                              ;   in Loop: Header=BB148_4 Depth=1
	v_and_b32_e32 v18, 0xffff, v2
	v_or_b32_e32 v22, 0x10000, v2
	s_delay_alu instid0(VALU_DEP_2) | instskip(NEXT) | instid1(VALU_DEP_2)
	v_cmp_eq_u32_e32 vcc_lo, 0, v18
	v_cndmask_b32_e32 v18, v22, v2, vcc_lo
; %bb.146:                              ;   in Loop: Header=BB148_4 Depth=1
	s_or_b32 exec_lo, exec_lo, s22
	v_lshl_add_u64 v[22:23], s[6:7], 1, v[26:27]
	s_delay_alu instid0(VALU_DEP_1) | instskip(SKIP_4) | instid1(VALU_DEP_1)
	v_lshl_add_u64 v[26:27], v[6:7], 1, v[22:23]
	flat_store_d16_hi_b16 v[26:27], v18
	flat_load_u16 v2, v[24:25] offset:32
	s_wait_loadcnt_dscnt 0x0
	v_lshlrev_b32_e32 v2, 16, v2
	v_mul_f32_e32 v2, s30, v2
	s_wait_xcnt 0x1
	s_delay_alu instid0(VALU_DEP_1) | instskip(NEXT) | instid1(VALU_DEP_1)
	v_and_b32_e32 v18, 0x7f800000, v2
	v_cmp_ne_u32_e32 vcc_lo, 0x7f800000, v18
                                        ; implicit-def: $vgpr18
	s_wait_xcnt 0x0
	s_and_saveexec_b32 s22, vcc_lo
	s_delay_alu instid0(SALU_CYCLE_1)
	s_xor_b32 s22, exec_lo, s22
; %bb.147:                              ;   in Loop: Header=BB148_4 Depth=1
	v_bfe_u32 v18, v2, 16, 1
	s_delay_alu instid0(VALU_DEP_1)
	v_add3_u32 v18, v2, v18, 0x7fff
                                        ; implicit-def: $vgpr2
; %bb.148:                              ;   in Loop: Header=BB148_4 Depth=1
	s_and_not1_saveexec_b32 s22, s22
; %bb.149:                              ;   in Loop: Header=BB148_4 Depth=1
	v_and_b32_e32 v18, 0xffff, v2
	v_or_b32_e32 v28, 0x10000, v2
	s_delay_alu instid0(VALU_DEP_2) | instskip(NEXT) | instid1(VALU_DEP_2)
	v_cmp_eq_u32_e32 vcc_lo, 0, v18
	v_cndmask_b32_e32 v18, v28, v2, vcc_lo
; %bb.150:                              ;   in Loop: Header=BB148_4 Depth=1
	s_or_b32 exec_lo, exec_lo, s22
	s_delay_alu instid0(VALU_DEP_1) | instskip(NEXT) | instid1(VALU_DEP_1)
	v_fma_mix_f32_bf16 v2, s2, v19, v18 op_sel:[0,0,1] op_sel_hi:[0,0,1]
	v_and_b32_e32 v18, 0x7f800000, v2
	s_delay_alu instid0(VALU_DEP_1) | instskip(SKIP_1) | instid1(SALU_CYCLE_1)
	v_cmp_ne_u32_e32 vcc_lo, 0x7f800000, v18
                                        ; implicit-def: $vgpr18
	s_and_saveexec_b32 s22, vcc_lo
	s_xor_b32 s22, exec_lo, s22
; %bb.151:                              ;   in Loop: Header=BB148_4 Depth=1
	v_bfe_u32 v18, v2, 16, 1
	s_delay_alu instid0(VALU_DEP_1)
	v_add3_u32 v18, v2, v18, 0x7fff
                                        ; implicit-def: $vgpr2
; %bb.152:                              ;   in Loop: Header=BB148_4 Depth=1
	s_and_not1_saveexec_b32 s22, s22
; %bb.153:                              ;   in Loop: Header=BB148_4 Depth=1
	v_and_b32_e32 v18, 0xffff, v2
	v_or_b32_e32 v19, 0x10000, v2
	s_delay_alu instid0(VALU_DEP_2) | instskip(NEXT) | instid1(VALU_DEP_2)
	v_cmp_eq_u32_e32 vcc_lo, 0, v18
	v_cndmask_b32_e32 v18, v19, v2, vcc_lo
; %bb.154:                              ;   in Loop: Header=BB148_4 Depth=1
	s_or_b32 exec_lo, exec_lo, s22
	flat_store_d16_hi_b16 v[26:27], v18 offset:32
	flat_load_u16 v2, v[24:25] offset:64
	s_wait_loadcnt_dscnt 0x0
	v_lshlrev_b32_e32 v2, 16, v2
	s_delay_alu instid0(VALU_DEP_1) | instskip(SKIP_1) | instid1(VALU_DEP_1)
	v_mul_f32_e32 v2, s30, v2
	s_wait_xcnt 0x1
	v_and_b32_e32 v18, 0x7f800000, v2
	s_delay_alu instid0(VALU_DEP_1) | instskip(SKIP_2) | instid1(SALU_CYCLE_1)
	v_cmp_ne_u32_e32 vcc_lo, 0x7f800000, v18
                                        ; implicit-def: $vgpr18
	s_wait_xcnt 0x0
	s_and_saveexec_b32 s22, vcc_lo
	s_xor_b32 s22, exec_lo, s22
; %bb.155:                              ;   in Loop: Header=BB148_4 Depth=1
	v_bfe_u32 v18, v2, 16, 1
	s_delay_alu instid0(VALU_DEP_1)
	v_add3_u32 v18, v2, v18, 0x7fff
                                        ; implicit-def: $vgpr2
; %bb.156:                              ;   in Loop: Header=BB148_4 Depth=1
	s_and_not1_saveexec_b32 s22, s22
; %bb.157:                              ;   in Loop: Header=BB148_4 Depth=1
	v_and_b32_e32 v18, 0xffff, v2
	v_or_b32_e32 v19, 0x10000, v2
	s_delay_alu instid0(VALU_DEP_2) | instskip(NEXT) | instid1(VALU_DEP_2)
	v_cmp_eq_u32_e32 vcc_lo, 0, v18
	v_cndmask_b32_e32 v18, v19, v2, vcc_lo
; %bb.158:                              ;   in Loop: Header=BB148_4 Depth=1
	s_or_b32 exec_lo, exec_lo, s22
	s_delay_alu instid0(VALU_DEP_1) | instskip(NEXT) | instid1(VALU_DEP_1)
	v_fma_mix_f32_bf16 v2, s2, v16, v18 op_sel:[0,0,1] op_sel_hi:[0,0,1]
	v_and_b32_e32 v16, 0x7f800000, v2
	s_delay_alu instid0(VALU_DEP_1) | instskip(SKIP_1) | instid1(SALU_CYCLE_1)
	v_cmp_ne_u32_e32 vcc_lo, 0x7f800000, v16
                                        ; implicit-def: $vgpr16
	s_and_saveexec_b32 s22, vcc_lo
	s_xor_b32 s22, exec_lo, s22
; %bb.159:                              ;   in Loop: Header=BB148_4 Depth=1
	v_bfe_u32 v16, v2, 16, 1
	s_delay_alu instid0(VALU_DEP_1)
	v_add3_u32 v16, v2, v16, 0x7fff
                                        ; implicit-def: $vgpr2
; %bb.160:                              ;   in Loop: Header=BB148_4 Depth=1
	s_and_not1_saveexec_b32 s22, s22
; %bb.161:                              ;   in Loop: Header=BB148_4 Depth=1
	v_and_b32_e32 v16, 0xffff, v2
	v_or_b32_e32 v18, 0x10000, v2
	s_delay_alu instid0(VALU_DEP_2) | instskip(NEXT) | instid1(VALU_DEP_2)
	v_cmp_eq_u32_e32 vcc_lo, 0, v16
	v_cndmask_b32_e32 v16, v18, v2, vcc_lo
; %bb.162:                              ;   in Loop: Header=BB148_4 Depth=1
	s_or_b32 exec_lo, exec_lo, s22
	flat_store_d16_hi_b16 v[26:27], v16 offset:64
	flat_load_u16 v2, v[24:25] offset:96
	s_wait_loadcnt_dscnt 0x0
	v_lshlrev_b32_e32 v2, 16, v2
	s_delay_alu instid0(VALU_DEP_1) | instskip(SKIP_1) | instid1(VALU_DEP_1)
	v_mul_f32_e32 v2, s30, v2
	s_wait_xcnt 0x1
	v_and_b32_e32 v16, 0x7f800000, v2
	s_delay_alu instid0(VALU_DEP_1) | instskip(SKIP_2) | instid1(SALU_CYCLE_1)
	v_cmp_ne_u32_e32 vcc_lo, 0x7f800000, v16
                                        ; implicit-def: $vgpr16
	s_wait_xcnt 0x0
	s_and_saveexec_b32 s22, vcc_lo
	s_xor_b32 s22, exec_lo, s22
; %bb.163:                              ;   in Loop: Header=BB148_4 Depth=1
	v_bfe_u32 v16, v2, 16, 1
	s_delay_alu instid0(VALU_DEP_1)
	v_add3_u32 v16, v2, v16, 0x7fff
                                        ; implicit-def: $vgpr2
; %bb.164:                              ;   in Loop: Header=BB148_4 Depth=1
	s_and_not1_saveexec_b32 s22, s22
; %bb.165:                              ;   in Loop: Header=BB148_4 Depth=1
	v_and_b32_e32 v16, 0xffff, v2
	v_or_b32_e32 v18, 0x10000, v2
	s_delay_alu instid0(VALU_DEP_2) | instskip(NEXT) | instid1(VALU_DEP_2)
	v_cmp_eq_u32_e32 vcc_lo, 0, v16
	v_cndmask_b32_e32 v16, v18, v2, vcc_lo
; %bb.166:                              ;   in Loop: Header=BB148_4 Depth=1
	s_or_b32 exec_lo, exec_lo, s22
	s_delay_alu instid0(VALU_DEP_1) | instskip(SKIP_1) | instid1(VALU_DEP_1)
	v_fma_mix_f32_bf16 v2, s2, v17, v16 op_sel:[0,0,1] op_sel_hi:[0,0,1]
	s_mov_b32 s22, exec_lo
                                        ; implicit-def: $vgpr18
	v_and_b32_e32 v16, 0x7f800000, v2
	s_delay_alu instid0(VALU_DEP_1)
	v_cmpx_ne_u32_e32 0x7f800000, v16
	s_xor_b32 s22, exec_lo, s22
; %bb.167:                              ;   in Loop: Header=BB148_4 Depth=1
	v_bfe_u32 v16, v2, 16, 1
	s_delay_alu instid0(VALU_DEP_1)
	v_add3_u32 v18, v2, v16, 0x7fff
                                        ; implicit-def: $vgpr2
; %bb.168:                              ;   in Loop: Header=BB148_4 Depth=1
	s_and_not1_saveexec_b32 s22, s22
; %bb.169:                              ;   in Loop: Header=BB148_4 Depth=1
	v_and_b32_e32 v16, 0xffff, v2
	v_or_b32_e32 v17, 0x10000, v2
	s_delay_alu instid0(VALU_DEP_2) | instskip(NEXT) | instid1(VALU_DEP_2)
	v_cmp_eq_u32_e32 vcc_lo, 0, v16
	v_cndmask_b32_e32 v18, v17, v2, vcc_lo
; %bb.170:                              ;   in Loop: Header=BB148_4 Depth=1
	s_or_b32 exec_lo, exec_lo, s22
	v_lshl_add_u64 v[16:17], s[8:9], 1, v[20:21]
	flat_store_d16_hi_b16 v[26:27], v18 offset:96
	v_lshl_add_u64 v[16:17], v[6:7], 1, v[16:17]
	flat_load_u16 v2, v[16:17]
	s_wait_loadcnt_dscnt 0x0
	v_lshlrev_b32_e32 v2, 16, v2
	s_delay_alu instid0(VALU_DEP_1) | instskip(SKIP_1) | instid1(VALU_DEP_1)
	v_mul_f32_e32 v2, s30, v2
	s_wait_xcnt 0x1
	v_and_b32_e32 v18, 0x7f800000, v2
	s_delay_alu instid0(VALU_DEP_1) | instskip(SKIP_2) | instid1(SALU_CYCLE_1)
	v_cmp_ne_u32_e32 vcc_lo, 0x7f800000, v18
                                        ; implicit-def: $vgpr18
	s_wait_xcnt 0x0
	s_and_saveexec_b32 s22, vcc_lo
	s_xor_b32 s22, exec_lo, s22
; %bb.171:                              ;   in Loop: Header=BB148_4 Depth=1
	v_bfe_u32 v18, v2, 16, 1
	s_delay_alu instid0(VALU_DEP_1)
	v_add3_u32 v18, v2, v18, 0x7fff
                                        ; implicit-def: $vgpr2
; %bb.172:                              ;   in Loop: Header=BB148_4 Depth=1
	s_and_not1_saveexec_b32 s22, s22
; %bb.173:                              ;   in Loop: Header=BB148_4 Depth=1
	v_and_b32_e32 v18, 0xffff, v2
	v_or_b32_e32 v19, 0x10000, v2
	s_delay_alu instid0(VALU_DEP_2) | instskip(NEXT) | instid1(VALU_DEP_2)
	v_cmp_eq_u32_e32 vcc_lo, 0, v18
	v_cndmask_b32_e32 v18, v19, v2, vcc_lo
; %bb.174:                              ;   in Loop: Header=BB148_4 Depth=1
	s_or_b32 exec_lo, exec_lo, s22
	s_delay_alu instid0(VALU_DEP_1) | instskip(NEXT) | instid1(VALU_DEP_1)
	v_fma_mix_f32_bf16 v2, s2, v14, v18 op_sel:[0,0,1] op_sel_hi:[0,0,1]
	v_and_b32_e32 v14, 0x7f800000, v2
	s_delay_alu instid0(VALU_DEP_1) | instskip(SKIP_1) | instid1(SALU_CYCLE_1)
	v_cmp_ne_u32_e32 vcc_lo, 0x7f800000, v14
                                        ; implicit-def: $vgpr14
	s_and_saveexec_b32 s22, vcc_lo
	s_xor_b32 s22, exec_lo, s22
; %bb.175:                              ;   in Loop: Header=BB148_4 Depth=1
	v_bfe_u32 v14, v2, 16, 1
	s_delay_alu instid0(VALU_DEP_1)
	v_add3_u32 v14, v2, v14, 0x7fff
                                        ; implicit-def: $vgpr2
; %bb.176:                              ;   in Loop: Header=BB148_4 Depth=1
	s_and_not1_saveexec_b32 s22, s22
; %bb.177:                              ;   in Loop: Header=BB148_4 Depth=1
	v_and_b32_e32 v14, 0xffff, v2
	v_or_b32_e32 v18, 0x10000, v2
	s_delay_alu instid0(VALU_DEP_2) | instskip(NEXT) | instid1(VALU_DEP_2)
	v_cmp_eq_u32_e32 vcc_lo, 0, v14
	v_cndmask_b32_e32 v14, v18, v2, vcc_lo
; %bb.178:                              ;   in Loop: Header=BB148_4 Depth=1
	s_or_b32 exec_lo, exec_lo, s22
	v_lshl_add_u64 v[18:19], s[6:7], 1, v[22:23]
	s_delay_alu instid0(VALU_DEP_1) | instskip(SKIP_4) | instid1(VALU_DEP_1)
	v_lshl_add_u64 v[18:19], v[6:7], 1, v[18:19]
	flat_store_d16_hi_b16 v[18:19], v14
	flat_load_u16 v2, v[16:17] offset:32
	s_wait_loadcnt_dscnt 0x0
	v_lshlrev_b32_e32 v2, 16, v2
	v_mul_f32_e32 v2, s30, v2
	s_wait_xcnt 0x1
	s_delay_alu instid0(VALU_DEP_1) | instskip(NEXT) | instid1(VALU_DEP_1)
	v_and_b32_e32 v14, 0x7f800000, v2
	v_cmp_ne_u32_e32 vcc_lo, 0x7f800000, v14
                                        ; implicit-def: $vgpr14
	s_wait_xcnt 0x0
	s_and_saveexec_b32 s22, vcc_lo
	s_delay_alu instid0(SALU_CYCLE_1)
	s_xor_b32 s22, exec_lo, s22
; %bb.179:                              ;   in Loop: Header=BB148_4 Depth=1
	v_bfe_u32 v14, v2, 16, 1
	s_delay_alu instid0(VALU_DEP_1)
	v_add3_u32 v14, v2, v14, 0x7fff
                                        ; implicit-def: $vgpr2
; %bb.180:                              ;   in Loop: Header=BB148_4 Depth=1
	s_and_not1_saveexec_b32 s22, s22
; %bb.181:                              ;   in Loop: Header=BB148_4 Depth=1
	v_and_b32_e32 v14, 0xffff, v2
	v_or_b32_e32 v20, 0x10000, v2
	s_delay_alu instid0(VALU_DEP_2) | instskip(NEXT) | instid1(VALU_DEP_2)
	v_cmp_eq_u32_e32 vcc_lo, 0, v14
	v_cndmask_b32_e32 v14, v20, v2, vcc_lo
; %bb.182:                              ;   in Loop: Header=BB148_4 Depth=1
	s_or_b32 exec_lo, exec_lo, s22
	s_delay_alu instid0(VALU_DEP_1) | instskip(NEXT) | instid1(VALU_DEP_1)
	v_fma_mix_f32_bf16 v2, s2, v15, v14 op_sel:[0,0,1] op_sel_hi:[0,0,1]
	v_and_b32_e32 v14, 0x7f800000, v2
	s_delay_alu instid0(VALU_DEP_1) | instskip(SKIP_1) | instid1(SALU_CYCLE_1)
	v_cmp_ne_u32_e32 vcc_lo, 0x7f800000, v14
                                        ; implicit-def: $vgpr14
	s_and_saveexec_b32 s22, vcc_lo
	s_xor_b32 s22, exec_lo, s22
; %bb.183:                              ;   in Loop: Header=BB148_4 Depth=1
	v_bfe_u32 v14, v2, 16, 1
	s_delay_alu instid0(VALU_DEP_1)
	v_add3_u32 v14, v2, v14, 0x7fff
                                        ; implicit-def: $vgpr2
; %bb.184:                              ;   in Loop: Header=BB148_4 Depth=1
	s_and_not1_saveexec_b32 s22, s22
; %bb.185:                              ;   in Loop: Header=BB148_4 Depth=1
	v_and_b32_e32 v14, 0xffff, v2
	v_or_b32_e32 v15, 0x10000, v2
	s_delay_alu instid0(VALU_DEP_2) | instskip(NEXT) | instid1(VALU_DEP_2)
	v_cmp_eq_u32_e32 vcc_lo, 0, v14
	v_cndmask_b32_e32 v14, v15, v2, vcc_lo
; %bb.186:                              ;   in Loop: Header=BB148_4 Depth=1
	s_or_b32 exec_lo, exec_lo, s22
	flat_store_d16_hi_b16 v[18:19], v14 offset:32
	flat_load_u16 v2, v[16:17] offset:64
	s_wait_loadcnt_dscnt 0x0
	v_lshlrev_b32_e32 v2, 16, v2
	s_delay_alu instid0(VALU_DEP_1) | instskip(SKIP_1) | instid1(VALU_DEP_1)
	v_mul_f32_e32 v2, s30, v2
	s_wait_xcnt 0x1
	v_and_b32_e32 v14, 0x7f800000, v2
	s_delay_alu instid0(VALU_DEP_1) | instskip(SKIP_2) | instid1(SALU_CYCLE_1)
	v_cmp_ne_u32_e32 vcc_lo, 0x7f800000, v14
                                        ; implicit-def: $vgpr14
	s_wait_xcnt 0x0
	s_and_saveexec_b32 s22, vcc_lo
	s_xor_b32 s22, exec_lo, s22
; %bb.187:                              ;   in Loop: Header=BB148_4 Depth=1
	v_bfe_u32 v14, v2, 16, 1
	s_delay_alu instid0(VALU_DEP_1)
	v_add3_u32 v14, v2, v14, 0x7fff
                                        ; implicit-def: $vgpr2
; %bb.188:                              ;   in Loop: Header=BB148_4 Depth=1
	s_and_not1_saveexec_b32 s22, s22
; %bb.189:                              ;   in Loop: Header=BB148_4 Depth=1
	v_and_b32_e32 v14, 0xffff, v2
	v_or_b32_e32 v15, 0x10000, v2
	s_delay_alu instid0(VALU_DEP_2) | instskip(NEXT) | instid1(VALU_DEP_2)
	v_cmp_eq_u32_e32 vcc_lo, 0, v14
	v_cndmask_b32_e32 v14, v15, v2, vcc_lo
; %bb.190:                              ;   in Loop: Header=BB148_4 Depth=1
	s_or_b32 exec_lo, exec_lo, s22
	s_delay_alu instid0(VALU_DEP_1) | instskip(NEXT) | instid1(VALU_DEP_1)
	v_fma_mix_f32_bf16 v2, s2, v12, v14 op_sel:[0,0,1] op_sel_hi:[0,0,1]
	v_and_b32_e32 v12, 0x7f800000, v2
	s_delay_alu instid0(VALU_DEP_1) | instskip(SKIP_1) | instid1(SALU_CYCLE_1)
	v_cmp_ne_u32_e32 vcc_lo, 0x7f800000, v12
                                        ; implicit-def: $vgpr12
	s_and_saveexec_b32 s22, vcc_lo
	s_xor_b32 s22, exec_lo, s22
; %bb.191:                              ;   in Loop: Header=BB148_4 Depth=1
	v_bfe_u32 v12, v2, 16, 1
	s_delay_alu instid0(VALU_DEP_1)
	v_add3_u32 v12, v2, v12, 0x7fff
                                        ; implicit-def: $vgpr2
; %bb.192:                              ;   in Loop: Header=BB148_4 Depth=1
	s_and_not1_saveexec_b32 s22, s22
; %bb.193:                              ;   in Loop: Header=BB148_4 Depth=1
	v_and_b32_e32 v12, 0xffff, v2
	v_or_b32_e32 v14, 0x10000, v2
	s_delay_alu instid0(VALU_DEP_2) | instskip(NEXT) | instid1(VALU_DEP_2)
	v_cmp_eq_u32_e32 vcc_lo, 0, v12
	v_cndmask_b32_e32 v12, v14, v2, vcc_lo
; %bb.194:                              ;   in Loop: Header=BB148_4 Depth=1
	s_or_b32 exec_lo, exec_lo, s22
	flat_store_d16_hi_b16 v[18:19], v12 offset:64
	flat_load_u16 v2, v[16:17] offset:96
	s_wait_loadcnt_dscnt 0x0
	v_lshlrev_b32_e32 v2, 16, v2
	s_delay_alu instid0(VALU_DEP_1) | instskip(SKIP_1) | instid1(VALU_DEP_1)
	v_mul_f32_e32 v2, s30, v2
	s_wait_xcnt 0x1
	v_and_b32_e32 v12, 0x7f800000, v2
	s_delay_alu instid0(VALU_DEP_1) | instskip(SKIP_2) | instid1(SALU_CYCLE_1)
	v_cmp_ne_u32_e32 vcc_lo, 0x7f800000, v12
                                        ; implicit-def: $vgpr12
	s_wait_xcnt 0x0
	s_and_saveexec_b32 s22, vcc_lo
	s_xor_b32 s22, exec_lo, s22
; %bb.195:                              ;   in Loop: Header=BB148_4 Depth=1
	v_bfe_u32 v12, v2, 16, 1
	s_delay_alu instid0(VALU_DEP_1)
	v_add3_u32 v12, v2, v12, 0x7fff
                                        ; implicit-def: $vgpr2
; %bb.196:                              ;   in Loop: Header=BB148_4 Depth=1
	s_and_not1_saveexec_b32 s22, s22
; %bb.197:                              ;   in Loop: Header=BB148_4 Depth=1
	v_and_b32_e32 v12, 0xffff, v2
	v_or_b32_e32 v14, 0x10000, v2
	s_delay_alu instid0(VALU_DEP_2) | instskip(NEXT) | instid1(VALU_DEP_2)
	v_cmp_eq_u32_e32 vcc_lo, 0, v12
	v_cndmask_b32_e32 v12, v14, v2, vcc_lo
; %bb.198:                              ;   in Loop: Header=BB148_4 Depth=1
	s_or_b32 exec_lo, exec_lo, s22
	s_delay_alu instid0(VALU_DEP_1) | instskip(NEXT) | instid1(VALU_DEP_1)
	v_fma_mix_f32_bf16 v2, s2, v13, v12 op_sel:[0,0,1] op_sel_hi:[0,0,1]
	v_and_b32_e32 v12, 0x7f800000, v2
	s_delay_alu instid0(VALU_DEP_1) | instskip(SKIP_1) | instid1(SALU_CYCLE_1)
	v_cmp_ne_u32_e32 vcc_lo, 0x7f800000, v12
                                        ; implicit-def: $vgpr12
	s_and_saveexec_b32 s22, vcc_lo
	s_xor_b32 s22, exec_lo, s22
; %bb.199:                              ;   in Loop: Header=BB148_4 Depth=1
	v_bfe_u32 v12, v2, 16, 1
	s_delay_alu instid0(VALU_DEP_1)
	v_add3_u32 v12, v2, v12, 0x7fff
                                        ; implicit-def: $vgpr2
; %bb.200:                              ;   in Loop: Header=BB148_4 Depth=1
	s_and_not1_saveexec_b32 s22, s22
	s_cbranch_execz .LBB148_2
; %bb.201:                              ;   in Loop: Header=BB148_4 Depth=1
	v_and_b32_e32 v12, 0xffff, v2
	v_or_b32_e32 v13, 0x10000, v2
	s_delay_alu instid0(VALU_DEP_2) | instskip(NEXT) | instid1(VALU_DEP_2)
	v_cmp_eq_u32_e32 vcc_lo, 0, v12
	v_cndmask_b32_e32 v12, v13, v2, vcc_lo
	s_branch .LBB148_2
.LBB148_202:
	s_sendmsg sendmsg(MSG_DEALLOC_VGPRS)
	s_endpgm
	.section	.rodata,"a",@progbits
	.p2align	6, 0x0
	.amdhsa_kernel _ZN12_GLOBAL__N_127rocblas_gemm_batched_kernelIfLi16ELi16ELi64ELi64ELi4ELi64ELi4ELi4ELi64ELc84ELc67EKPK16rocblas_bfloat16S4_KPS1_EEvlllT_PT11_llS9_llS7_PT12_llPT13_lli
		.amdhsa_group_segment_fixed_size 2048
		.amdhsa_private_segment_fixed_size 0
		.amdhsa_kernarg_size 140
		.amdhsa_user_sgpr_count 2
		.amdhsa_user_sgpr_dispatch_ptr 0
		.amdhsa_user_sgpr_queue_ptr 0
		.amdhsa_user_sgpr_kernarg_segment_ptr 1
		.amdhsa_user_sgpr_dispatch_id 0
		.amdhsa_user_sgpr_kernarg_preload_length 0
		.amdhsa_user_sgpr_kernarg_preload_offset 0
		.amdhsa_user_sgpr_private_segment_size 0
		.amdhsa_wavefront_size32 1
		.amdhsa_uses_dynamic_stack 0
		.amdhsa_enable_private_segment 0
		.amdhsa_system_sgpr_workgroup_id_x 1
		.amdhsa_system_sgpr_workgroup_id_y 1
		.amdhsa_system_sgpr_workgroup_id_z 1
		.amdhsa_system_sgpr_workgroup_info 0
		.amdhsa_system_vgpr_workitem_id 1
		.amdhsa_next_free_vgpr 74
		.amdhsa_next_free_sgpr 38
		.amdhsa_named_barrier_count 0
		.amdhsa_reserve_vcc 1
		.amdhsa_float_round_mode_32 0
		.amdhsa_float_round_mode_16_64 0
		.amdhsa_float_denorm_mode_32 3
		.amdhsa_float_denorm_mode_16_64 3
		.amdhsa_fp16_overflow 0
		.amdhsa_memory_ordered 1
		.amdhsa_forward_progress 1
		.amdhsa_inst_pref_size 55
		.amdhsa_round_robin_scheduling 0
		.amdhsa_exception_fp_ieee_invalid_op 0
		.amdhsa_exception_fp_denorm_src 0
		.amdhsa_exception_fp_ieee_div_zero 0
		.amdhsa_exception_fp_ieee_overflow 0
		.amdhsa_exception_fp_ieee_underflow 0
		.amdhsa_exception_fp_ieee_inexact 0
		.amdhsa_exception_int_div_zero 0
	.end_amdhsa_kernel
	.section	.text._ZN12_GLOBAL__N_127rocblas_gemm_batched_kernelIfLi16ELi16ELi64ELi64ELi4ELi64ELi4ELi4ELi64ELc84ELc67EKPK16rocblas_bfloat16S4_KPS1_EEvlllT_PT11_llS9_llS7_PT12_llPT13_lli,"axG",@progbits,_ZN12_GLOBAL__N_127rocblas_gemm_batched_kernelIfLi16ELi16ELi64ELi64ELi4ELi64ELi4ELi4ELi64ELc84ELc67EKPK16rocblas_bfloat16S4_KPS1_EEvlllT_PT11_llS9_llS7_PT12_llPT13_lli,comdat
.Lfunc_end148:
	.size	_ZN12_GLOBAL__N_127rocblas_gemm_batched_kernelIfLi16ELi16ELi64ELi64ELi4ELi64ELi4ELi4ELi64ELc84ELc67EKPK16rocblas_bfloat16S4_KPS1_EEvlllT_PT11_llS9_llS7_PT12_llPT13_lli, .Lfunc_end148-_ZN12_GLOBAL__N_127rocblas_gemm_batched_kernelIfLi16ELi16ELi64ELi64ELi4ELi64ELi4ELi4ELi64ELc84ELc67EKPK16rocblas_bfloat16S4_KPS1_EEvlllT_PT11_llS9_llS7_PT12_llPT13_lli
                                        ; -- End function
	.set _ZN12_GLOBAL__N_127rocblas_gemm_batched_kernelIfLi16ELi16ELi64ELi64ELi4ELi64ELi4ELi4ELi64ELc84ELc67EKPK16rocblas_bfloat16S4_KPS1_EEvlllT_PT11_llS9_llS7_PT12_llPT13_lli.num_vgpr, 74
	.set _ZN12_GLOBAL__N_127rocblas_gemm_batched_kernelIfLi16ELi16ELi64ELi64ELi4ELi64ELi4ELi4ELi64ELc84ELc67EKPK16rocblas_bfloat16S4_KPS1_EEvlllT_PT11_llS9_llS7_PT12_llPT13_lli.num_agpr, 0
	.set _ZN12_GLOBAL__N_127rocblas_gemm_batched_kernelIfLi16ELi16ELi64ELi64ELi4ELi64ELi4ELi4ELi64ELc84ELc67EKPK16rocblas_bfloat16S4_KPS1_EEvlllT_PT11_llS9_llS7_PT12_llPT13_lli.numbered_sgpr, 38
	.set _ZN12_GLOBAL__N_127rocblas_gemm_batched_kernelIfLi16ELi16ELi64ELi64ELi4ELi64ELi4ELi4ELi64ELc84ELc67EKPK16rocblas_bfloat16S4_KPS1_EEvlllT_PT11_llS9_llS7_PT12_llPT13_lli.num_named_barrier, 0
	.set _ZN12_GLOBAL__N_127rocblas_gemm_batched_kernelIfLi16ELi16ELi64ELi64ELi4ELi64ELi4ELi4ELi64ELc84ELc67EKPK16rocblas_bfloat16S4_KPS1_EEvlllT_PT11_llS9_llS7_PT12_llPT13_lli.private_seg_size, 0
	.set _ZN12_GLOBAL__N_127rocblas_gemm_batched_kernelIfLi16ELi16ELi64ELi64ELi4ELi64ELi4ELi4ELi64ELc84ELc67EKPK16rocblas_bfloat16S4_KPS1_EEvlllT_PT11_llS9_llS7_PT12_llPT13_lli.uses_vcc, 1
	.set _ZN12_GLOBAL__N_127rocblas_gemm_batched_kernelIfLi16ELi16ELi64ELi64ELi4ELi64ELi4ELi4ELi64ELc84ELc67EKPK16rocblas_bfloat16S4_KPS1_EEvlllT_PT11_llS9_llS7_PT12_llPT13_lli.uses_flat_scratch, 0
	.set _ZN12_GLOBAL__N_127rocblas_gemm_batched_kernelIfLi16ELi16ELi64ELi64ELi4ELi64ELi4ELi4ELi64ELc84ELc67EKPK16rocblas_bfloat16S4_KPS1_EEvlllT_PT11_llS9_llS7_PT12_llPT13_lli.has_dyn_sized_stack, 0
	.set _ZN12_GLOBAL__N_127rocblas_gemm_batched_kernelIfLi16ELi16ELi64ELi64ELi4ELi64ELi4ELi4ELi64ELc84ELc67EKPK16rocblas_bfloat16S4_KPS1_EEvlllT_PT11_llS9_llS7_PT12_llPT13_lli.has_recursion, 0
	.set _ZN12_GLOBAL__N_127rocblas_gemm_batched_kernelIfLi16ELi16ELi64ELi64ELi4ELi64ELi4ELi4ELi64ELc84ELc67EKPK16rocblas_bfloat16S4_KPS1_EEvlllT_PT11_llS9_llS7_PT12_llPT13_lli.has_indirect_call, 0
	.section	.AMDGPU.csdata,"",@progbits
; Kernel info:
; codeLenInByte = 7004
; TotalNumSgprs: 40
; NumVgprs: 74
; ScratchSize: 0
; MemoryBound: 0
; FloatMode: 240
; IeeeMode: 1
; LDSByteSize: 2048 bytes/workgroup (compile time only)
; SGPRBlocks: 0
; VGPRBlocks: 4
; NumSGPRsForWavesPerEU: 40
; NumVGPRsForWavesPerEU: 74
; NamedBarCnt: 0
; Occupancy: 12
; WaveLimiterHint : 1
; COMPUTE_PGM_RSRC2:SCRATCH_EN: 0
; COMPUTE_PGM_RSRC2:USER_SGPR: 2
; COMPUTE_PGM_RSRC2:TRAP_HANDLER: 0
; COMPUTE_PGM_RSRC2:TGID_X_EN: 1
; COMPUTE_PGM_RSRC2:TGID_Y_EN: 1
; COMPUTE_PGM_RSRC2:TGID_Z_EN: 1
; COMPUTE_PGM_RSRC2:TIDIG_COMP_CNT: 1
	.section	.text._ZN12_GLOBAL__N_127rocblas_gemm_batched_kernelIfLi16ELi16ELi32ELi32ELi8ELi32ELi8ELi8ELi32ELc78ELc78EKPK16rocblas_bfloat16S4_KPS1_EEvlllT_PT11_llS9_llS7_PT12_llPT13_lli,"axG",@progbits,_ZN12_GLOBAL__N_127rocblas_gemm_batched_kernelIfLi16ELi16ELi32ELi32ELi8ELi32ELi8ELi8ELi32ELc78ELc78EKPK16rocblas_bfloat16S4_KPS1_EEvlllT_PT11_llS9_llS7_PT12_llPT13_lli,comdat
	.globl	_ZN12_GLOBAL__N_127rocblas_gemm_batched_kernelIfLi16ELi16ELi32ELi32ELi8ELi32ELi8ELi8ELi32ELc78ELc78EKPK16rocblas_bfloat16S4_KPS1_EEvlllT_PT11_llS9_llS7_PT12_llPT13_lli ; -- Begin function _ZN12_GLOBAL__N_127rocblas_gemm_batched_kernelIfLi16ELi16ELi32ELi32ELi8ELi32ELi8ELi8ELi32ELc78ELc78EKPK16rocblas_bfloat16S4_KPS1_EEvlllT_PT11_llS9_llS7_PT12_llPT13_lli
	.p2align	8
	.type	_ZN12_GLOBAL__N_127rocblas_gemm_batched_kernelIfLi16ELi16ELi32ELi32ELi8ELi32ELi8ELi8ELi32ELc78ELc78EKPK16rocblas_bfloat16S4_KPS1_EEvlllT_PT11_llS9_llS7_PT12_llPT13_lli,@function
_ZN12_GLOBAL__N_127rocblas_gemm_batched_kernelIfLi16ELi16ELi32ELi32ELi8ELi32ELi8ELi8ELi32ELc78ELc78EKPK16rocblas_bfloat16S4_KPS1_EEvlllT_PT11_llS9_llS7_PT12_llPT13_lli: ; @_ZN12_GLOBAL__N_127rocblas_gemm_batched_kernelIfLi16ELi16ELi32ELi32ELi8ELi32ELi8ELi8ELi32ELc78ELc78EKPK16rocblas_bfloat16S4_KPS1_EEvlllT_PT11_llS9_llS7_PT12_llPT13_lli
; %bb.0:
	s_load_b32 s3, s[0:1], 0x88
	s_bfe_u32 s2, ttmp6, 0x40014
	s_lshr_b32 s4, ttmp7, 16
	s_add_co_i32 s2, s2, 1
	s_bfe_u32 s6, ttmp6, 0x40008
	s_mul_i32 s5, s4, s2
	s_getreg_b32 s2, hwreg(HW_REG_IB_STS2, 6, 4)
	s_add_co_i32 s6, s6, s5
	s_cmp_eq_u32 s2, 0
	s_mov_b32 s29, 0
	s_cselect_b32 s28, s4, s6
	s_wait_kmcnt 0x0
	s_cmp_ge_i32 s28, s3
	s_cbranch_scc1 .LBB149_58
; %bb.1:
	v_bfe_u32 v2, v0, 10, 10
	v_and_b32_e32 v8, 0x3ff, v0
	s_bfe_u32 s12, ttmp6, 0x4000c
	s_bfe_u32 s14, ttmp6, 0x40010
	s_clause 0x2
	s_load_b256 s[4:11], s[0:1], 0x20
	s_load_b128 s[24:27], s[0:1], 0x40
	s_load_b128 s[20:23], s[0:1], 0x78
	s_add_co_i32 s12, s12, 1
	s_and_b32 s15, ttmp7, 0xffff
	s_add_co_i32 s14, s14, 1
	v_lshl_add_u32 v16, v2, 4, v8
	v_mov_b32_e32 v3, 0
	s_and_b32 s13, ttmp6, 15
	s_mul_i32 s12, ttmp9, s12
	s_mul_i32 s14, s15, s14
	s_bfe_u32 s16, ttmp6, 0x40004
	s_add_co_i32 s13, s13, s12
	s_add_co_i32 s16, s16, s14
	s_cmp_eq_u32 s2, 0
	v_dual_mov_b32 v11, v3 :: v_dual_lshrrev_b32 v10, 3, v16
	v_lshrrev_b32_e32 v17, 5, v16
	s_cselect_b32 s2, s15, s16
	s_cselect_b32 s34, ttmp9, s13
	s_lshl_b32 s36, s2, 5
	s_mov_b32 s37, s29
	s_load_b256 s[12:19], s[0:1], 0x58
	v_add_nc_u64_e32 v[4:5], s[36:37], v[10:11]
	s_ashr_i32 s35, s34, 31
	v_add_nc_u64_e32 v[6:7], s[36:37], v[2:3]
	s_lshl_b64 s[34:35], s[34:35], 5
	s_load_b32 s30, s[0:1], 0x50
	s_wait_kmcnt 0x0
	v_mad_nc_u64_u32 v[14:15], s6, v17, s[34:35]
	s_load_b96 s[0:2], s[0:1], 0x10
	v_mul_u64_e32 v[12:13], s[24:25], v[4:5]
	v_dual_mov_b32 v9, v3 :: v_dual_bitop2_b32 v11, 7, v0 bitop3:0x40
	v_mul_u64_e32 v[4:5], s[20:21], v[6:7]
	v_dual_mov_b32 v1, v3 :: v_dual_bitop2_b32 v0, 31, v16 bitop3:0x40
	s_delay_alu instid0(VALU_DEP_3) | instskip(SKIP_2) | instid1(VALU_DEP_4)
	v_dual_lshlrev_b32 v16, 2, v11 :: v_dual_lshlrev_b32 v24, 2, v8
	v_lshl_add_u32 v25, v2, 5, 0x400
	v_mad_u32 v15, s7, v17, v15
	v_dual_lshlrev_b32 v2, 1, v11 :: v_dual_lshlrev_b32 v18, 2, v0
	v_mul_u64_e32 v[6:7], s[14:15], v[6:7]
	v_lshl_or_b32 v16, v10, 5, v16
	s_delay_alu instid0(VALU_DEP_3) | instskip(SKIP_1) | instid1(VALU_DEP_2)
	v_lshl_or_b32 v26, v17, 7, v18
	s_cmp_eq_f32 s30, 0
	v_add_nc_u32_e32 v27, 0x400, v16
	s_wait_kmcnt 0x0
	v_cmp_gt_i64_e64 s25, s[0:1], 0
	v_add_nc_u64_e32 v[14:15], v[14:15], v[0:1]
	s_cselect_b32 s24, -1, 0
	s_lshl_b64 s[26:27], s[26:27], 1
	v_add_nc_u64_e32 v[0:1], s[34:35], v[8:9]
	s_lshl_b64 s[20:21], s[20:21], 4
	s_lshl_b64 s[14:15], s[14:15], 4
	;; [unrolled: 1-line block ×3, first 2 shown]
	v_lshlrev_b64_e32 v[10:11], 1, v[14:15]
	s_lshl_b64 s[16:17], s[16:17], 1
	v_lshl_add_u64 v[8:9], v[12:13], 1, s[26:27]
	s_delay_alu instid0(VALU_DEP_2) | instskip(SKIP_1) | instid1(VALU_DEP_2)
	v_lshl_add_u64 v[10:11], s[8:9], 1, v[10:11]
	s_lshl_b64 s[8:9], s[22:23], 1
	v_add_nc_u64_e32 v[8:9], v[8:9], v[2:3]
	s_branch .LBB149_4
.LBB149_2:                              ;   in Loop: Header=BB149_4 Depth=1
	s_or_b32 exec_lo, exec_lo, s22
	flat_store_d16_hi_b16 v[16:17], v12 offset:32
.LBB149_3:                              ;   in Loop: Header=BB149_4 Depth=1
	s_add_co_i32 s28, s28, 0x10000
	s_delay_alu instid0(SALU_CYCLE_1)
	s_cmp_lt_i32 s28, s3
	s_cbranch_scc0 .LBB149_58
.LBB149_4:                              ; =>This Loop Header: Depth=1
                                        ;     Child Loop BB149_6 Depth 2
	s_wait_xcnt 0x0
	v_dual_mov_b32 v2, s28 :: v_dual_mov_b32 v15, 0
	v_dual_mov_b32 v14, 0 :: v_dual_mov_b32 v13, 0
	v_mov_b32_e32 v12, 0
	s_clause 0x1
	global_load_b64 v[16:17], v2, s[12:13] scale_offset
	global_load_b64 v[18:19], v2, s[18:19] scale_offset
	s_and_not1_b32 vcc_lo, exec_lo, s25
	s_cbranch_vccnz .LBB149_7
; %bb.5:                                ;   in Loop: Header=BB149_4 Depth=1
	s_lshl_b64 s[22:23], s[28:29], 3
	v_mov_b32_e32 v12, 0
	s_add_nc_u64 s[26:27], s[10:11], s[22:23]
	s_add_nc_u64 s[22:23], s[4:5], s[22:23]
	s_clause 0x1
	global_load_b64 v[14:15], v3, s[26:27]
	global_load_b64 v[22:23], v3, s[22:23]
	s_wait_xcnt 0x0
	s_mov_b64 s[22:23], 0
	v_mov_b32_e32 v13, v12
	s_wait_loadcnt 0x1
	v_add_nc_u64_e32 v[20:21], v[14:15], v[8:9]
	s_wait_loadcnt 0x0
	v_add_nc_u64_e32 v[22:23], v[22:23], v[10:11]
	v_dual_mov_b32 v14, v12 :: v_dual_mov_b32 v15, v12
.LBB149_6:                              ;   Parent Loop BB149_4 Depth=1
                                        ; =>  This Inner Loop Header: Depth=2
	flat_load_u16 v2, v[22:23]
	flat_load_u16 v28, v[20:21]
	s_add_nc_u64 s[22:23], s[22:23], 8
	s_wait_xcnt 0x0
	v_add_nc_u64_e32 v[20:21], 16, v[20:21]
	v_cmp_lt_i64_e64 s26, s[22:23], s[0:1]
	v_add_nc_u64_e32 v[22:23], s[6:7], v[22:23]
	s_and_b32 vcc_lo, exec_lo, s26
	s_wait_loadcnt_dscnt 0x0
	v_dual_lshlrev_b32 v2, 16, v2 :: v_dual_lshlrev_b32 v28, 16, v28
	ds_store_b32 v26, v2
	ds_store_b32 v27, v28
	s_wait_dscnt 0x0
	s_barrier_signal -1
	s_barrier_wait -1
	ds_load_b128 v[28:31], v25
	ds_load_2addr_b32 v[44:45], v24 offset1:16
	ds_load_b128 v[32:35], v25 offset:512
	ds_load_2addr_b32 v[46:47], v24 offset0:32 offset1:48
	ds_load_2addr_b32 v[48:49], v24 offset0:64 offset1:80
	ds_load_b128 v[36:39], v25 offset:16
	ds_load_2addr_b32 v[50:51], v24 offset0:96 offset1:112
	ds_load_2addr_b32 v[52:53], v24 offset0:128 offset1:144
	;; [unrolled: 3-line block ×3, first 2 shown]
	s_wait_dscnt 0xa
	v_mov_b32_e32 v2, v31
	s_wait_dscnt 0x9
	v_pk_fma_f32 v[14:15], v[44:45], v[28:29], v[14:15] op_sel_hi:[1,0,1]
	s_wait_dscnt 0x8
	v_pk_fma_f32 v[12:13], v[44:45], v[32:33], v[12:13] op_sel_hi:[1,0,1]
	s_wait_dscnt 0x7
	s_delay_alu instid0(VALU_DEP_2) | instskip(NEXT) | instid1(VALU_DEP_2)
	v_pk_fma_f32 v[14:15], v[46:47], v[28:29], v[14:15] op_sel:[0,1,0]
	v_pk_fma_f32 v[12:13], v[46:47], v[32:33], v[12:13] op_sel:[0,1,0]
	v_mov_b32_e32 v28, v35
	s_wait_dscnt 0x6
	s_delay_alu instid0(VALU_DEP_3) | instskip(NEXT) | instid1(VALU_DEP_3)
	v_pk_fma_f32 v[14:15], v[48:49], v[30:31], v[14:15] op_sel_hi:[1,0,1]
	v_pk_fma_f32 v[12:13], v[48:49], v[34:35], v[12:13] op_sel_hi:[1,0,1]
	ds_load_2addr_b32 v[30:31], v24 offset0:224 offset1:240
	s_wait_dscnt 0x0
	s_barrier_signal -1
	v_pk_fma_f32 v[14:15], v[50:51], v[2:3], v[14:15] op_sel_hi:[1,0,1]
	v_pk_fma_f32 v[12:13], v[50:51], v[28:29], v[12:13] op_sel_hi:[1,0,1]
	v_dual_mov_b32 v2, v39 :: v_dual_mov_b32 v28, v43
	s_barrier_wait -1
	s_delay_alu instid0(VALU_DEP_3) | instskip(NEXT) | instid1(VALU_DEP_3)
	v_pk_fma_f32 v[14:15], v[52:53], v[36:37], v[14:15] op_sel_hi:[1,0,1]
	v_pk_fma_f32 v[12:13], v[52:53], v[40:41], v[12:13] op_sel_hi:[1,0,1]
	s_delay_alu instid0(VALU_DEP_2) | instskip(NEXT) | instid1(VALU_DEP_2)
	v_pk_fma_f32 v[14:15], v[54:55], v[36:37], v[14:15] op_sel:[0,1,0]
	v_pk_fma_f32 v[12:13], v[54:55], v[40:41], v[12:13] op_sel:[0,1,0]
	s_delay_alu instid0(VALU_DEP_2) | instskip(NEXT) | instid1(VALU_DEP_2)
	v_pk_fma_f32 v[14:15], v[56:57], v[38:39], v[14:15] op_sel_hi:[1,0,1]
	v_pk_fma_f32 v[12:13], v[56:57], v[42:43], v[12:13] op_sel_hi:[1,0,1]
	s_delay_alu instid0(VALU_DEP_2) | instskip(NEXT) | instid1(VALU_DEP_2)
	v_pk_fma_f32 v[14:15], v[30:31], v[2:3], v[14:15] op_sel_hi:[1,0,1]
	v_pk_fma_f32 v[12:13], v[30:31], v[28:29], v[12:13] op_sel_hi:[1,0,1]
	s_cbranch_vccnz .LBB149_6
.LBB149_7:                              ;   in Loop: Header=BB149_4 Depth=1
	s_wait_loadcnt 0x0
	v_add_nc_u64_e32 v[18:19], s[8:9], v[18:19]
	s_and_not1_b32 vcc_lo, exec_lo, s24
	s_cbranch_vccnz .LBB149_25
; %bb.8:                                ;   in Loop: Header=BB149_4 Depth=1
	v_mul_f32_e32 v20, s2, v14
	s_wait_xcnt 0x0
	s_delay_alu instid0(VALU_DEP_1) | instskip(NEXT) | instid1(VALU_DEP_1)
	v_and_b32_e32 v2, 0x7f800000, v20
	v_cmp_ne_u32_e32 vcc_lo, 0x7f800000, v2
                                        ; implicit-def: $vgpr2
	s_and_saveexec_b32 s22, vcc_lo
	s_delay_alu instid0(SALU_CYCLE_1)
	s_xor_b32 s22, exec_lo, s22
; %bb.9:                                ;   in Loop: Header=BB149_4 Depth=1
	v_bfe_u32 v2, v20, 16, 1
	s_delay_alu instid0(VALU_DEP_1)
	v_add3_u32 v2, v20, v2, 0x7fff
                                        ; implicit-def: $vgpr20
; %bb.10:                               ;   in Loop: Header=BB149_4 Depth=1
	s_and_not1_saveexec_b32 s22, s22
; %bb.11:                               ;   in Loop: Header=BB149_4 Depth=1
	v_and_b32_e32 v2, 0xffff, v20
	v_or_b32_e32 v21, 0x10000, v20
	s_delay_alu instid0(VALU_DEP_2) | instskip(NEXT) | instid1(VALU_DEP_2)
	v_cmp_eq_u32_e32 vcc_lo, 0, v2
	v_cndmask_b32_e32 v2, v21, v20, vcc_lo
; %bb.12:                               ;   in Loop: Header=BB149_4 Depth=1
	s_or_b32 exec_lo, exec_lo, s22
	v_mul_f32_e32 v28, s2, v15
	v_lshl_add_u64 v[20:21], v[4:5], 1, v[18:19]
	s_mov_b32 s22, exec_lo
	s_delay_alu instid0(VALU_DEP_2) | instskip(NEXT) | instid1(VALU_DEP_2)
	v_and_b32_e32 v29, 0x7f800000, v28
	v_lshl_add_u64 v[22:23], v[0:1], 1, v[20:21]
	flat_store_d16_hi_b16 v[22:23], v2
                                        ; implicit-def: $vgpr2
	s_wait_xcnt 0x0
	v_cmpx_ne_u32_e32 0x7f800000, v29
	s_xor_b32 s22, exec_lo, s22
; %bb.13:                               ;   in Loop: Header=BB149_4 Depth=1
	v_bfe_u32 v2, v28, 16, 1
	s_delay_alu instid0(VALU_DEP_1)
	v_add3_u32 v2, v28, v2, 0x7fff
                                        ; implicit-def: $vgpr28
; %bb.14:                               ;   in Loop: Header=BB149_4 Depth=1
	s_and_not1_saveexec_b32 s22, s22
; %bb.15:                               ;   in Loop: Header=BB149_4 Depth=1
	v_and_b32_e32 v2, 0xffff, v28
	v_or_b32_e32 v29, 0x10000, v28
	s_delay_alu instid0(VALU_DEP_2) | instskip(NEXT) | instid1(VALU_DEP_2)
	v_cmp_eq_u32_e32 vcc_lo, 0, v2
	v_cndmask_b32_e32 v2, v29, v28, vcc_lo
; %bb.16:                               ;   in Loop: Header=BB149_4 Depth=1
	s_or_b32 exec_lo, exec_lo, s22
	v_mul_f32_e32 v28, s2, v12
	s_mov_b32 s22, exec_lo
	flat_store_d16_hi_b16 v[22:23], v2 offset:32
                                        ; implicit-def: $vgpr2
	v_and_b32_e32 v29, 0x7f800000, v28
	s_wait_xcnt 0x0
	s_delay_alu instid0(VALU_DEP_1)
	v_cmpx_ne_u32_e32 0x7f800000, v29
	s_xor_b32 s22, exec_lo, s22
; %bb.17:                               ;   in Loop: Header=BB149_4 Depth=1
	v_bfe_u32 v2, v28, 16, 1
	s_delay_alu instid0(VALU_DEP_1)
	v_add3_u32 v2, v28, v2, 0x7fff
                                        ; implicit-def: $vgpr28
; %bb.18:                               ;   in Loop: Header=BB149_4 Depth=1
	s_and_not1_saveexec_b32 s22, s22
; %bb.19:                               ;   in Loop: Header=BB149_4 Depth=1
	v_and_b32_e32 v2, 0xffff, v28
	v_or_b32_e32 v22, 0x10000, v28
	s_delay_alu instid0(VALU_DEP_2) | instskip(NEXT) | instid1(VALU_DEP_2)
	v_cmp_eq_u32_e32 vcc_lo, 0, v2
	v_cndmask_b32_e32 v2, v22, v28, vcc_lo
; %bb.20:                               ;   in Loop: Header=BB149_4 Depth=1
	s_or_b32 exec_lo, exec_lo, s22
	v_mul_f32_e32 v22, s2, v13
	v_lshl_add_u64 v[20:21], s[20:21], 1, v[20:21]
	s_mov_b32 s22, exec_lo
	s_delay_alu instid0(VALU_DEP_2) | instskip(NEXT) | instid1(VALU_DEP_2)
	v_and_b32_e32 v23, 0x7f800000, v22
	v_lshl_add_u64 v[20:21], v[0:1], 1, v[20:21]
	flat_store_d16_hi_b16 v[20:21], v2
                                        ; implicit-def: $vgpr2
	s_wait_xcnt 0x0
	v_cmpx_ne_u32_e32 0x7f800000, v23
	s_xor_b32 s22, exec_lo, s22
; %bb.21:                               ;   in Loop: Header=BB149_4 Depth=1
	v_bfe_u32 v2, v22, 16, 1
	s_delay_alu instid0(VALU_DEP_1)
	v_add3_u32 v2, v22, v2, 0x7fff
                                        ; implicit-def: $vgpr22
; %bb.22:                               ;   in Loop: Header=BB149_4 Depth=1
	s_and_not1_saveexec_b32 s22, s22
; %bb.23:                               ;   in Loop: Header=BB149_4 Depth=1
	v_and_b32_e32 v2, 0xffff, v22
	v_or_b32_e32 v23, 0x10000, v22
	s_delay_alu instid0(VALU_DEP_2) | instskip(NEXT) | instid1(VALU_DEP_2)
	v_cmp_eq_u32_e32 vcc_lo, 0, v2
	v_cndmask_b32_e32 v2, v23, v22, vcc_lo
; %bb.24:                               ;   in Loop: Header=BB149_4 Depth=1
	s_or_b32 exec_lo, exec_lo, s22
	flat_store_d16_hi_b16 v[20:21], v2 offset:32
	s_branch .LBB149_3
.LBB149_25:                             ;   in Loop: Header=BB149_4 Depth=1
	s_cbranch_execz .LBB149_3
; %bb.26:                               ;   in Loop: Header=BB149_4 Depth=1
	v_add_nc_u64_e32 v[16:17], s[16:17], v[16:17]
	s_delay_alu instid0(VALU_DEP_1) | instskip(SKIP_1) | instid1(VALU_DEP_1)
	v_lshl_add_u64 v[16:17], v[6:7], 1, v[16:17]
	s_wait_xcnt 0x0
	v_lshl_add_u64 v[20:21], v[0:1], 1, v[16:17]
	flat_load_u16 v2, v[20:21]
	s_wait_loadcnt_dscnt 0x0
	v_lshlrev_b32_e32 v2, 16, v2
	s_delay_alu instid0(VALU_DEP_1) | instskip(NEXT) | instid1(VALU_DEP_1)
	v_mul_f32_e32 v2, s30, v2
	v_and_b32_e32 v22, 0x7f800000, v2
	s_delay_alu instid0(VALU_DEP_1) | instskip(SKIP_2) | instid1(SALU_CYCLE_1)
	v_cmp_ne_u32_e32 vcc_lo, 0x7f800000, v22
                                        ; implicit-def: $vgpr22
	s_wait_xcnt 0x0
	s_and_saveexec_b32 s22, vcc_lo
	s_xor_b32 s22, exec_lo, s22
; %bb.27:                               ;   in Loop: Header=BB149_4 Depth=1
	v_bfe_u32 v22, v2, 16, 1
	s_delay_alu instid0(VALU_DEP_1)
	v_add3_u32 v22, v2, v22, 0x7fff
                                        ; implicit-def: $vgpr2
; %bb.28:                               ;   in Loop: Header=BB149_4 Depth=1
	s_and_not1_saveexec_b32 s22, s22
; %bb.29:                               ;   in Loop: Header=BB149_4 Depth=1
	v_and_b32_e32 v22, 0xffff, v2
	v_or_b32_e32 v23, 0x10000, v2
	s_delay_alu instid0(VALU_DEP_2) | instskip(NEXT) | instid1(VALU_DEP_2)
	v_cmp_eq_u32_e32 vcc_lo, 0, v22
	v_cndmask_b32_e32 v22, v23, v2, vcc_lo
; %bb.30:                               ;   in Loop: Header=BB149_4 Depth=1
	s_or_b32 exec_lo, exec_lo, s22
	s_delay_alu instid0(VALU_DEP_1) | instskip(NEXT) | instid1(VALU_DEP_1)
	v_fma_mix_f32_bf16 v2, s2, v14, v22 op_sel:[0,0,1] op_sel_hi:[0,0,1]
	v_and_b32_e32 v14, 0x7f800000, v2
	s_delay_alu instid0(VALU_DEP_1) | instskip(SKIP_1) | instid1(SALU_CYCLE_1)
	v_cmp_ne_u32_e32 vcc_lo, 0x7f800000, v14
                                        ; implicit-def: $vgpr14
	s_and_saveexec_b32 s22, vcc_lo
	s_xor_b32 s22, exec_lo, s22
; %bb.31:                               ;   in Loop: Header=BB149_4 Depth=1
	v_bfe_u32 v14, v2, 16, 1
	s_delay_alu instid0(VALU_DEP_1)
	v_add3_u32 v14, v2, v14, 0x7fff
                                        ; implicit-def: $vgpr2
; %bb.32:                               ;   in Loop: Header=BB149_4 Depth=1
	s_and_not1_saveexec_b32 s22, s22
; %bb.33:                               ;   in Loop: Header=BB149_4 Depth=1
	v_and_b32_e32 v14, 0xffff, v2
	v_or_b32_e32 v22, 0x10000, v2
	s_delay_alu instid0(VALU_DEP_2) | instskip(NEXT) | instid1(VALU_DEP_2)
	v_cmp_eq_u32_e32 vcc_lo, 0, v14
	v_cndmask_b32_e32 v14, v22, v2, vcc_lo
; %bb.34:                               ;   in Loop: Header=BB149_4 Depth=1
	s_or_b32 exec_lo, exec_lo, s22
	v_lshl_add_u64 v[18:19], v[4:5], 1, v[18:19]
	s_delay_alu instid0(VALU_DEP_1) | instskip(SKIP_4) | instid1(VALU_DEP_1)
	v_lshl_add_u64 v[22:23], v[0:1], 1, v[18:19]
	flat_store_d16_hi_b16 v[22:23], v14
	flat_load_u16 v2, v[20:21] offset:32
	s_wait_loadcnt_dscnt 0x0
	v_lshlrev_b32_e32 v2, 16, v2
	v_mul_f32_e32 v2, s30, v2
	s_wait_xcnt 0x1
	s_delay_alu instid0(VALU_DEP_1) | instskip(NEXT) | instid1(VALU_DEP_1)
	v_and_b32_e32 v14, 0x7f800000, v2
	v_cmp_ne_u32_e32 vcc_lo, 0x7f800000, v14
                                        ; implicit-def: $vgpr14
	s_wait_xcnt 0x0
	s_and_saveexec_b32 s22, vcc_lo
	s_delay_alu instid0(SALU_CYCLE_1)
	s_xor_b32 s22, exec_lo, s22
; %bb.35:                               ;   in Loop: Header=BB149_4 Depth=1
	v_bfe_u32 v14, v2, 16, 1
	s_delay_alu instid0(VALU_DEP_1)
	v_add3_u32 v14, v2, v14, 0x7fff
                                        ; implicit-def: $vgpr2
; %bb.36:                               ;   in Loop: Header=BB149_4 Depth=1
	s_and_not1_saveexec_b32 s22, s22
; %bb.37:                               ;   in Loop: Header=BB149_4 Depth=1
	v_and_b32_e32 v14, 0xffff, v2
	v_or_b32_e32 v20, 0x10000, v2
	s_delay_alu instid0(VALU_DEP_2) | instskip(NEXT) | instid1(VALU_DEP_2)
	v_cmp_eq_u32_e32 vcc_lo, 0, v14
	v_cndmask_b32_e32 v14, v20, v2, vcc_lo
; %bb.38:                               ;   in Loop: Header=BB149_4 Depth=1
	s_or_b32 exec_lo, exec_lo, s22
	s_delay_alu instid0(VALU_DEP_1) | instskip(SKIP_1) | instid1(VALU_DEP_1)
	v_fma_mix_f32_bf16 v2, s2, v15, v14 op_sel:[0,0,1] op_sel_hi:[0,0,1]
	s_mov_b32 s22, exec_lo
                                        ; implicit-def: $vgpr20
	v_and_b32_e32 v14, 0x7f800000, v2
	s_delay_alu instid0(VALU_DEP_1)
	v_cmpx_ne_u32_e32 0x7f800000, v14
	s_xor_b32 s22, exec_lo, s22
; %bb.39:                               ;   in Loop: Header=BB149_4 Depth=1
	v_bfe_u32 v14, v2, 16, 1
	s_delay_alu instid0(VALU_DEP_1)
	v_add3_u32 v20, v2, v14, 0x7fff
                                        ; implicit-def: $vgpr2
; %bb.40:                               ;   in Loop: Header=BB149_4 Depth=1
	s_and_not1_saveexec_b32 s22, s22
; %bb.41:                               ;   in Loop: Header=BB149_4 Depth=1
	v_and_b32_e32 v14, 0xffff, v2
	v_or_b32_e32 v15, 0x10000, v2
	s_delay_alu instid0(VALU_DEP_2) | instskip(NEXT) | instid1(VALU_DEP_2)
	v_cmp_eq_u32_e32 vcc_lo, 0, v14
	v_cndmask_b32_e32 v20, v15, v2, vcc_lo
; %bb.42:                               ;   in Loop: Header=BB149_4 Depth=1
	s_or_b32 exec_lo, exec_lo, s22
	v_lshl_add_u64 v[14:15], s[14:15], 1, v[16:17]
	flat_store_d16_hi_b16 v[22:23], v20 offset:32
	v_lshl_add_u64 v[14:15], v[0:1], 1, v[14:15]
	flat_load_u16 v2, v[14:15]
	s_wait_loadcnt_dscnt 0x0
	v_lshlrev_b32_e32 v2, 16, v2
	s_delay_alu instid0(VALU_DEP_1) | instskip(NEXT) | instid1(VALU_DEP_1)
	v_mul_f32_e32 v2, s30, v2
	v_and_b32_e32 v16, 0x7f800000, v2
	s_delay_alu instid0(VALU_DEP_1) | instskip(SKIP_2) | instid1(SALU_CYCLE_1)
	v_cmp_ne_u32_e32 vcc_lo, 0x7f800000, v16
                                        ; implicit-def: $vgpr16
	s_wait_xcnt 0x0
	s_and_saveexec_b32 s22, vcc_lo
	s_xor_b32 s22, exec_lo, s22
; %bb.43:                               ;   in Loop: Header=BB149_4 Depth=1
	v_bfe_u32 v16, v2, 16, 1
	s_delay_alu instid0(VALU_DEP_1)
	v_add3_u32 v16, v2, v16, 0x7fff
                                        ; implicit-def: $vgpr2
; %bb.44:                               ;   in Loop: Header=BB149_4 Depth=1
	s_and_not1_saveexec_b32 s22, s22
; %bb.45:                               ;   in Loop: Header=BB149_4 Depth=1
	v_and_b32_e32 v16, 0xffff, v2
	v_or_b32_e32 v17, 0x10000, v2
	s_delay_alu instid0(VALU_DEP_2) | instskip(NEXT) | instid1(VALU_DEP_2)
	v_cmp_eq_u32_e32 vcc_lo, 0, v16
	v_cndmask_b32_e32 v16, v17, v2, vcc_lo
; %bb.46:                               ;   in Loop: Header=BB149_4 Depth=1
	s_or_b32 exec_lo, exec_lo, s22
	s_delay_alu instid0(VALU_DEP_1) | instskip(NEXT) | instid1(VALU_DEP_1)
	v_fma_mix_f32_bf16 v2, s2, v12, v16 op_sel:[0,0,1] op_sel_hi:[0,0,1]
	v_and_b32_e32 v12, 0x7f800000, v2
	s_delay_alu instid0(VALU_DEP_1) | instskip(SKIP_1) | instid1(SALU_CYCLE_1)
	v_cmp_ne_u32_e32 vcc_lo, 0x7f800000, v12
                                        ; implicit-def: $vgpr12
	s_and_saveexec_b32 s22, vcc_lo
	s_xor_b32 s22, exec_lo, s22
; %bb.47:                               ;   in Loop: Header=BB149_4 Depth=1
	v_bfe_u32 v12, v2, 16, 1
	s_delay_alu instid0(VALU_DEP_1)
	v_add3_u32 v12, v2, v12, 0x7fff
                                        ; implicit-def: $vgpr2
; %bb.48:                               ;   in Loop: Header=BB149_4 Depth=1
	s_and_not1_saveexec_b32 s22, s22
; %bb.49:                               ;   in Loop: Header=BB149_4 Depth=1
	v_and_b32_e32 v12, 0xffff, v2
	v_or_b32_e32 v16, 0x10000, v2
	s_delay_alu instid0(VALU_DEP_2) | instskip(NEXT) | instid1(VALU_DEP_2)
	v_cmp_eq_u32_e32 vcc_lo, 0, v12
	v_cndmask_b32_e32 v12, v16, v2, vcc_lo
; %bb.50:                               ;   in Loop: Header=BB149_4 Depth=1
	s_or_b32 exec_lo, exec_lo, s22
	v_lshl_add_u64 v[16:17], s[20:21], 1, v[18:19]
	s_delay_alu instid0(VALU_DEP_1) | instskip(SKIP_4) | instid1(VALU_DEP_1)
	v_lshl_add_u64 v[16:17], v[0:1], 1, v[16:17]
	flat_store_d16_hi_b16 v[16:17], v12
	flat_load_u16 v2, v[14:15] offset:32
	s_wait_loadcnt_dscnt 0x0
	v_lshlrev_b32_e32 v2, 16, v2
	v_mul_f32_e32 v2, s30, v2
	s_wait_xcnt 0x1
	s_delay_alu instid0(VALU_DEP_1) | instskip(NEXT) | instid1(VALU_DEP_1)
	v_and_b32_e32 v12, 0x7f800000, v2
	v_cmp_ne_u32_e32 vcc_lo, 0x7f800000, v12
                                        ; implicit-def: $vgpr12
	s_wait_xcnt 0x0
	s_and_saveexec_b32 s22, vcc_lo
	s_delay_alu instid0(SALU_CYCLE_1)
	s_xor_b32 s22, exec_lo, s22
; %bb.51:                               ;   in Loop: Header=BB149_4 Depth=1
	v_bfe_u32 v12, v2, 16, 1
	s_delay_alu instid0(VALU_DEP_1)
	v_add3_u32 v12, v2, v12, 0x7fff
                                        ; implicit-def: $vgpr2
; %bb.52:                               ;   in Loop: Header=BB149_4 Depth=1
	s_and_not1_saveexec_b32 s22, s22
; %bb.53:                               ;   in Loop: Header=BB149_4 Depth=1
	v_and_b32_e32 v12, 0xffff, v2
	v_or_b32_e32 v14, 0x10000, v2
	s_delay_alu instid0(VALU_DEP_2) | instskip(NEXT) | instid1(VALU_DEP_2)
	v_cmp_eq_u32_e32 vcc_lo, 0, v12
	v_cndmask_b32_e32 v12, v14, v2, vcc_lo
; %bb.54:                               ;   in Loop: Header=BB149_4 Depth=1
	s_or_b32 exec_lo, exec_lo, s22
	s_delay_alu instid0(VALU_DEP_1) | instskip(NEXT) | instid1(VALU_DEP_1)
	v_fma_mix_f32_bf16 v2, s2, v13, v12 op_sel:[0,0,1] op_sel_hi:[0,0,1]
	v_and_b32_e32 v12, 0x7f800000, v2
	s_delay_alu instid0(VALU_DEP_1) | instskip(SKIP_1) | instid1(SALU_CYCLE_1)
	v_cmp_ne_u32_e32 vcc_lo, 0x7f800000, v12
                                        ; implicit-def: $vgpr12
	s_and_saveexec_b32 s22, vcc_lo
	s_xor_b32 s22, exec_lo, s22
; %bb.55:                               ;   in Loop: Header=BB149_4 Depth=1
	v_bfe_u32 v12, v2, 16, 1
	s_delay_alu instid0(VALU_DEP_1)
	v_add3_u32 v12, v2, v12, 0x7fff
                                        ; implicit-def: $vgpr2
; %bb.56:                               ;   in Loop: Header=BB149_4 Depth=1
	s_and_not1_saveexec_b32 s22, s22
	s_cbranch_execz .LBB149_2
; %bb.57:                               ;   in Loop: Header=BB149_4 Depth=1
	v_and_b32_e32 v12, 0xffff, v2
	v_or_b32_e32 v13, 0x10000, v2
	s_delay_alu instid0(VALU_DEP_2) | instskip(NEXT) | instid1(VALU_DEP_2)
	v_cmp_eq_u32_e32 vcc_lo, 0, v12
	v_cndmask_b32_e32 v12, v13, v2, vcc_lo
	s_branch .LBB149_2
.LBB149_58:
	s_endpgm
	.section	.rodata,"a",@progbits
	.p2align	6, 0x0
	.amdhsa_kernel _ZN12_GLOBAL__N_127rocblas_gemm_batched_kernelIfLi16ELi16ELi32ELi32ELi8ELi32ELi8ELi8ELi32ELc78ELc78EKPK16rocblas_bfloat16S4_KPS1_EEvlllT_PT11_llS9_llS7_PT12_llPT13_lli
		.amdhsa_group_segment_fixed_size 2048
		.amdhsa_private_segment_fixed_size 0
		.amdhsa_kernarg_size 140
		.amdhsa_user_sgpr_count 2
		.amdhsa_user_sgpr_dispatch_ptr 0
		.amdhsa_user_sgpr_queue_ptr 0
		.amdhsa_user_sgpr_kernarg_segment_ptr 1
		.amdhsa_user_sgpr_dispatch_id 0
		.amdhsa_user_sgpr_kernarg_preload_length 0
		.amdhsa_user_sgpr_kernarg_preload_offset 0
		.amdhsa_user_sgpr_private_segment_size 0
		.amdhsa_wavefront_size32 1
		.amdhsa_uses_dynamic_stack 0
		.amdhsa_enable_private_segment 0
		.amdhsa_system_sgpr_workgroup_id_x 1
		.amdhsa_system_sgpr_workgroup_id_y 1
		.amdhsa_system_sgpr_workgroup_id_z 1
		.amdhsa_system_sgpr_workgroup_info 0
		.amdhsa_system_vgpr_workitem_id 1
		.amdhsa_next_free_vgpr 58
		.amdhsa_next_free_sgpr 38
		.amdhsa_named_barrier_count 0
		.amdhsa_reserve_vcc 1
		.amdhsa_float_round_mode_32 0
		.amdhsa_float_round_mode_16_64 0
		.amdhsa_float_denorm_mode_32 3
		.amdhsa_float_denorm_mode_16_64 3
		.amdhsa_fp16_overflow 0
		.amdhsa_memory_ordered 1
		.amdhsa_forward_progress 1
		.amdhsa_inst_pref_size 20
		.amdhsa_round_robin_scheduling 0
		.amdhsa_exception_fp_ieee_invalid_op 0
		.amdhsa_exception_fp_denorm_src 0
		.amdhsa_exception_fp_ieee_div_zero 0
		.amdhsa_exception_fp_ieee_overflow 0
		.amdhsa_exception_fp_ieee_underflow 0
		.amdhsa_exception_fp_ieee_inexact 0
		.amdhsa_exception_int_div_zero 0
	.end_amdhsa_kernel
	.section	.text._ZN12_GLOBAL__N_127rocblas_gemm_batched_kernelIfLi16ELi16ELi32ELi32ELi8ELi32ELi8ELi8ELi32ELc78ELc78EKPK16rocblas_bfloat16S4_KPS1_EEvlllT_PT11_llS9_llS7_PT12_llPT13_lli,"axG",@progbits,_ZN12_GLOBAL__N_127rocblas_gemm_batched_kernelIfLi16ELi16ELi32ELi32ELi8ELi32ELi8ELi8ELi32ELc78ELc78EKPK16rocblas_bfloat16S4_KPS1_EEvlllT_PT11_llS9_llS7_PT12_llPT13_lli,comdat
.Lfunc_end149:
	.size	_ZN12_GLOBAL__N_127rocblas_gemm_batched_kernelIfLi16ELi16ELi32ELi32ELi8ELi32ELi8ELi8ELi32ELc78ELc78EKPK16rocblas_bfloat16S4_KPS1_EEvlllT_PT11_llS9_llS7_PT12_llPT13_lli, .Lfunc_end149-_ZN12_GLOBAL__N_127rocblas_gemm_batched_kernelIfLi16ELi16ELi32ELi32ELi8ELi32ELi8ELi8ELi32ELc78ELc78EKPK16rocblas_bfloat16S4_KPS1_EEvlllT_PT11_llS9_llS7_PT12_llPT13_lli
                                        ; -- End function
	.set _ZN12_GLOBAL__N_127rocblas_gemm_batched_kernelIfLi16ELi16ELi32ELi32ELi8ELi32ELi8ELi8ELi32ELc78ELc78EKPK16rocblas_bfloat16S4_KPS1_EEvlllT_PT11_llS9_llS7_PT12_llPT13_lli.num_vgpr, 58
	.set _ZN12_GLOBAL__N_127rocblas_gemm_batched_kernelIfLi16ELi16ELi32ELi32ELi8ELi32ELi8ELi8ELi32ELc78ELc78EKPK16rocblas_bfloat16S4_KPS1_EEvlllT_PT11_llS9_llS7_PT12_llPT13_lli.num_agpr, 0
	.set _ZN12_GLOBAL__N_127rocblas_gemm_batched_kernelIfLi16ELi16ELi32ELi32ELi8ELi32ELi8ELi8ELi32ELc78ELc78EKPK16rocblas_bfloat16S4_KPS1_EEvlllT_PT11_llS9_llS7_PT12_llPT13_lli.numbered_sgpr, 38
	.set _ZN12_GLOBAL__N_127rocblas_gemm_batched_kernelIfLi16ELi16ELi32ELi32ELi8ELi32ELi8ELi8ELi32ELc78ELc78EKPK16rocblas_bfloat16S4_KPS1_EEvlllT_PT11_llS9_llS7_PT12_llPT13_lli.num_named_barrier, 0
	.set _ZN12_GLOBAL__N_127rocblas_gemm_batched_kernelIfLi16ELi16ELi32ELi32ELi8ELi32ELi8ELi8ELi32ELc78ELc78EKPK16rocblas_bfloat16S4_KPS1_EEvlllT_PT11_llS9_llS7_PT12_llPT13_lli.private_seg_size, 0
	.set _ZN12_GLOBAL__N_127rocblas_gemm_batched_kernelIfLi16ELi16ELi32ELi32ELi8ELi32ELi8ELi8ELi32ELc78ELc78EKPK16rocblas_bfloat16S4_KPS1_EEvlllT_PT11_llS9_llS7_PT12_llPT13_lli.uses_vcc, 1
	.set _ZN12_GLOBAL__N_127rocblas_gemm_batched_kernelIfLi16ELi16ELi32ELi32ELi8ELi32ELi8ELi8ELi32ELc78ELc78EKPK16rocblas_bfloat16S4_KPS1_EEvlllT_PT11_llS9_llS7_PT12_llPT13_lli.uses_flat_scratch, 0
	.set _ZN12_GLOBAL__N_127rocblas_gemm_batched_kernelIfLi16ELi16ELi32ELi32ELi8ELi32ELi8ELi8ELi32ELc78ELc78EKPK16rocblas_bfloat16S4_KPS1_EEvlllT_PT11_llS9_llS7_PT12_llPT13_lli.has_dyn_sized_stack, 0
	.set _ZN12_GLOBAL__N_127rocblas_gemm_batched_kernelIfLi16ELi16ELi32ELi32ELi8ELi32ELi8ELi8ELi32ELc78ELc78EKPK16rocblas_bfloat16S4_KPS1_EEvlllT_PT11_llS9_llS7_PT12_llPT13_lli.has_recursion, 0
	.set _ZN12_GLOBAL__N_127rocblas_gemm_batched_kernelIfLi16ELi16ELi32ELi32ELi8ELi32ELi8ELi8ELi32ELc78ELc78EKPK16rocblas_bfloat16S4_KPS1_EEvlllT_PT11_llS9_llS7_PT12_llPT13_lli.has_indirect_call, 0
	.section	.AMDGPU.csdata,"",@progbits
; Kernel info:
; codeLenInByte = 2548
; TotalNumSgprs: 40
; NumVgprs: 58
; ScratchSize: 0
; MemoryBound: 0
; FloatMode: 240
; IeeeMode: 1
; LDSByteSize: 2048 bytes/workgroup (compile time only)
; SGPRBlocks: 0
; VGPRBlocks: 3
; NumSGPRsForWavesPerEU: 40
; NumVGPRsForWavesPerEU: 58
; NamedBarCnt: 0
; Occupancy: 16
; WaveLimiterHint : 1
; COMPUTE_PGM_RSRC2:SCRATCH_EN: 0
; COMPUTE_PGM_RSRC2:USER_SGPR: 2
; COMPUTE_PGM_RSRC2:TRAP_HANDLER: 0
; COMPUTE_PGM_RSRC2:TGID_X_EN: 1
; COMPUTE_PGM_RSRC2:TGID_Y_EN: 1
; COMPUTE_PGM_RSRC2:TGID_Z_EN: 1
; COMPUTE_PGM_RSRC2:TIDIG_COMP_CNT: 1
	.section	.text._ZN12_GLOBAL__N_127rocblas_gemm_batched_kernelIfLi16ELi16ELi32ELi32ELi8ELi32ELi8ELi8ELi32ELc84ELc78EKPK16rocblas_bfloat16S4_KPS1_EEvlllT_PT11_llS9_llS7_PT12_llPT13_lli,"axG",@progbits,_ZN12_GLOBAL__N_127rocblas_gemm_batched_kernelIfLi16ELi16ELi32ELi32ELi8ELi32ELi8ELi8ELi32ELc84ELc78EKPK16rocblas_bfloat16S4_KPS1_EEvlllT_PT11_llS9_llS7_PT12_llPT13_lli,comdat
	.globl	_ZN12_GLOBAL__N_127rocblas_gemm_batched_kernelIfLi16ELi16ELi32ELi32ELi8ELi32ELi8ELi8ELi32ELc84ELc78EKPK16rocblas_bfloat16S4_KPS1_EEvlllT_PT11_llS9_llS7_PT12_llPT13_lli ; -- Begin function _ZN12_GLOBAL__N_127rocblas_gemm_batched_kernelIfLi16ELi16ELi32ELi32ELi8ELi32ELi8ELi8ELi32ELc84ELc78EKPK16rocblas_bfloat16S4_KPS1_EEvlllT_PT11_llS9_llS7_PT12_llPT13_lli
	.p2align	8
	.type	_ZN12_GLOBAL__N_127rocblas_gemm_batched_kernelIfLi16ELi16ELi32ELi32ELi8ELi32ELi8ELi8ELi32ELc84ELc78EKPK16rocblas_bfloat16S4_KPS1_EEvlllT_PT11_llS9_llS7_PT12_llPT13_lli,@function
_ZN12_GLOBAL__N_127rocblas_gemm_batched_kernelIfLi16ELi16ELi32ELi32ELi8ELi32ELi8ELi8ELi32ELc84ELc78EKPK16rocblas_bfloat16S4_KPS1_EEvlllT_PT11_llS9_llS7_PT12_llPT13_lli: ; @_ZN12_GLOBAL__N_127rocblas_gemm_batched_kernelIfLi16ELi16ELi32ELi32ELi8ELi32ELi8ELi8ELi32ELc84ELc78EKPK16rocblas_bfloat16S4_KPS1_EEvlllT_PT11_llS9_llS7_PT12_llPT13_lli
; %bb.0:
	s_load_b32 s3, s[0:1], 0x88
	s_bfe_u32 s2, ttmp6, 0x40014
	s_lshr_b32 s4, ttmp7, 16
	s_add_co_i32 s2, s2, 1
	s_bfe_u32 s6, ttmp6, 0x40008
	s_mul_i32 s5, s4, s2
	s_getreg_b32 s2, hwreg(HW_REG_IB_STS2, 6, 4)
	s_add_co_i32 s6, s6, s5
	s_cmp_eq_u32 s2, 0
	s_mov_b32 s29, 0
	s_cselect_b32 s28, s4, s6
	s_wait_kmcnt 0x0
	s_cmp_ge_i32 s28, s3
	s_cbranch_scc1 .LBB150_58
; %bb.1:
	v_bfe_u32 v2, v0, 10, 10
	v_and_b32_e32 v8, 0x3ff, v0
	s_bfe_u32 s12, ttmp6, 0x4000c
	s_bfe_u32 s14, ttmp6, 0x40010
	s_clause 0x2
	s_load_b256 s[4:11], s[0:1], 0x20
	s_load_b128 s[20:23], s[0:1], 0x40
	s_load_b32 s30, s[0:1], 0x50
	s_add_co_i32 s12, s12, 1
	s_and_b32 s15, ttmp7, 0xffff
	s_add_co_i32 s14, s14, 1
	v_lshl_add_u32 v1, v2, 4, v8
	v_mov_b32_e32 v3, 0
	s_and_b32 s13, ttmp6, 15
	s_mul_i32 s12, ttmp9, s12
	s_mul_i32 s14, s15, s14
	s_bfe_u32 s16, ttmp6, 0x40004
	s_add_co_i32 s13, s13, s12
	s_add_co_i32 s16, s16, s14
	s_cmp_eq_u32 s2, 0
	v_dual_mov_b32 v11, v3 :: v_dual_lshrrev_b32 v10, 3, v1
	v_and_b32_e32 v16, 31, v1
	s_cselect_b32 s2, s15, s16
	s_cselect_b32 s12, ttmp9, s13
	s_lshl_b32 s34, s2, 5
	s_mov_b32 s35, s29
	s_ashr_i32 s13, s12, 31
	v_add_nc_u64_e32 v[4:5], s[34:35], v[10:11]
	s_load_b128 s[24:27], s[0:1], 0x78
	s_lshl_b64 s[36:37], s[12:13], 5
	s_load_b256 s[12:19], s[0:1], 0x58
	v_dual_mov_b32 v7, s37 :: v_dual_bitop2_b32 v6, s36, v16 bitop3:0x54
	s_wait_xcnt 0x0
	s_load_b96 s[0:2], s[0:1], 0x10
	s_wait_kmcnt 0x0
	v_mul_u64_e32 v[12:13], s[20:21], v[4:5]
	s_cmp_eq_f32 s30, 0
	v_dual_mov_b32 v9, v3 :: v_dual_bitop2_b32 v0, 7, v0 bitop3:0x40
	v_mul_u64_e32 v[14:15], s[6:7], v[6:7]
	v_add_nc_u64_e32 v[6:7], s[34:35], v[2:3]
	s_cselect_b32 s31, -1, 0
	s_lshl_b64 s[6:7], s[22:23], 1
	v_dual_lshlrev_b32 v11, 2, v0 :: v_dual_lshrrev_b32 v17, 5, v1
	v_lshl_add_u32 v24, v2, 5, 0x400
	v_lshlrev_b32_e32 v2, 1, v0
	v_lshlrev_b32_e32 v16, 2, v16
	;; [unrolled: 1-line block ×3, first 2 shown]
	v_mul_u64_e32 v[4:5], s[24:25], v[6:7]
	v_add_nc_u64_e32 v[8:9], s[36:37], v[8:9]
	v_mul_u64_e32 v[6:7], s[14:15], v[6:7]
	s_lshl_b64 s[16:17], s[16:17], 1
	v_cmp_gt_i64_e64 s22, s[0:1], 0
	v_lshl_add_u64 v[0:1], v[12:13], 1, s[6:7]
	s_lshl_b64 s[6:7], s[8:9], 1
	v_lshl_or_b32 v12, v10, 5, v11
	s_lshl_b64 s[8:9], s[14:15], 4
	v_lshl_add_u64 v[10:11], v[14:15], 1, s[6:7]
	v_add_nc_u64_e32 v[0:1], v[0:1], v[2:3]
	v_lshlrev_b32_e32 v2, 1, v17
	v_lshl_or_b32 v25, v17, 7, v16
	v_add_nc_u32_e32 v26, 0x400, v12
	s_lshl_b64 s[6:7], s[24:25], 4
	s_lshl_b64 s[14:15], s[26:27], 1
	v_add_nc_u64_e32 v[10:11], v[10:11], v[2:3]
	s_branch .LBB150_4
.LBB150_2:                              ;   in Loop: Header=BB150_4 Depth=1
	s_or_b32 exec_lo, exec_lo, s20
	flat_store_d16_hi_b16 v[16:17], v12 offset:32
.LBB150_3:                              ;   in Loop: Header=BB150_4 Depth=1
	s_add_co_i32 s28, s28, 0x10000
	s_delay_alu instid0(SALU_CYCLE_1)
	s_cmp_lt_i32 s28, s3
	s_cbranch_scc0 .LBB150_58
.LBB150_4:                              ; =>This Loop Header: Depth=1
                                        ;     Child Loop BB150_6 Depth 2
	s_wait_xcnt 0x0
	v_dual_mov_b32 v2, s28 :: v_dual_mov_b32 v15, 0
	v_dual_mov_b32 v14, 0 :: v_dual_mov_b32 v13, 0
	v_mov_b32_e32 v12, 0
	s_clause 0x1
	global_load_b64 v[16:17], v2, s[12:13] scale_offset
	global_load_b64 v[18:19], v2, s[18:19] scale_offset
	s_and_not1_b32 vcc_lo, exec_lo, s22
	s_cbranch_vccnz .LBB150_7
; %bb.5:                                ;   in Loop: Header=BB150_4 Depth=1
	s_lshl_b64 s[20:21], s[28:29], 3
	v_mov_b32_e32 v12, 0
	s_add_nc_u64 s[24:25], s[10:11], s[20:21]
	s_add_nc_u64 s[20:21], s[4:5], s[20:21]
	s_clause 0x1
	global_load_b64 v[14:15], v3, s[24:25]
	global_load_b64 v[22:23], v3, s[20:21]
	s_wait_xcnt 0x0
	s_mov_b64 s[20:21], 0
	v_mov_b32_e32 v13, v12
	s_wait_loadcnt 0x1
	v_add_nc_u64_e32 v[20:21], v[14:15], v[0:1]
	s_wait_loadcnt 0x0
	v_add_nc_u64_e32 v[22:23], v[22:23], v[10:11]
	v_dual_mov_b32 v14, v12 :: v_dual_mov_b32 v15, v12
.LBB150_6:                              ;   Parent Loop BB150_4 Depth=1
                                        ; =>  This Inner Loop Header: Depth=2
	flat_load_u16 v2, v[22:23]
	flat_load_u16 v28, v[20:21]
	s_add_nc_u64 s[20:21], s[20:21], 8
	s_wait_xcnt 0x0
	v_add_nc_u64_e32 v[20:21], 16, v[20:21]
	v_cmp_lt_i64_e64 s23, s[20:21], s[0:1]
	v_add_nc_u64_e32 v[22:23], 16, v[22:23]
	s_and_b32 vcc_lo, exec_lo, s23
	s_wait_loadcnt_dscnt 0x0
	v_dual_lshlrev_b32 v2, 16, v2 :: v_dual_lshlrev_b32 v28, 16, v28
	ds_store_b32 v25, v2
	ds_store_b32 v26, v28
	s_wait_dscnt 0x0
	s_barrier_signal -1
	s_barrier_wait -1
	ds_load_b128 v[28:31], v24
	ds_load_2addr_b32 v[44:45], v27 offset1:16
	ds_load_b128 v[32:35], v24 offset:512
	ds_load_2addr_b32 v[46:47], v27 offset0:32 offset1:48
	ds_load_2addr_b32 v[48:49], v27 offset0:64 offset1:80
	ds_load_b128 v[36:39], v24 offset:16
	ds_load_2addr_b32 v[50:51], v27 offset0:96 offset1:112
	ds_load_2addr_b32 v[52:53], v27 offset0:128 offset1:144
	;; [unrolled: 3-line block ×3, first 2 shown]
	s_wait_dscnt 0xa
	v_mov_b32_e32 v2, v31
	s_wait_dscnt 0x9
	v_pk_fma_f32 v[14:15], v[44:45], v[28:29], v[14:15] op_sel_hi:[1,0,1]
	s_wait_dscnt 0x8
	v_pk_fma_f32 v[12:13], v[44:45], v[32:33], v[12:13] op_sel_hi:[1,0,1]
	s_wait_dscnt 0x7
	s_delay_alu instid0(VALU_DEP_2) | instskip(NEXT) | instid1(VALU_DEP_2)
	v_pk_fma_f32 v[14:15], v[46:47], v[28:29], v[14:15] op_sel:[0,1,0]
	v_pk_fma_f32 v[12:13], v[46:47], v[32:33], v[12:13] op_sel:[0,1,0]
	v_mov_b32_e32 v28, v35
	s_wait_dscnt 0x6
	s_delay_alu instid0(VALU_DEP_3) | instskip(NEXT) | instid1(VALU_DEP_3)
	v_pk_fma_f32 v[14:15], v[48:49], v[30:31], v[14:15] op_sel_hi:[1,0,1]
	v_pk_fma_f32 v[12:13], v[48:49], v[34:35], v[12:13] op_sel_hi:[1,0,1]
	ds_load_2addr_b32 v[30:31], v27 offset0:224 offset1:240
	s_wait_dscnt 0x0
	s_barrier_signal -1
	v_pk_fma_f32 v[14:15], v[50:51], v[2:3], v[14:15] op_sel_hi:[1,0,1]
	v_pk_fma_f32 v[12:13], v[50:51], v[28:29], v[12:13] op_sel_hi:[1,0,1]
	v_dual_mov_b32 v2, v39 :: v_dual_mov_b32 v28, v43
	s_barrier_wait -1
	s_delay_alu instid0(VALU_DEP_3) | instskip(NEXT) | instid1(VALU_DEP_3)
	v_pk_fma_f32 v[14:15], v[52:53], v[36:37], v[14:15] op_sel_hi:[1,0,1]
	v_pk_fma_f32 v[12:13], v[52:53], v[40:41], v[12:13] op_sel_hi:[1,0,1]
	s_delay_alu instid0(VALU_DEP_2) | instskip(NEXT) | instid1(VALU_DEP_2)
	v_pk_fma_f32 v[14:15], v[54:55], v[36:37], v[14:15] op_sel:[0,1,0]
	v_pk_fma_f32 v[12:13], v[54:55], v[40:41], v[12:13] op_sel:[0,1,0]
	s_delay_alu instid0(VALU_DEP_2) | instskip(NEXT) | instid1(VALU_DEP_2)
	v_pk_fma_f32 v[14:15], v[56:57], v[38:39], v[14:15] op_sel_hi:[1,0,1]
	v_pk_fma_f32 v[12:13], v[56:57], v[42:43], v[12:13] op_sel_hi:[1,0,1]
	s_delay_alu instid0(VALU_DEP_2) | instskip(NEXT) | instid1(VALU_DEP_2)
	v_pk_fma_f32 v[14:15], v[30:31], v[2:3], v[14:15] op_sel_hi:[1,0,1]
	v_pk_fma_f32 v[12:13], v[30:31], v[28:29], v[12:13] op_sel_hi:[1,0,1]
	s_cbranch_vccnz .LBB150_6
.LBB150_7:                              ;   in Loop: Header=BB150_4 Depth=1
	s_wait_loadcnt 0x0
	v_add_nc_u64_e32 v[18:19], s[14:15], v[18:19]
	s_and_not1_b32 vcc_lo, exec_lo, s31
	s_cbranch_vccnz .LBB150_25
; %bb.8:                                ;   in Loop: Header=BB150_4 Depth=1
	v_mul_f32_e32 v20, s2, v14
	s_wait_xcnt 0x0
	s_delay_alu instid0(VALU_DEP_1) | instskip(NEXT) | instid1(VALU_DEP_1)
	v_and_b32_e32 v2, 0x7f800000, v20
	v_cmp_ne_u32_e32 vcc_lo, 0x7f800000, v2
                                        ; implicit-def: $vgpr2
	s_and_saveexec_b32 s20, vcc_lo
	s_delay_alu instid0(SALU_CYCLE_1)
	s_xor_b32 s20, exec_lo, s20
; %bb.9:                                ;   in Loop: Header=BB150_4 Depth=1
	v_bfe_u32 v2, v20, 16, 1
	s_delay_alu instid0(VALU_DEP_1)
	v_add3_u32 v2, v20, v2, 0x7fff
                                        ; implicit-def: $vgpr20
; %bb.10:                               ;   in Loop: Header=BB150_4 Depth=1
	s_and_not1_saveexec_b32 s20, s20
; %bb.11:                               ;   in Loop: Header=BB150_4 Depth=1
	v_and_b32_e32 v2, 0xffff, v20
	v_or_b32_e32 v21, 0x10000, v20
	s_delay_alu instid0(VALU_DEP_2) | instskip(NEXT) | instid1(VALU_DEP_2)
	v_cmp_eq_u32_e32 vcc_lo, 0, v2
	v_cndmask_b32_e32 v2, v21, v20, vcc_lo
; %bb.12:                               ;   in Loop: Header=BB150_4 Depth=1
	s_or_b32 exec_lo, exec_lo, s20
	v_mul_f32_e32 v28, s2, v15
	v_lshl_add_u64 v[20:21], v[4:5], 1, v[18:19]
	s_mov_b32 s20, exec_lo
	s_delay_alu instid0(VALU_DEP_2) | instskip(NEXT) | instid1(VALU_DEP_2)
	v_and_b32_e32 v29, 0x7f800000, v28
	v_lshl_add_u64 v[22:23], v[8:9], 1, v[20:21]
	flat_store_d16_hi_b16 v[22:23], v2
                                        ; implicit-def: $vgpr2
	s_wait_xcnt 0x0
	v_cmpx_ne_u32_e32 0x7f800000, v29
	s_xor_b32 s20, exec_lo, s20
; %bb.13:                               ;   in Loop: Header=BB150_4 Depth=1
	v_bfe_u32 v2, v28, 16, 1
	s_delay_alu instid0(VALU_DEP_1)
	v_add3_u32 v2, v28, v2, 0x7fff
                                        ; implicit-def: $vgpr28
; %bb.14:                               ;   in Loop: Header=BB150_4 Depth=1
	s_and_not1_saveexec_b32 s20, s20
; %bb.15:                               ;   in Loop: Header=BB150_4 Depth=1
	v_and_b32_e32 v2, 0xffff, v28
	v_or_b32_e32 v29, 0x10000, v28
	s_delay_alu instid0(VALU_DEP_2) | instskip(NEXT) | instid1(VALU_DEP_2)
	v_cmp_eq_u32_e32 vcc_lo, 0, v2
	v_cndmask_b32_e32 v2, v29, v28, vcc_lo
; %bb.16:                               ;   in Loop: Header=BB150_4 Depth=1
	s_or_b32 exec_lo, exec_lo, s20
	v_mul_f32_e32 v28, s2, v12
	s_mov_b32 s20, exec_lo
	flat_store_d16_hi_b16 v[22:23], v2 offset:32
                                        ; implicit-def: $vgpr2
	v_and_b32_e32 v29, 0x7f800000, v28
	s_wait_xcnt 0x0
	s_delay_alu instid0(VALU_DEP_1)
	v_cmpx_ne_u32_e32 0x7f800000, v29
	s_xor_b32 s20, exec_lo, s20
; %bb.17:                               ;   in Loop: Header=BB150_4 Depth=1
	v_bfe_u32 v2, v28, 16, 1
	s_delay_alu instid0(VALU_DEP_1)
	v_add3_u32 v2, v28, v2, 0x7fff
                                        ; implicit-def: $vgpr28
; %bb.18:                               ;   in Loop: Header=BB150_4 Depth=1
	s_and_not1_saveexec_b32 s20, s20
; %bb.19:                               ;   in Loop: Header=BB150_4 Depth=1
	v_and_b32_e32 v2, 0xffff, v28
	v_or_b32_e32 v22, 0x10000, v28
	s_delay_alu instid0(VALU_DEP_2) | instskip(NEXT) | instid1(VALU_DEP_2)
	v_cmp_eq_u32_e32 vcc_lo, 0, v2
	v_cndmask_b32_e32 v2, v22, v28, vcc_lo
; %bb.20:                               ;   in Loop: Header=BB150_4 Depth=1
	s_or_b32 exec_lo, exec_lo, s20
	v_mul_f32_e32 v22, s2, v13
	v_lshl_add_u64 v[20:21], s[6:7], 1, v[20:21]
	s_mov_b32 s20, exec_lo
	s_delay_alu instid0(VALU_DEP_2) | instskip(NEXT) | instid1(VALU_DEP_2)
	v_and_b32_e32 v23, 0x7f800000, v22
	v_lshl_add_u64 v[20:21], v[8:9], 1, v[20:21]
	flat_store_d16_hi_b16 v[20:21], v2
                                        ; implicit-def: $vgpr2
	s_wait_xcnt 0x0
	v_cmpx_ne_u32_e32 0x7f800000, v23
	s_xor_b32 s20, exec_lo, s20
; %bb.21:                               ;   in Loop: Header=BB150_4 Depth=1
	v_bfe_u32 v2, v22, 16, 1
	s_delay_alu instid0(VALU_DEP_1)
	v_add3_u32 v2, v22, v2, 0x7fff
                                        ; implicit-def: $vgpr22
; %bb.22:                               ;   in Loop: Header=BB150_4 Depth=1
	s_and_not1_saveexec_b32 s20, s20
; %bb.23:                               ;   in Loop: Header=BB150_4 Depth=1
	v_and_b32_e32 v2, 0xffff, v22
	v_or_b32_e32 v23, 0x10000, v22
	s_delay_alu instid0(VALU_DEP_2) | instskip(NEXT) | instid1(VALU_DEP_2)
	v_cmp_eq_u32_e32 vcc_lo, 0, v2
	v_cndmask_b32_e32 v2, v23, v22, vcc_lo
; %bb.24:                               ;   in Loop: Header=BB150_4 Depth=1
	s_or_b32 exec_lo, exec_lo, s20
	flat_store_d16_hi_b16 v[20:21], v2 offset:32
	s_branch .LBB150_3
.LBB150_25:                             ;   in Loop: Header=BB150_4 Depth=1
	s_cbranch_execz .LBB150_3
; %bb.26:                               ;   in Loop: Header=BB150_4 Depth=1
	v_add_nc_u64_e32 v[16:17], s[16:17], v[16:17]
	s_delay_alu instid0(VALU_DEP_1) | instskip(SKIP_1) | instid1(VALU_DEP_1)
	v_lshl_add_u64 v[16:17], v[6:7], 1, v[16:17]
	s_wait_xcnt 0x0
	v_lshl_add_u64 v[20:21], v[8:9], 1, v[16:17]
	flat_load_u16 v2, v[20:21]
	s_wait_loadcnt_dscnt 0x0
	v_lshlrev_b32_e32 v2, 16, v2
	s_delay_alu instid0(VALU_DEP_1) | instskip(NEXT) | instid1(VALU_DEP_1)
	v_mul_f32_e32 v2, s30, v2
	v_and_b32_e32 v22, 0x7f800000, v2
	s_delay_alu instid0(VALU_DEP_1) | instskip(SKIP_2) | instid1(SALU_CYCLE_1)
	v_cmp_ne_u32_e32 vcc_lo, 0x7f800000, v22
                                        ; implicit-def: $vgpr22
	s_wait_xcnt 0x0
	s_and_saveexec_b32 s20, vcc_lo
	s_xor_b32 s20, exec_lo, s20
; %bb.27:                               ;   in Loop: Header=BB150_4 Depth=1
	v_bfe_u32 v22, v2, 16, 1
	s_delay_alu instid0(VALU_DEP_1)
	v_add3_u32 v22, v2, v22, 0x7fff
                                        ; implicit-def: $vgpr2
; %bb.28:                               ;   in Loop: Header=BB150_4 Depth=1
	s_and_not1_saveexec_b32 s20, s20
; %bb.29:                               ;   in Loop: Header=BB150_4 Depth=1
	v_and_b32_e32 v22, 0xffff, v2
	v_or_b32_e32 v23, 0x10000, v2
	s_delay_alu instid0(VALU_DEP_2) | instskip(NEXT) | instid1(VALU_DEP_2)
	v_cmp_eq_u32_e32 vcc_lo, 0, v22
	v_cndmask_b32_e32 v22, v23, v2, vcc_lo
; %bb.30:                               ;   in Loop: Header=BB150_4 Depth=1
	s_or_b32 exec_lo, exec_lo, s20
	s_delay_alu instid0(VALU_DEP_1) | instskip(NEXT) | instid1(VALU_DEP_1)
	v_fma_mix_f32_bf16 v2, s2, v14, v22 op_sel:[0,0,1] op_sel_hi:[0,0,1]
	v_and_b32_e32 v14, 0x7f800000, v2
	s_delay_alu instid0(VALU_DEP_1) | instskip(SKIP_1) | instid1(SALU_CYCLE_1)
	v_cmp_ne_u32_e32 vcc_lo, 0x7f800000, v14
                                        ; implicit-def: $vgpr14
	s_and_saveexec_b32 s20, vcc_lo
	s_xor_b32 s20, exec_lo, s20
; %bb.31:                               ;   in Loop: Header=BB150_4 Depth=1
	v_bfe_u32 v14, v2, 16, 1
	s_delay_alu instid0(VALU_DEP_1)
	v_add3_u32 v14, v2, v14, 0x7fff
                                        ; implicit-def: $vgpr2
; %bb.32:                               ;   in Loop: Header=BB150_4 Depth=1
	s_and_not1_saveexec_b32 s20, s20
; %bb.33:                               ;   in Loop: Header=BB150_4 Depth=1
	v_and_b32_e32 v14, 0xffff, v2
	v_or_b32_e32 v22, 0x10000, v2
	s_delay_alu instid0(VALU_DEP_2) | instskip(NEXT) | instid1(VALU_DEP_2)
	v_cmp_eq_u32_e32 vcc_lo, 0, v14
	v_cndmask_b32_e32 v14, v22, v2, vcc_lo
; %bb.34:                               ;   in Loop: Header=BB150_4 Depth=1
	s_or_b32 exec_lo, exec_lo, s20
	v_lshl_add_u64 v[18:19], v[4:5], 1, v[18:19]
	s_delay_alu instid0(VALU_DEP_1) | instskip(SKIP_4) | instid1(VALU_DEP_1)
	v_lshl_add_u64 v[22:23], v[8:9], 1, v[18:19]
	flat_store_d16_hi_b16 v[22:23], v14
	flat_load_u16 v2, v[20:21] offset:32
	s_wait_loadcnt_dscnt 0x0
	v_lshlrev_b32_e32 v2, 16, v2
	v_mul_f32_e32 v2, s30, v2
	s_wait_xcnt 0x1
	s_delay_alu instid0(VALU_DEP_1) | instskip(NEXT) | instid1(VALU_DEP_1)
	v_and_b32_e32 v14, 0x7f800000, v2
	v_cmp_ne_u32_e32 vcc_lo, 0x7f800000, v14
                                        ; implicit-def: $vgpr14
	s_wait_xcnt 0x0
	s_and_saveexec_b32 s20, vcc_lo
	s_delay_alu instid0(SALU_CYCLE_1)
	s_xor_b32 s20, exec_lo, s20
; %bb.35:                               ;   in Loop: Header=BB150_4 Depth=1
	v_bfe_u32 v14, v2, 16, 1
	s_delay_alu instid0(VALU_DEP_1)
	v_add3_u32 v14, v2, v14, 0x7fff
                                        ; implicit-def: $vgpr2
; %bb.36:                               ;   in Loop: Header=BB150_4 Depth=1
	s_and_not1_saveexec_b32 s20, s20
; %bb.37:                               ;   in Loop: Header=BB150_4 Depth=1
	v_and_b32_e32 v14, 0xffff, v2
	v_or_b32_e32 v20, 0x10000, v2
	s_delay_alu instid0(VALU_DEP_2) | instskip(NEXT) | instid1(VALU_DEP_2)
	v_cmp_eq_u32_e32 vcc_lo, 0, v14
	v_cndmask_b32_e32 v14, v20, v2, vcc_lo
; %bb.38:                               ;   in Loop: Header=BB150_4 Depth=1
	s_or_b32 exec_lo, exec_lo, s20
	s_delay_alu instid0(VALU_DEP_1) | instskip(SKIP_1) | instid1(VALU_DEP_1)
	v_fma_mix_f32_bf16 v2, s2, v15, v14 op_sel:[0,0,1] op_sel_hi:[0,0,1]
	s_mov_b32 s20, exec_lo
                                        ; implicit-def: $vgpr20
	v_and_b32_e32 v14, 0x7f800000, v2
	s_delay_alu instid0(VALU_DEP_1)
	v_cmpx_ne_u32_e32 0x7f800000, v14
	s_xor_b32 s20, exec_lo, s20
; %bb.39:                               ;   in Loop: Header=BB150_4 Depth=1
	v_bfe_u32 v14, v2, 16, 1
	s_delay_alu instid0(VALU_DEP_1)
	v_add3_u32 v20, v2, v14, 0x7fff
                                        ; implicit-def: $vgpr2
; %bb.40:                               ;   in Loop: Header=BB150_4 Depth=1
	s_and_not1_saveexec_b32 s20, s20
; %bb.41:                               ;   in Loop: Header=BB150_4 Depth=1
	v_and_b32_e32 v14, 0xffff, v2
	v_or_b32_e32 v15, 0x10000, v2
	s_delay_alu instid0(VALU_DEP_2) | instskip(NEXT) | instid1(VALU_DEP_2)
	v_cmp_eq_u32_e32 vcc_lo, 0, v14
	v_cndmask_b32_e32 v20, v15, v2, vcc_lo
; %bb.42:                               ;   in Loop: Header=BB150_4 Depth=1
	s_or_b32 exec_lo, exec_lo, s20
	v_lshl_add_u64 v[14:15], s[8:9], 1, v[16:17]
	flat_store_d16_hi_b16 v[22:23], v20 offset:32
	v_lshl_add_u64 v[14:15], v[8:9], 1, v[14:15]
	flat_load_u16 v2, v[14:15]
	s_wait_loadcnt_dscnt 0x0
	v_lshlrev_b32_e32 v2, 16, v2
	s_delay_alu instid0(VALU_DEP_1) | instskip(NEXT) | instid1(VALU_DEP_1)
	v_mul_f32_e32 v2, s30, v2
	v_and_b32_e32 v16, 0x7f800000, v2
	s_delay_alu instid0(VALU_DEP_1) | instskip(SKIP_2) | instid1(SALU_CYCLE_1)
	v_cmp_ne_u32_e32 vcc_lo, 0x7f800000, v16
                                        ; implicit-def: $vgpr16
	s_wait_xcnt 0x0
	s_and_saveexec_b32 s20, vcc_lo
	s_xor_b32 s20, exec_lo, s20
; %bb.43:                               ;   in Loop: Header=BB150_4 Depth=1
	v_bfe_u32 v16, v2, 16, 1
	s_delay_alu instid0(VALU_DEP_1)
	v_add3_u32 v16, v2, v16, 0x7fff
                                        ; implicit-def: $vgpr2
; %bb.44:                               ;   in Loop: Header=BB150_4 Depth=1
	s_and_not1_saveexec_b32 s20, s20
; %bb.45:                               ;   in Loop: Header=BB150_4 Depth=1
	v_and_b32_e32 v16, 0xffff, v2
	v_or_b32_e32 v17, 0x10000, v2
	s_delay_alu instid0(VALU_DEP_2) | instskip(NEXT) | instid1(VALU_DEP_2)
	v_cmp_eq_u32_e32 vcc_lo, 0, v16
	v_cndmask_b32_e32 v16, v17, v2, vcc_lo
; %bb.46:                               ;   in Loop: Header=BB150_4 Depth=1
	s_or_b32 exec_lo, exec_lo, s20
	s_delay_alu instid0(VALU_DEP_1) | instskip(NEXT) | instid1(VALU_DEP_1)
	v_fma_mix_f32_bf16 v2, s2, v12, v16 op_sel:[0,0,1] op_sel_hi:[0,0,1]
	v_and_b32_e32 v12, 0x7f800000, v2
	s_delay_alu instid0(VALU_DEP_1) | instskip(SKIP_1) | instid1(SALU_CYCLE_1)
	v_cmp_ne_u32_e32 vcc_lo, 0x7f800000, v12
                                        ; implicit-def: $vgpr12
	s_and_saveexec_b32 s20, vcc_lo
	s_xor_b32 s20, exec_lo, s20
; %bb.47:                               ;   in Loop: Header=BB150_4 Depth=1
	v_bfe_u32 v12, v2, 16, 1
	s_delay_alu instid0(VALU_DEP_1)
	v_add3_u32 v12, v2, v12, 0x7fff
                                        ; implicit-def: $vgpr2
; %bb.48:                               ;   in Loop: Header=BB150_4 Depth=1
	s_and_not1_saveexec_b32 s20, s20
; %bb.49:                               ;   in Loop: Header=BB150_4 Depth=1
	v_and_b32_e32 v12, 0xffff, v2
	v_or_b32_e32 v16, 0x10000, v2
	s_delay_alu instid0(VALU_DEP_2) | instskip(NEXT) | instid1(VALU_DEP_2)
	v_cmp_eq_u32_e32 vcc_lo, 0, v12
	v_cndmask_b32_e32 v12, v16, v2, vcc_lo
; %bb.50:                               ;   in Loop: Header=BB150_4 Depth=1
	s_or_b32 exec_lo, exec_lo, s20
	v_lshl_add_u64 v[16:17], s[6:7], 1, v[18:19]
	s_delay_alu instid0(VALU_DEP_1) | instskip(SKIP_4) | instid1(VALU_DEP_1)
	v_lshl_add_u64 v[16:17], v[8:9], 1, v[16:17]
	flat_store_d16_hi_b16 v[16:17], v12
	flat_load_u16 v2, v[14:15] offset:32
	s_wait_loadcnt_dscnt 0x0
	v_lshlrev_b32_e32 v2, 16, v2
	v_mul_f32_e32 v2, s30, v2
	s_wait_xcnt 0x1
	s_delay_alu instid0(VALU_DEP_1) | instskip(NEXT) | instid1(VALU_DEP_1)
	v_and_b32_e32 v12, 0x7f800000, v2
	v_cmp_ne_u32_e32 vcc_lo, 0x7f800000, v12
                                        ; implicit-def: $vgpr12
	s_wait_xcnt 0x0
	s_and_saveexec_b32 s20, vcc_lo
	s_delay_alu instid0(SALU_CYCLE_1)
	s_xor_b32 s20, exec_lo, s20
; %bb.51:                               ;   in Loop: Header=BB150_4 Depth=1
	v_bfe_u32 v12, v2, 16, 1
	s_delay_alu instid0(VALU_DEP_1)
	v_add3_u32 v12, v2, v12, 0x7fff
                                        ; implicit-def: $vgpr2
; %bb.52:                               ;   in Loop: Header=BB150_4 Depth=1
	s_and_not1_saveexec_b32 s20, s20
; %bb.53:                               ;   in Loop: Header=BB150_4 Depth=1
	v_and_b32_e32 v12, 0xffff, v2
	v_or_b32_e32 v14, 0x10000, v2
	s_delay_alu instid0(VALU_DEP_2) | instskip(NEXT) | instid1(VALU_DEP_2)
	v_cmp_eq_u32_e32 vcc_lo, 0, v12
	v_cndmask_b32_e32 v12, v14, v2, vcc_lo
; %bb.54:                               ;   in Loop: Header=BB150_4 Depth=1
	s_or_b32 exec_lo, exec_lo, s20
	s_delay_alu instid0(VALU_DEP_1) | instskip(NEXT) | instid1(VALU_DEP_1)
	v_fma_mix_f32_bf16 v2, s2, v13, v12 op_sel:[0,0,1] op_sel_hi:[0,0,1]
	v_and_b32_e32 v12, 0x7f800000, v2
	s_delay_alu instid0(VALU_DEP_1) | instskip(SKIP_1) | instid1(SALU_CYCLE_1)
	v_cmp_ne_u32_e32 vcc_lo, 0x7f800000, v12
                                        ; implicit-def: $vgpr12
	s_and_saveexec_b32 s20, vcc_lo
	s_xor_b32 s20, exec_lo, s20
; %bb.55:                               ;   in Loop: Header=BB150_4 Depth=1
	v_bfe_u32 v12, v2, 16, 1
	s_delay_alu instid0(VALU_DEP_1)
	v_add3_u32 v12, v2, v12, 0x7fff
                                        ; implicit-def: $vgpr2
; %bb.56:                               ;   in Loop: Header=BB150_4 Depth=1
	s_and_not1_saveexec_b32 s20, s20
	s_cbranch_execz .LBB150_2
; %bb.57:                               ;   in Loop: Header=BB150_4 Depth=1
	v_and_b32_e32 v12, 0xffff, v2
	v_or_b32_e32 v13, 0x10000, v2
	s_delay_alu instid0(VALU_DEP_2) | instskip(NEXT) | instid1(VALU_DEP_2)
	v_cmp_eq_u32_e32 vcc_lo, 0, v12
	v_cndmask_b32_e32 v12, v13, v2, vcc_lo
	s_branch .LBB150_2
.LBB150_58:
	s_endpgm
	.section	.rodata,"a",@progbits
	.p2align	6, 0x0
	.amdhsa_kernel _ZN12_GLOBAL__N_127rocblas_gemm_batched_kernelIfLi16ELi16ELi32ELi32ELi8ELi32ELi8ELi8ELi32ELc84ELc78EKPK16rocblas_bfloat16S4_KPS1_EEvlllT_PT11_llS9_llS7_PT12_llPT13_lli
		.amdhsa_group_segment_fixed_size 2048
		.amdhsa_private_segment_fixed_size 0
		.amdhsa_kernarg_size 140
		.amdhsa_user_sgpr_count 2
		.amdhsa_user_sgpr_dispatch_ptr 0
		.amdhsa_user_sgpr_queue_ptr 0
		.amdhsa_user_sgpr_kernarg_segment_ptr 1
		.amdhsa_user_sgpr_dispatch_id 0
		.amdhsa_user_sgpr_kernarg_preload_length 0
		.amdhsa_user_sgpr_kernarg_preload_offset 0
		.amdhsa_user_sgpr_private_segment_size 0
		.amdhsa_wavefront_size32 1
		.amdhsa_uses_dynamic_stack 0
		.amdhsa_enable_private_segment 0
		.amdhsa_system_sgpr_workgroup_id_x 1
		.amdhsa_system_sgpr_workgroup_id_y 1
		.amdhsa_system_sgpr_workgroup_id_z 1
		.amdhsa_system_sgpr_workgroup_info 0
		.amdhsa_system_vgpr_workitem_id 1
		.amdhsa_next_free_vgpr 58
		.amdhsa_next_free_sgpr 38
		.amdhsa_named_barrier_count 0
		.amdhsa_reserve_vcc 1
		.amdhsa_float_round_mode_32 0
		.amdhsa_float_round_mode_16_64 0
		.amdhsa_float_denorm_mode_32 3
		.amdhsa_float_denorm_mode_16_64 3
		.amdhsa_fp16_overflow 0
		.amdhsa_memory_ordered 1
		.amdhsa_forward_progress 1
		.amdhsa_inst_pref_size 20
		.amdhsa_round_robin_scheduling 0
		.amdhsa_exception_fp_ieee_invalid_op 0
		.amdhsa_exception_fp_denorm_src 0
		.amdhsa_exception_fp_ieee_div_zero 0
		.amdhsa_exception_fp_ieee_overflow 0
		.amdhsa_exception_fp_ieee_underflow 0
		.amdhsa_exception_fp_ieee_inexact 0
		.amdhsa_exception_int_div_zero 0
	.end_amdhsa_kernel
	.section	.text._ZN12_GLOBAL__N_127rocblas_gemm_batched_kernelIfLi16ELi16ELi32ELi32ELi8ELi32ELi8ELi8ELi32ELc84ELc78EKPK16rocblas_bfloat16S4_KPS1_EEvlllT_PT11_llS9_llS7_PT12_llPT13_lli,"axG",@progbits,_ZN12_GLOBAL__N_127rocblas_gemm_batched_kernelIfLi16ELi16ELi32ELi32ELi8ELi32ELi8ELi8ELi32ELc84ELc78EKPK16rocblas_bfloat16S4_KPS1_EEvlllT_PT11_llS9_llS7_PT12_llPT13_lli,comdat
.Lfunc_end150:
	.size	_ZN12_GLOBAL__N_127rocblas_gemm_batched_kernelIfLi16ELi16ELi32ELi32ELi8ELi32ELi8ELi8ELi32ELc84ELc78EKPK16rocblas_bfloat16S4_KPS1_EEvlllT_PT11_llS9_llS7_PT12_llPT13_lli, .Lfunc_end150-_ZN12_GLOBAL__N_127rocblas_gemm_batched_kernelIfLi16ELi16ELi32ELi32ELi8ELi32ELi8ELi8ELi32ELc84ELc78EKPK16rocblas_bfloat16S4_KPS1_EEvlllT_PT11_llS9_llS7_PT12_llPT13_lli
                                        ; -- End function
	.set _ZN12_GLOBAL__N_127rocblas_gemm_batched_kernelIfLi16ELi16ELi32ELi32ELi8ELi32ELi8ELi8ELi32ELc84ELc78EKPK16rocblas_bfloat16S4_KPS1_EEvlllT_PT11_llS9_llS7_PT12_llPT13_lli.num_vgpr, 58
	.set _ZN12_GLOBAL__N_127rocblas_gemm_batched_kernelIfLi16ELi16ELi32ELi32ELi8ELi32ELi8ELi8ELi32ELc84ELc78EKPK16rocblas_bfloat16S4_KPS1_EEvlllT_PT11_llS9_llS7_PT12_llPT13_lli.num_agpr, 0
	.set _ZN12_GLOBAL__N_127rocblas_gemm_batched_kernelIfLi16ELi16ELi32ELi32ELi8ELi32ELi8ELi8ELi32ELc84ELc78EKPK16rocblas_bfloat16S4_KPS1_EEvlllT_PT11_llS9_llS7_PT12_llPT13_lli.numbered_sgpr, 38
	.set _ZN12_GLOBAL__N_127rocblas_gemm_batched_kernelIfLi16ELi16ELi32ELi32ELi8ELi32ELi8ELi8ELi32ELc84ELc78EKPK16rocblas_bfloat16S4_KPS1_EEvlllT_PT11_llS9_llS7_PT12_llPT13_lli.num_named_barrier, 0
	.set _ZN12_GLOBAL__N_127rocblas_gemm_batched_kernelIfLi16ELi16ELi32ELi32ELi8ELi32ELi8ELi8ELi32ELc84ELc78EKPK16rocblas_bfloat16S4_KPS1_EEvlllT_PT11_llS9_llS7_PT12_llPT13_lli.private_seg_size, 0
	.set _ZN12_GLOBAL__N_127rocblas_gemm_batched_kernelIfLi16ELi16ELi32ELi32ELi8ELi32ELi8ELi8ELi32ELc84ELc78EKPK16rocblas_bfloat16S4_KPS1_EEvlllT_PT11_llS9_llS7_PT12_llPT13_lli.uses_vcc, 1
	.set _ZN12_GLOBAL__N_127rocblas_gemm_batched_kernelIfLi16ELi16ELi32ELi32ELi8ELi32ELi8ELi8ELi32ELc84ELc78EKPK16rocblas_bfloat16S4_KPS1_EEvlllT_PT11_llS9_llS7_PT12_llPT13_lli.uses_flat_scratch, 0
	.set _ZN12_GLOBAL__N_127rocblas_gemm_batched_kernelIfLi16ELi16ELi32ELi32ELi8ELi32ELi8ELi8ELi32ELc84ELc78EKPK16rocblas_bfloat16S4_KPS1_EEvlllT_PT11_llS9_llS7_PT12_llPT13_lli.has_dyn_sized_stack, 0
	.set _ZN12_GLOBAL__N_127rocblas_gemm_batched_kernelIfLi16ELi16ELi32ELi32ELi8ELi32ELi8ELi8ELi32ELc84ELc78EKPK16rocblas_bfloat16S4_KPS1_EEvlllT_PT11_llS9_llS7_PT12_llPT13_lli.has_recursion, 0
	.set _ZN12_GLOBAL__N_127rocblas_gemm_batched_kernelIfLi16ELi16ELi32ELi32ELi8ELi32ELi8ELi8ELi32ELc84ELc78EKPK16rocblas_bfloat16S4_KPS1_EEvlllT_PT11_llS9_llS7_PT12_llPT13_lli.has_indirect_call, 0
	.section	.AMDGPU.csdata,"",@progbits
; Kernel info:
; codeLenInByte = 2524
; TotalNumSgprs: 40
; NumVgprs: 58
; ScratchSize: 0
; MemoryBound: 0
; FloatMode: 240
; IeeeMode: 1
; LDSByteSize: 2048 bytes/workgroup (compile time only)
; SGPRBlocks: 0
; VGPRBlocks: 3
; NumSGPRsForWavesPerEU: 40
; NumVGPRsForWavesPerEU: 58
; NamedBarCnt: 0
; Occupancy: 16
; WaveLimiterHint : 1
; COMPUTE_PGM_RSRC2:SCRATCH_EN: 0
; COMPUTE_PGM_RSRC2:USER_SGPR: 2
; COMPUTE_PGM_RSRC2:TRAP_HANDLER: 0
; COMPUTE_PGM_RSRC2:TGID_X_EN: 1
; COMPUTE_PGM_RSRC2:TGID_Y_EN: 1
; COMPUTE_PGM_RSRC2:TGID_Z_EN: 1
; COMPUTE_PGM_RSRC2:TIDIG_COMP_CNT: 1
	.section	.text._ZN12_GLOBAL__N_127rocblas_gemm_batched_kernelIfLi16ELi16ELi32ELi32ELi8ELi32ELi8ELi8ELi32ELc78ELc84EKPK16rocblas_bfloat16S4_KPS1_EEvlllT_PT11_llS9_llS7_PT12_llPT13_lli,"axG",@progbits,_ZN12_GLOBAL__N_127rocblas_gemm_batched_kernelIfLi16ELi16ELi32ELi32ELi8ELi32ELi8ELi8ELi32ELc78ELc84EKPK16rocblas_bfloat16S4_KPS1_EEvlllT_PT11_llS9_llS7_PT12_llPT13_lli,comdat
	.globl	_ZN12_GLOBAL__N_127rocblas_gemm_batched_kernelIfLi16ELi16ELi32ELi32ELi8ELi32ELi8ELi8ELi32ELc78ELc84EKPK16rocblas_bfloat16S4_KPS1_EEvlllT_PT11_llS9_llS7_PT12_llPT13_lli ; -- Begin function _ZN12_GLOBAL__N_127rocblas_gemm_batched_kernelIfLi16ELi16ELi32ELi32ELi8ELi32ELi8ELi8ELi32ELc78ELc84EKPK16rocblas_bfloat16S4_KPS1_EEvlllT_PT11_llS9_llS7_PT12_llPT13_lli
	.p2align	8
	.type	_ZN12_GLOBAL__N_127rocblas_gemm_batched_kernelIfLi16ELi16ELi32ELi32ELi8ELi32ELi8ELi8ELi32ELc78ELc84EKPK16rocblas_bfloat16S4_KPS1_EEvlllT_PT11_llS9_llS7_PT12_llPT13_lli,@function
_ZN12_GLOBAL__N_127rocblas_gemm_batched_kernelIfLi16ELi16ELi32ELi32ELi8ELi32ELi8ELi8ELi32ELc78ELc84EKPK16rocblas_bfloat16S4_KPS1_EEvlllT_PT11_llS9_llS7_PT12_llPT13_lli: ; @_ZN12_GLOBAL__N_127rocblas_gemm_batched_kernelIfLi16ELi16ELi32ELi32ELi8ELi32ELi8ELi8ELi32ELc78ELc84EKPK16rocblas_bfloat16S4_KPS1_EEvlllT_PT11_llS9_llS7_PT12_llPT13_lli
; %bb.0:
	s_load_b32 s3, s[0:1], 0x88
	s_bfe_u32 s2, ttmp6, 0x40014
	s_lshr_b32 s4, ttmp7, 16
	s_add_co_i32 s2, s2, 1
	s_bfe_u32 s6, ttmp6, 0x40008
	s_mul_i32 s5, s4, s2
	s_getreg_b32 s2, hwreg(HW_REG_IB_STS2, 6, 4)
	s_add_co_i32 s6, s6, s5
	s_cmp_eq_u32 s2, 0
	s_mov_b32 s29, 0
	s_cselect_b32 s28, s4, s6
	s_wait_kmcnt 0x0
	s_cmp_ge_i32 s28, s3
	s_cbranch_scc1 .LBB151_58
; %bb.1:
	s_clause 0x2
	s_load_b256 s[4:11], s[0:1], 0x20
	s_load_b128 s[24:27], s[0:1], 0x40
	s_load_b32 s30, s[0:1], 0x50
	v_bfe_u32 v2, v0, 10, 10
	v_and_b32_e32 v6, 0x3ff, v0
	s_bfe_u32 s31, ttmp6, 0x4000c
	s_bfe_u32 s34, ttmp6, 0x40010
	s_add_co_i32 s31, s31, 1
	s_and_b32 s35, ttmp7, 0xffff
	s_add_co_i32 s34, s34, 1
	v_lshl_add_u32 v7, v2, 4, v6
	v_dual_mov_b32 v3, 0 :: v_dual_bitop2_b32 v15, 7, v0 bitop3:0x40
	s_clause 0x1
	s_load_b128 s[20:23], s[0:1], 0x78
	s_load_b256 s[12:19], s[0:1], 0x58
	s_and_b32 s33, ttmp6, 15
	s_mul_i32 s31, ttmp9, s31
	s_mul_i32 s34, s35, s34
	s_bfe_u32 s36, ttmp6, 0x40004
	s_add_co_i32 s33, s33, s31
	s_add_co_i32 s36, s36, s34
	s_cmp_eq_u32 s2, 0
	v_dual_mov_b32 v9, v3 :: v_dual_lshrrev_b32 v8, 3, v7
	s_cselect_b32 s34, ttmp9, s33
	v_dual_lshrrev_b32 v16, 5, v7 :: v_dual_bitop2_b32 v14, 31, v7 bitop3:0x40
	s_cselect_b32 s2, s35, s36
	s_ashr_i32 s35, s34, 31
	s_wait_kmcnt 0x0
	v_mad_nc_u64_u32 v[10:11], s24, v15, v[8:9]
	s_lshl_b64 s[34:35], s[34:35], 5
	s_lshl_b32 s36, s2, 5
	s_mov_b32 s37, s29
	v_mad_nc_u64_u32 v[12:13], s6, v16, s[34:35]
	v_add_nc_u64_e32 v[4:5], s[36:37], v[2:3]
	s_load_b96 s[0:2], s[0:1], 0x10
	v_dual_lshlrev_b32 v7, 2, v15 :: v_dual_lshlrev_b32 v17, 2, v14
	v_lshlrev_b32_e32 v26, 2, v6
	s_cmp_eq_f32 s30, 0
	v_mad_u32 v11, s25, v15, v11
	s_delay_alu instid0(VALU_DEP_4)
	v_mul_u64_e32 v[0:1], s[20:21], v[4:5]
	v_mul_u64_e32 v[4:5], s[14:15], v[4:5]
	v_mov_b32_e32 v15, v3
	v_mad_u32 v13, s7, v16, v13
	v_lshl_or_b32 v18, v8, 5, v7
	v_mov_b32_e32 v7, v3
	v_lshl_or_b32 v24, v16, 7, v17
	v_lshl_add_u32 v2, v2, 5, 0x400
	s_cselect_b32 s31, -1, 0
	v_add_nc_u32_e32 v25, 0x400, v18
	v_add_nc_u64_e32 v[8:9], s[36:37], v[10:11]
	v_add_nc_u64_e32 v[6:7], s[34:35], v[6:7]
	s_lshl_b64 s[20:21], s[20:21], 4
	s_lshl_b64 s[14:15], s[14:15], 4
	v_add_nc_u64_e32 v[10:11], v[12:13], v[14:15]
	s_lshl_b64 s[24:25], s[24:25], 4
	s_lshl_b64 s[6:7], s[6:7], 4
	v_lshlrev_b64_e32 v[8:9], 1, v[8:9]
	s_lshl_b64 s[16:17], s[16:17], 1
	s_delay_alu instid0(VALU_DEP_2) | instskip(NEXT) | instid1(VALU_DEP_2)
	v_lshlrev_b64_e32 v[10:11], 1, v[10:11]
	v_lshl_add_u64 v[8:9], s[26:27], 1, v[8:9]
	s_wait_kmcnt 0x0
	v_cmp_gt_i64_e64 s26, s[0:1], 0
	s_delay_alu instid0(VALU_DEP_3)
	v_lshl_add_u64 v[10:11], s[8:9], 1, v[10:11]
	s_lshl_b64 s[8:9], s[22:23], 1
	s_branch .LBB151_4
.LBB151_2:                              ;   in Loop: Header=BB151_4 Depth=1
	s_or_b32 exec_lo, exec_lo, s22
	flat_store_d16_hi_b16 v[16:17], v13 offset:32
.LBB151_3:                              ;   in Loop: Header=BB151_4 Depth=1
	s_add_co_i32 s28, s28, 0x10000
	s_delay_alu instid0(SALU_CYCLE_1)
	s_cmp_lt_i32 s28, s3
	s_cbranch_scc0 .LBB151_58
.LBB151_4:                              ; =>This Loop Header: Depth=1
                                        ;     Child Loop BB151_6 Depth 2
	v_dual_mov_b32 v12, s28 :: v_dual_mov_b32 v15, 0
	s_wait_xcnt 0x0
	v_dual_mov_b32 v14, 0 :: v_dual_mov_b32 v13, 0
	s_and_not1_b32 vcc_lo, exec_lo, s26
	s_clause 0x1
	global_load_b64 v[16:17], v12, s[12:13] scale_offset
	global_load_b64 v[18:19], v12, s[18:19] scale_offset
	s_wait_xcnt 0x0
	v_mov_b32_e32 v12, 0
	s_cbranch_vccnz .LBB151_7
; %bb.5:                                ;   in Loop: Header=BB151_4 Depth=1
	s_lshl_b64 s[22:23], s[28:29], 3
	v_mov_b32_e32 v12, 0
	s_add_nc_u64 s[34:35], s[10:11], s[22:23]
	s_add_nc_u64 s[22:23], s[4:5], s[22:23]
	s_clause 0x1
	global_load_b64 v[14:15], v3, s[34:35]
	global_load_b64 v[22:23], v3, s[22:23]
	s_wait_xcnt 0x0
	s_mov_b64 s[22:23], 0
	v_mov_b32_e32 v13, v12
	s_wait_loadcnt 0x1
	v_add_nc_u64_e32 v[20:21], v[14:15], v[8:9]
	s_wait_loadcnt 0x0
	v_add_nc_u64_e32 v[22:23], v[22:23], v[10:11]
	v_dual_mov_b32 v14, v12 :: v_dual_mov_b32 v15, v12
.LBB151_6:                              ;   Parent Loop BB151_4 Depth=1
                                        ; =>  This Inner Loop Header: Depth=2
	flat_load_u16 v27, v[22:23]
	flat_load_u16 v28, v[20:21]
	s_add_nc_u64 s[22:23], s[22:23], 8
	s_wait_xcnt 0x0
	v_add_nc_u64_e32 v[20:21], s[24:25], v[20:21]
	v_cmp_lt_i64_e64 s27, s[22:23], s[0:1]
	v_add_nc_u64_e32 v[22:23], s[6:7], v[22:23]
	s_and_b32 vcc_lo, exec_lo, s27
	s_wait_loadcnt_dscnt 0x0
	v_dual_lshlrev_b32 v27, 16, v27 :: v_dual_lshlrev_b32 v28, 16, v28
	ds_store_b32 v24, v27
	ds_store_b32 v25, v28
	s_wait_dscnt 0x0
	s_barrier_signal -1
	s_barrier_wait -1
	ds_load_b128 v[28:31], v2
	ds_load_2addr_b32 v[44:45], v26 offset1:16
	ds_load_b128 v[32:35], v2 offset:512
	ds_load_2addr_b32 v[46:47], v26 offset0:32 offset1:48
	ds_load_2addr_b32 v[48:49], v26 offset0:64 offset1:80
	ds_load_b128 v[36:39], v2 offset:16
	ds_load_2addr_b32 v[50:51], v26 offset0:96 offset1:112
	ds_load_2addr_b32 v[52:53], v26 offset0:128 offset1:144
	;; [unrolled: 3-line block ×3, first 2 shown]
	s_wait_dscnt 0x9
	v_pk_fma_f32 v[14:15], v[44:45], v[28:29], v[14:15] op_sel_hi:[1,0,1]
	s_wait_dscnt 0x8
	v_pk_fma_f32 v[12:13], v[44:45], v[32:33], v[12:13] op_sel_hi:[1,0,1]
	v_mov_b32_e32 v44, v31
	s_wait_dscnt 0x7
	v_pk_fma_f32 v[14:15], v[46:47], v[28:29], v[14:15] op_sel:[0,1,0]
	s_delay_alu instid0(VALU_DEP_3) | instskip(SKIP_2) | instid1(VALU_DEP_3)
	v_pk_fma_f32 v[12:13], v[46:47], v[32:33], v[12:13] op_sel:[0,1,0]
	s_wait_dscnt 0x2
	v_dual_mov_b32 v28, v35 :: v_dual_mov_b32 v32, v43
	v_pk_fma_f32 v[14:15], v[48:49], v[30:31], v[14:15] op_sel_hi:[1,0,1]
	s_delay_alu instid0(VALU_DEP_3)
	v_pk_fma_f32 v[12:13], v[48:49], v[34:35], v[12:13] op_sel_hi:[1,0,1]
	ds_load_2addr_b32 v[30:31], v26 offset0:224 offset1:240
	s_wait_dscnt 0x0
	s_barrier_signal -1
	v_pk_fma_f32 v[14:15], v[50:51], v[44:45], v[14:15] op_sel_hi:[1,0,1]
	v_pk_fma_f32 v[12:13], v[50:51], v[28:29], v[12:13] op_sel_hi:[1,0,1]
	v_mov_b32_e32 v28, v39
	s_barrier_wait -1
	s_delay_alu instid0(VALU_DEP_3) | instskip(NEXT) | instid1(VALU_DEP_3)
	v_pk_fma_f32 v[14:15], v[52:53], v[36:37], v[14:15] op_sel_hi:[1,0,1]
	v_pk_fma_f32 v[12:13], v[52:53], v[40:41], v[12:13] op_sel_hi:[1,0,1]
	s_delay_alu instid0(VALU_DEP_2) | instskip(NEXT) | instid1(VALU_DEP_2)
	v_pk_fma_f32 v[14:15], v[54:55], v[36:37], v[14:15] op_sel:[0,1,0]
	v_pk_fma_f32 v[12:13], v[54:55], v[40:41], v[12:13] op_sel:[0,1,0]
	s_delay_alu instid0(VALU_DEP_2) | instskip(NEXT) | instid1(VALU_DEP_2)
	v_pk_fma_f32 v[14:15], v[56:57], v[38:39], v[14:15] op_sel_hi:[1,0,1]
	v_pk_fma_f32 v[12:13], v[56:57], v[42:43], v[12:13] op_sel_hi:[1,0,1]
	s_delay_alu instid0(VALU_DEP_2) | instskip(NEXT) | instid1(VALU_DEP_2)
	v_pk_fma_f32 v[14:15], v[30:31], v[28:29], v[14:15] op_sel_hi:[1,0,1]
	v_pk_fma_f32 v[12:13], v[30:31], v[32:33], v[12:13] op_sel_hi:[1,0,1]
	s_cbranch_vccnz .LBB151_6
.LBB151_7:                              ;   in Loop: Header=BB151_4 Depth=1
	s_wait_loadcnt 0x0
	v_add_nc_u64_e32 v[18:19], s[8:9], v[18:19]
	s_and_not1_b32 vcc_lo, exec_lo, s31
	s_cbranch_vccnz .LBB151_25
; %bb.8:                                ;   in Loop: Header=BB151_4 Depth=1
	v_mul_f32_e32 v20, s2, v14
	s_mov_b32 s22, exec_lo
                                        ; implicit-def: $vgpr27
	s_delay_alu instid0(VALU_DEP_1) | instskip(NEXT) | instid1(VALU_DEP_1)
	v_and_b32_e32 v21, 0x7f800000, v20
	v_cmpx_ne_u32_e32 0x7f800000, v21
	s_xor_b32 s22, exec_lo, s22
; %bb.9:                                ;   in Loop: Header=BB151_4 Depth=1
	v_bfe_u32 v21, v20, 16, 1
	s_delay_alu instid0(VALU_DEP_1)
	v_add3_u32 v27, v20, v21, 0x7fff
                                        ; implicit-def: $vgpr20
; %bb.10:                               ;   in Loop: Header=BB151_4 Depth=1
	s_and_not1_saveexec_b32 s22, s22
; %bb.11:                               ;   in Loop: Header=BB151_4 Depth=1
	v_and_b32_e32 v21, 0xffff, v20
	v_or_b32_e32 v22, 0x10000, v20
	s_delay_alu instid0(VALU_DEP_2) | instskip(NEXT) | instid1(VALU_DEP_2)
	v_cmp_eq_u32_e32 vcc_lo, 0, v21
	v_cndmask_b32_e32 v27, v22, v20, vcc_lo
; %bb.12:                               ;   in Loop: Header=BB151_4 Depth=1
	s_or_b32 exec_lo, exec_lo, s22
	v_mul_f32_e32 v28, s2, v15
	v_lshl_add_u64 v[20:21], v[0:1], 1, v[18:19]
	s_delay_alu instid0(VALU_DEP_2) | instskip(NEXT) | instid1(VALU_DEP_2)
	v_and_b32_e32 v29, 0x7f800000, v28
	v_lshl_add_u64 v[22:23], v[6:7], 1, v[20:21]
	s_delay_alu instid0(VALU_DEP_2) | instskip(SKIP_3) | instid1(SALU_CYCLE_1)
	v_cmp_ne_u32_e32 vcc_lo, 0x7f800000, v29
	flat_store_d16_hi_b16 v[22:23], v27
                                        ; implicit-def: $vgpr29
	s_wait_xcnt 0x0
	s_and_saveexec_b32 s22, vcc_lo
	s_xor_b32 s22, exec_lo, s22
; %bb.13:                               ;   in Loop: Header=BB151_4 Depth=1
	v_bfe_u32 v27, v28, 16, 1
	s_delay_alu instid0(VALU_DEP_1)
	v_add3_u32 v29, v28, v27, 0x7fff
                                        ; implicit-def: $vgpr28
; %bb.14:                               ;   in Loop: Header=BB151_4 Depth=1
	s_and_not1_saveexec_b32 s22, s22
; %bb.15:                               ;   in Loop: Header=BB151_4 Depth=1
	v_and_b32_e32 v27, 0xffff, v28
	v_or_b32_e32 v29, 0x10000, v28
	s_delay_alu instid0(VALU_DEP_2) | instskip(NEXT) | instid1(VALU_DEP_2)
	v_cmp_eq_u32_e32 vcc_lo, 0, v27
	v_cndmask_b32_e32 v29, v29, v28, vcc_lo
; %bb.16:                               ;   in Loop: Header=BB151_4 Depth=1
	s_or_b32 exec_lo, exec_lo, s22
	v_mul_f32_e32 v27, s2, v12
	s_mov_b32 s22, exec_lo
	flat_store_d16_hi_b16 v[22:23], v29 offset:32
                                        ; implicit-def: $vgpr22
	v_and_b32_e32 v28, 0x7f800000, v27
	s_wait_xcnt 0x0
	s_delay_alu instid0(VALU_DEP_1)
	v_cmpx_ne_u32_e32 0x7f800000, v28
	s_xor_b32 s22, exec_lo, s22
; %bb.17:                               ;   in Loop: Header=BB151_4 Depth=1
	v_bfe_u32 v22, v27, 16, 1
	s_delay_alu instid0(VALU_DEP_1)
	v_add3_u32 v22, v27, v22, 0x7fff
                                        ; implicit-def: $vgpr27
; %bb.18:                               ;   in Loop: Header=BB151_4 Depth=1
	s_and_not1_saveexec_b32 s22, s22
; %bb.19:                               ;   in Loop: Header=BB151_4 Depth=1
	v_and_b32_e32 v22, 0xffff, v27
	v_or_b32_e32 v23, 0x10000, v27
	s_delay_alu instid0(VALU_DEP_2) | instskip(NEXT) | instid1(VALU_DEP_2)
	v_cmp_eq_u32_e32 vcc_lo, 0, v22
	v_cndmask_b32_e32 v22, v23, v27, vcc_lo
; %bb.20:                               ;   in Loop: Header=BB151_4 Depth=1
	s_or_b32 exec_lo, exec_lo, s22
	v_mul_f32_e32 v23, s2, v13
	v_lshl_add_u64 v[20:21], s[20:21], 1, v[20:21]
	s_mov_b32 s22, exec_lo
	s_delay_alu instid0(VALU_DEP_2) | instskip(NEXT) | instid1(VALU_DEP_2)
	v_and_b32_e32 v27, 0x7f800000, v23
	v_lshl_add_u64 v[20:21], v[6:7], 1, v[20:21]
	flat_store_d16_hi_b16 v[20:21], v22
                                        ; implicit-def: $vgpr22
	s_wait_xcnt 0x0
	v_cmpx_ne_u32_e32 0x7f800000, v27
	s_xor_b32 s22, exec_lo, s22
; %bb.21:                               ;   in Loop: Header=BB151_4 Depth=1
	v_bfe_u32 v22, v23, 16, 1
	s_delay_alu instid0(VALU_DEP_1)
	v_add3_u32 v22, v23, v22, 0x7fff
                                        ; implicit-def: $vgpr23
; %bb.22:                               ;   in Loop: Header=BB151_4 Depth=1
	s_and_not1_saveexec_b32 s22, s22
; %bb.23:                               ;   in Loop: Header=BB151_4 Depth=1
	v_and_b32_e32 v22, 0xffff, v23
	v_or_b32_e32 v27, 0x10000, v23
	s_delay_alu instid0(VALU_DEP_2) | instskip(NEXT) | instid1(VALU_DEP_2)
	v_cmp_eq_u32_e32 vcc_lo, 0, v22
	v_cndmask_b32_e32 v22, v27, v23, vcc_lo
; %bb.24:                               ;   in Loop: Header=BB151_4 Depth=1
	s_or_b32 exec_lo, exec_lo, s22
	flat_store_d16_hi_b16 v[20:21], v22 offset:32
	s_branch .LBB151_3
.LBB151_25:                             ;   in Loop: Header=BB151_4 Depth=1
	s_cbranch_execz .LBB151_3
; %bb.26:                               ;   in Loop: Header=BB151_4 Depth=1
	v_add_nc_u64_e32 v[16:17], s[16:17], v[16:17]
	s_delay_alu instid0(VALU_DEP_1) | instskip(SKIP_1) | instid1(VALU_DEP_1)
	v_lshl_add_u64 v[16:17], v[4:5], 1, v[16:17]
	s_wait_xcnt 0x0
	v_lshl_add_u64 v[20:21], v[6:7], 1, v[16:17]
	flat_load_u16 v22, v[20:21]
	s_wait_loadcnt_dscnt 0x0
	v_lshlrev_b32_e32 v22, 16, v22
	s_delay_alu instid0(VALU_DEP_1) | instskip(NEXT) | instid1(VALU_DEP_1)
	v_mul_f32_e32 v22, s30, v22
	v_and_b32_e32 v23, 0x7f800000, v22
	s_delay_alu instid0(VALU_DEP_1) | instskip(SKIP_2) | instid1(SALU_CYCLE_1)
	v_cmp_ne_u32_e32 vcc_lo, 0x7f800000, v23
                                        ; implicit-def: $vgpr23
	s_wait_xcnt 0x0
	s_and_saveexec_b32 s22, vcc_lo
	s_xor_b32 s22, exec_lo, s22
; %bb.27:                               ;   in Loop: Header=BB151_4 Depth=1
	v_bfe_u32 v23, v22, 16, 1
	s_delay_alu instid0(VALU_DEP_1)
	v_add3_u32 v23, v22, v23, 0x7fff
                                        ; implicit-def: $vgpr22
; %bb.28:                               ;   in Loop: Header=BB151_4 Depth=1
	s_and_not1_saveexec_b32 s22, s22
; %bb.29:                               ;   in Loop: Header=BB151_4 Depth=1
	v_and_b32_e32 v23, 0xffff, v22
	v_or_b32_e32 v27, 0x10000, v22
	s_delay_alu instid0(VALU_DEP_2) | instskip(NEXT) | instid1(VALU_DEP_2)
	v_cmp_eq_u32_e32 vcc_lo, 0, v23
	v_cndmask_b32_e32 v23, v27, v22, vcc_lo
; %bb.30:                               ;   in Loop: Header=BB151_4 Depth=1
	s_or_b32 exec_lo, exec_lo, s22
	s_delay_alu instid0(VALU_DEP_1) | instskip(SKIP_1) | instid1(VALU_DEP_1)
	v_fma_mix_f32_bf16 v14, s2, v14, v23 op_sel:[0,0,1] op_sel_hi:[0,0,1]
	s_mov_b32 s22, exec_lo
                                        ; implicit-def: $vgpr27
	v_and_b32_e32 v22, 0x7f800000, v14
	s_delay_alu instid0(VALU_DEP_1)
	v_cmpx_ne_u32_e32 0x7f800000, v22
	s_xor_b32 s22, exec_lo, s22
; %bb.31:                               ;   in Loop: Header=BB151_4 Depth=1
	v_bfe_u32 v22, v14, 16, 1
	s_delay_alu instid0(VALU_DEP_1)
	v_add3_u32 v27, v14, v22, 0x7fff
                                        ; implicit-def: $vgpr14
; %bb.32:                               ;   in Loop: Header=BB151_4 Depth=1
	s_and_not1_saveexec_b32 s22, s22
; %bb.33:                               ;   in Loop: Header=BB151_4 Depth=1
	v_and_b32_e32 v22, 0xffff, v14
	v_or_b32_e32 v23, 0x10000, v14
	s_delay_alu instid0(VALU_DEP_2) | instskip(NEXT) | instid1(VALU_DEP_2)
	v_cmp_eq_u32_e32 vcc_lo, 0, v22
	v_cndmask_b32_e32 v27, v23, v14, vcc_lo
; %bb.34:                               ;   in Loop: Header=BB151_4 Depth=1
	s_or_b32 exec_lo, exec_lo, s22
	v_lshl_add_u64 v[18:19], v[0:1], 1, v[18:19]
	s_delay_alu instid0(VALU_DEP_1) | instskip(SKIP_4) | instid1(VALU_DEP_1)
	v_lshl_add_u64 v[22:23], v[6:7], 1, v[18:19]
	flat_store_d16_hi_b16 v[22:23], v27
	flat_load_u16 v14, v[20:21] offset:32
	s_wait_loadcnt_dscnt 0x0
	v_lshlrev_b32_e32 v14, 16, v14
	v_mul_f32_e32 v14, s30, v14
	s_wait_xcnt 0x0
	s_delay_alu instid0(VALU_DEP_1) | instskip(NEXT) | instid1(VALU_DEP_1)
	v_and_b32_e32 v20, 0x7f800000, v14
	v_cmp_ne_u32_e32 vcc_lo, 0x7f800000, v20
                                        ; implicit-def: $vgpr20
	s_and_saveexec_b32 s22, vcc_lo
	s_delay_alu instid0(SALU_CYCLE_1)
	s_xor_b32 s22, exec_lo, s22
; %bb.35:                               ;   in Loop: Header=BB151_4 Depth=1
	v_bfe_u32 v20, v14, 16, 1
	s_delay_alu instid0(VALU_DEP_1)
	v_add3_u32 v20, v14, v20, 0x7fff
                                        ; implicit-def: $vgpr14
; %bb.36:                               ;   in Loop: Header=BB151_4 Depth=1
	s_and_not1_saveexec_b32 s22, s22
; %bb.37:                               ;   in Loop: Header=BB151_4 Depth=1
	v_and_b32_e32 v20, 0xffff, v14
	v_or_b32_e32 v21, 0x10000, v14
	s_delay_alu instid0(VALU_DEP_2) | instskip(NEXT) | instid1(VALU_DEP_2)
	v_cmp_eq_u32_e32 vcc_lo, 0, v20
	v_cndmask_b32_e32 v20, v21, v14, vcc_lo
; %bb.38:                               ;   in Loop: Header=BB151_4 Depth=1
	s_or_b32 exec_lo, exec_lo, s22
	s_delay_alu instid0(VALU_DEP_1) | instskip(SKIP_1) | instid1(VALU_DEP_1)
	v_fma_mix_f32_bf16 v14, s2, v15, v20 op_sel:[0,0,1] op_sel_hi:[0,0,1]
	s_mov_b32 s22, exec_lo
                                        ; implicit-def: $vgpr20
	v_and_b32_e32 v15, 0x7f800000, v14
	s_delay_alu instid0(VALU_DEP_1)
	v_cmpx_ne_u32_e32 0x7f800000, v15
	s_xor_b32 s22, exec_lo, s22
; %bb.39:                               ;   in Loop: Header=BB151_4 Depth=1
	v_bfe_u32 v15, v14, 16, 1
	s_delay_alu instid0(VALU_DEP_1)
	v_add3_u32 v20, v14, v15, 0x7fff
                                        ; implicit-def: $vgpr14
; %bb.40:                               ;   in Loop: Header=BB151_4 Depth=1
	s_and_not1_saveexec_b32 s22, s22
; %bb.41:                               ;   in Loop: Header=BB151_4 Depth=1
	v_and_b32_e32 v15, 0xffff, v14
	v_or_b32_e32 v20, 0x10000, v14
	s_delay_alu instid0(VALU_DEP_2) | instskip(NEXT) | instid1(VALU_DEP_2)
	v_cmp_eq_u32_e32 vcc_lo, 0, v15
	v_cndmask_b32_e32 v20, v20, v14, vcc_lo
; %bb.42:                               ;   in Loop: Header=BB151_4 Depth=1
	s_or_b32 exec_lo, exec_lo, s22
	v_lshl_add_u64 v[14:15], s[14:15], 1, v[16:17]
	flat_store_d16_hi_b16 v[22:23], v20 offset:32
	v_lshl_add_u64 v[14:15], v[6:7], 1, v[14:15]
	flat_load_u16 v16, v[14:15]
	s_wait_loadcnt_dscnt 0x0
	v_lshlrev_b32_e32 v16, 16, v16
	s_delay_alu instid0(VALU_DEP_1) | instskip(NEXT) | instid1(VALU_DEP_1)
	v_mul_f32_e32 v16, s30, v16
	v_and_b32_e32 v17, 0x7f800000, v16
	s_delay_alu instid0(VALU_DEP_1) | instskip(SKIP_2) | instid1(SALU_CYCLE_1)
	v_cmp_ne_u32_e32 vcc_lo, 0x7f800000, v17
                                        ; implicit-def: $vgpr17
	s_wait_xcnt 0x0
	s_and_saveexec_b32 s22, vcc_lo
	s_xor_b32 s22, exec_lo, s22
; %bb.43:                               ;   in Loop: Header=BB151_4 Depth=1
	v_bfe_u32 v17, v16, 16, 1
	s_delay_alu instid0(VALU_DEP_1)
	v_add3_u32 v17, v16, v17, 0x7fff
                                        ; implicit-def: $vgpr16
; %bb.44:                               ;   in Loop: Header=BB151_4 Depth=1
	s_and_not1_saveexec_b32 s22, s22
; %bb.45:                               ;   in Loop: Header=BB151_4 Depth=1
	v_and_b32_e32 v17, 0xffff, v16
	v_or_b32_e32 v20, 0x10000, v16
	s_delay_alu instid0(VALU_DEP_2) | instskip(NEXT) | instid1(VALU_DEP_2)
	v_cmp_eq_u32_e32 vcc_lo, 0, v17
	v_cndmask_b32_e32 v17, v20, v16, vcc_lo
; %bb.46:                               ;   in Loop: Header=BB151_4 Depth=1
	s_or_b32 exec_lo, exec_lo, s22
	s_delay_alu instid0(VALU_DEP_1) | instskip(SKIP_1) | instid1(VALU_DEP_1)
	v_fma_mix_f32_bf16 v12, s2, v12, v17 op_sel:[0,0,1] op_sel_hi:[0,0,1]
	s_mov_b32 s22, exec_lo
                                        ; implicit-def: $vgpr20
	v_and_b32_e32 v16, 0x7f800000, v12
	s_delay_alu instid0(VALU_DEP_1)
	v_cmpx_ne_u32_e32 0x7f800000, v16
	s_xor_b32 s22, exec_lo, s22
; %bb.47:                               ;   in Loop: Header=BB151_4 Depth=1
	v_bfe_u32 v16, v12, 16, 1
	s_delay_alu instid0(VALU_DEP_1)
	v_add3_u32 v20, v12, v16, 0x7fff
                                        ; implicit-def: $vgpr12
; %bb.48:                               ;   in Loop: Header=BB151_4 Depth=1
	s_and_not1_saveexec_b32 s22, s22
; %bb.49:                               ;   in Loop: Header=BB151_4 Depth=1
	v_and_b32_e32 v16, 0xffff, v12
	v_or_b32_e32 v17, 0x10000, v12
	s_delay_alu instid0(VALU_DEP_2) | instskip(NEXT) | instid1(VALU_DEP_2)
	v_cmp_eq_u32_e32 vcc_lo, 0, v16
	v_cndmask_b32_e32 v20, v17, v12, vcc_lo
; %bb.50:                               ;   in Loop: Header=BB151_4 Depth=1
	s_or_b32 exec_lo, exec_lo, s22
	v_lshl_add_u64 v[16:17], s[20:21], 1, v[18:19]
	s_delay_alu instid0(VALU_DEP_1) | instskip(SKIP_4) | instid1(VALU_DEP_1)
	v_lshl_add_u64 v[16:17], v[6:7], 1, v[16:17]
	flat_store_d16_hi_b16 v[16:17], v20
	flat_load_u16 v12, v[14:15] offset:32
	s_wait_loadcnt_dscnt 0x0
	v_lshlrev_b32_e32 v12, 16, v12
	v_mul_f32_e32 v12, s30, v12
	s_wait_xcnt 0x0
	s_delay_alu instid0(VALU_DEP_1) | instskip(NEXT) | instid1(VALU_DEP_1)
	v_and_b32_e32 v14, 0x7f800000, v12
	v_cmp_ne_u32_e32 vcc_lo, 0x7f800000, v14
                                        ; implicit-def: $vgpr14
	s_and_saveexec_b32 s22, vcc_lo
	s_delay_alu instid0(SALU_CYCLE_1)
	s_xor_b32 s22, exec_lo, s22
; %bb.51:                               ;   in Loop: Header=BB151_4 Depth=1
	v_bfe_u32 v14, v12, 16, 1
	s_delay_alu instid0(VALU_DEP_1)
	v_add3_u32 v14, v12, v14, 0x7fff
                                        ; implicit-def: $vgpr12
; %bb.52:                               ;   in Loop: Header=BB151_4 Depth=1
	s_and_not1_saveexec_b32 s22, s22
; %bb.53:                               ;   in Loop: Header=BB151_4 Depth=1
	v_and_b32_e32 v14, 0xffff, v12
	v_or_b32_e32 v15, 0x10000, v12
	s_delay_alu instid0(VALU_DEP_2) | instskip(NEXT) | instid1(VALU_DEP_2)
	v_cmp_eq_u32_e32 vcc_lo, 0, v14
	v_cndmask_b32_e32 v14, v15, v12, vcc_lo
; %bb.54:                               ;   in Loop: Header=BB151_4 Depth=1
	s_or_b32 exec_lo, exec_lo, s22
	s_delay_alu instid0(VALU_DEP_1) | instskip(NEXT) | instid1(VALU_DEP_1)
	v_fma_mix_f32_bf16 v12, s2, v13, v14 op_sel:[0,0,1] op_sel_hi:[0,0,1]
	v_and_b32_e32 v13, 0x7f800000, v12
	s_delay_alu instid0(VALU_DEP_1) | instskip(SKIP_1) | instid1(SALU_CYCLE_1)
	v_cmp_ne_u32_e32 vcc_lo, 0x7f800000, v13
                                        ; implicit-def: $vgpr13
	s_and_saveexec_b32 s22, vcc_lo
	s_xor_b32 s22, exec_lo, s22
; %bb.55:                               ;   in Loop: Header=BB151_4 Depth=1
	v_bfe_u32 v13, v12, 16, 1
	s_delay_alu instid0(VALU_DEP_1)
	v_add3_u32 v13, v12, v13, 0x7fff
                                        ; implicit-def: $vgpr12
; %bb.56:                               ;   in Loop: Header=BB151_4 Depth=1
	s_and_not1_saveexec_b32 s22, s22
	s_cbranch_execz .LBB151_2
; %bb.57:                               ;   in Loop: Header=BB151_4 Depth=1
	v_and_b32_e32 v13, 0xffff, v12
	v_or_b32_e32 v14, 0x10000, v12
	s_delay_alu instid0(VALU_DEP_2) | instskip(NEXT) | instid1(VALU_DEP_2)
	v_cmp_eq_u32_e32 vcc_lo, 0, v13
	v_cndmask_b32_e32 v13, v14, v12, vcc_lo
	s_branch .LBB151_2
.LBB151_58:
	s_endpgm
	.section	.rodata,"a",@progbits
	.p2align	6, 0x0
	.amdhsa_kernel _ZN12_GLOBAL__N_127rocblas_gemm_batched_kernelIfLi16ELi16ELi32ELi32ELi8ELi32ELi8ELi8ELi32ELc78ELc84EKPK16rocblas_bfloat16S4_KPS1_EEvlllT_PT11_llS9_llS7_PT12_llPT13_lli
		.amdhsa_group_segment_fixed_size 2048
		.amdhsa_private_segment_fixed_size 0
		.amdhsa_kernarg_size 140
		.amdhsa_user_sgpr_count 2
		.amdhsa_user_sgpr_dispatch_ptr 0
		.amdhsa_user_sgpr_queue_ptr 0
		.amdhsa_user_sgpr_kernarg_segment_ptr 1
		.amdhsa_user_sgpr_dispatch_id 0
		.amdhsa_user_sgpr_kernarg_preload_length 0
		.amdhsa_user_sgpr_kernarg_preload_offset 0
		.amdhsa_user_sgpr_private_segment_size 0
		.amdhsa_wavefront_size32 1
		.amdhsa_uses_dynamic_stack 0
		.amdhsa_enable_private_segment 0
		.amdhsa_system_sgpr_workgroup_id_x 1
		.amdhsa_system_sgpr_workgroup_id_y 1
		.amdhsa_system_sgpr_workgroup_id_z 1
		.amdhsa_system_sgpr_workgroup_info 0
		.amdhsa_system_vgpr_workitem_id 1
		.amdhsa_next_free_vgpr 58
		.amdhsa_next_free_sgpr 38
		.amdhsa_named_barrier_count 0
		.amdhsa_reserve_vcc 1
		.amdhsa_float_round_mode_32 0
		.amdhsa_float_round_mode_16_64 0
		.amdhsa_float_denorm_mode_32 3
		.amdhsa_float_denorm_mode_16_64 3
		.amdhsa_fp16_overflow 0
		.amdhsa_memory_ordered 1
		.amdhsa_forward_progress 1
		.amdhsa_inst_pref_size 20
		.amdhsa_round_robin_scheduling 0
		.amdhsa_exception_fp_ieee_invalid_op 0
		.amdhsa_exception_fp_denorm_src 0
		.amdhsa_exception_fp_ieee_div_zero 0
		.amdhsa_exception_fp_ieee_overflow 0
		.amdhsa_exception_fp_ieee_underflow 0
		.amdhsa_exception_fp_ieee_inexact 0
		.amdhsa_exception_int_div_zero 0
	.end_amdhsa_kernel
	.section	.text._ZN12_GLOBAL__N_127rocblas_gemm_batched_kernelIfLi16ELi16ELi32ELi32ELi8ELi32ELi8ELi8ELi32ELc78ELc84EKPK16rocblas_bfloat16S4_KPS1_EEvlllT_PT11_llS9_llS7_PT12_llPT13_lli,"axG",@progbits,_ZN12_GLOBAL__N_127rocblas_gemm_batched_kernelIfLi16ELi16ELi32ELi32ELi8ELi32ELi8ELi8ELi32ELc78ELc84EKPK16rocblas_bfloat16S4_KPS1_EEvlllT_PT11_llS9_llS7_PT12_llPT13_lli,comdat
.Lfunc_end151:
	.size	_ZN12_GLOBAL__N_127rocblas_gemm_batched_kernelIfLi16ELi16ELi32ELi32ELi8ELi32ELi8ELi8ELi32ELc78ELc84EKPK16rocblas_bfloat16S4_KPS1_EEvlllT_PT11_llS9_llS7_PT12_llPT13_lli, .Lfunc_end151-_ZN12_GLOBAL__N_127rocblas_gemm_batched_kernelIfLi16ELi16ELi32ELi32ELi8ELi32ELi8ELi8ELi32ELc78ELc84EKPK16rocblas_bfloat16S4_KPS1_EEvlllT_PT11_llS9_llS7_PT12_llPT13_lli
                                        ; -- End function
	.set _ZN12_GLOBAL__N_127rocblas_gemm_batched_kernelIfLi16ELi16ELi32ELi32ELi8ELi32ELi8ELi8ELi32ELc78ELc84EKPK16rocblas_bfloat16S4_KPS1_EEvlllT_PT11_llS9_llS7_PT12_llPT13_lli.num_vgpr, 58
	.set _ZN12_GLOBAL__N_127rocblas_gemm_batched_kernelIfLi16ELi16ELi32ELi32ELi8ELi32ELi8ELi8ELi32ELc78ELc84EKPK16rocblas_bfloat16S4_KPS1_EEvlllT_PT11_llS9_llS7_PT12_llPT13_lli.num_agpr, 0
	.set _ZN12_GLOBAL__N_127rocblas_gemm_batched_kernelIfLi16ELi16ELi32ELi32ELi8ELi32ELi8ELi8ELi32ELc78ELc84EKPK16rocblas_bfloat16S4_KPS1_EEvlllT_PT11_llS9_llS7_PT12_llPT13_lli.numbered_sgpr, 38
	.set _ZN12_GLOBAL__N_127rocblas_gemm_batched_kernelIfLi16ELi16ELi32ELi32ELi8ELi32ELi8ELi8ELi32ELc78ELc84EKPK16rocblas_bfloat16S4_KPS1_EEvlllT_PT11_llS9_llS7_PT12_llPT13_lli.num_named_barrier, 0
	.set _ZN12_GLOBAL__N_127rocblas_gemm_batched_kernelIfLi16ELi16ELi32ELi32ELi8ELi32ELi8ELi8ELi32ELc78ELc84EKPK16rocblas_bfloat16S4_KPS1_EEvlllT_PT11_llS9_llS7_PT12_llPT13_lli.private_seg_size, 0
	.set _ZN12_GLOBAL__N_127rocblas_gemm_batched_kernelIfLi16ELi16ELi32ELi32ELi8ELi32ELi8ELi8ELi32ELc78ELc84EKPK16rocblas_bfloat16S4_KPS1_EEvlllT_PT11_llS9_llS7_PT12_llPT13_lli.uses_vcc, 1
	.set _ZN12_GLOBAL__N_127rocblas_gemm_batched_kernelIfLi16ELi16ELi32ELi32ELi8ELi32ELi8ELi8ELi32ELc78ELc84EKPK16rocblas_bfloat16S4_KPS1_EEvlllT_PT11_llS9_llS7_PT12_llPT13_lli.uses_flat_scratch, 0
	.set _ZN12_GLOBAL__N_127rocblas_gemm_batched_kernelIfLi16ELi16ELi32ELi32ELi8ELi32ELi8ELi8ELi32ELc78ELc84EKPK16rocblas_bfloat16S4_KPS1_EEvlllT_PT11_llS9_llS7_PT12_llPT13_lli.has_dyn_sized_stack, 0
	.set _ZN12_GLOBAL__N_127rocblas_gemm_batched_kernelIfLi16ELi16ELi32ELi32ELi8ELi32ELi8ELi8ELi32ELc78ELc84EKPK16rocblas_bfloat16S4_KPS1_EEvlllT_PT11_llS9_llS7_PT12_llPT13_lli.has_recursion, 0
	.set _ZN12_GLOBAL__N_127rocblas_gemm_batched_kernelIfLi16ELi16ELi32ELi32ELi8ELi32ELi8ELi8ELi32ELc78ELc84EKPK16rocblas_bfloat16S4_KPS1_EEvlllT_PT11_llS9_llS7_PT12_llPT13_lli.has_indirect_call, 0
	.section	.AMDGPU.csdata,"",@progbits
; Kernel info:
; codeLenInByte = 2544
; TotalNumSgprs: 40
; NumVgprs: 58
; ScratchSize: 0
; MemoryBound: 0
; FloatMode: 240
; IeeeMode: 1
; LDSByteSize: 2048 bytes/workgroup (compile time only)
; SGPRBlocks: 0
; VGPRBlocks: 3
; NumSGPRsForWavesPerEU: 40
; NumVGPRsForWavesPerEU: 58
; NamedBarCnt: 0
; Occupancy: 16
; WaveLimiterHint : 1
; COMPUTE_PGM_RSRC2:SCRATCH_EN: 0
; COMPUTE_PGM_RSRC2:USER_SGPR: 2
; COMPUTE_PGM_RSRC2:TRAP_HANDLER: 0
; COMPUTE_PGM_RSRC2:TGID_X_EN: 1
; COMPUTE_PGM_RSRC2:TGID_Y_EN: 1
; COMPUTE_PGM_RSRC2:TGID_Z_EN: 1
; COMPUTE_PGM_RSRC2:TIDIG_COMP_CNT: 1
	.section	.text._ZN12_GLOBAL__N_127rocblas_gemm_batched_kernelIfLi16ELi16ELi32ELi32ELi8ELi32ELi8ELi8ELi32ELc84ELc84EKPK16rocblas_bfloat16S4_KPS1_EEvlllT_PT11_llS9_llS7_PT12_llPT13_lli,"axG",@progbits,_ZN12_GLOBAL__N_127rocblas_gemm_batched_kernelIfLi16ELi16ELi32ELi32ELi8ELi32ELi8ELi8ELi32ELc84ELc84EKPK16rocblas_bfloat16S4_KPS1_EEvlllT_PT11_llS9_llS7_PT12_llPT13_lli,comdat
	.globl	_ZN12_GLOBAL__N_127rocblas_gemm_batched_kernelIfLi16ELi16ELi32ELi32ELi8ELi32ELi8ELi8ELi32ELc84ELc84EKPK16rocblas_bfloat16S4_KPS1_EEvlllT_PT11_llS9_llS7_PT12_llPT13_lli ; -- Begin function _ZN12_GLOBAL__N_127rocblas_gemm_batched_kernelIfLi16ELi16ELi32ELi32ELi8ELi32ELi8ELi8ELi32ELc84ELc84EKPK16rocblas_bfloat16S4_KPS1_EEvlllT_PT11_llS9_llS7_PT12_llPT13_lli
	.p2align	8
	.type	_ZN12_GLOBAL__N_127rocblas_gemm_batched_kernelIfLi16ELi16ELi32ELi32ELi8ELi32ELi8ELi8ELi32ELc84ELc84EKPK16rocblas_bfloat16S4_KPS1_EEvlllT_PT11_llS9_llS7_PT12_llPT13_lli,@function
_ZN12_GLOBAL__N_127rocblas_gemm_batched_kernelIfLi16ELi16ELi32ELi32ELi8ELi32ELi8ELi8ELi32ELc84ELc84EKPK16rocblas_bfloat16S4_KPS1_EEvlllT_PT11_llS9_llS7_PT12_llPT13_lli: ; @_ZN12_GLOBAL__N_127rocblas_gemm_batched_kernelIfLi16ELi16ELi32ELi32ELi8ELi32ELi8ELi8ELi32ELc84ELc84EKPK16rocblas_bfloat16S4_KPS1_EEvlllT_PT11_llS9_llS7_PT12_llPT13_lli
; %bb.0:
	s_load_b32 s3, s[0:1], 0x88
	s_bfe_u32 s2, ttmp6, 0x40014
	s_lshr_b32 s4, ttmp7, 16
	s_add_co_i32 s2, s2, 1
	s_bfe_u32 s6, ttmp6, 0x40008
	s_mul_i32 s5, s4, s2
	s_getreg_b32 s2, hwreg(HW_REG_IB_STS2, 6, 4)
	s_add_co_i32 s6, s6, s5
	s_cmp_eq_u32 s2, 0
	s_mov_b32 s29, 0
	s_cselect_b32 s28, s4, s6
	s_wait_kmcnt 0x0
	s_cmp_ge_i32 s28, s3
	s_cbranch_scc1 .LBB152_58
; %bb.1:
	v_bfe_u32 v2, v0, 10, 10
	v_and_b32_e32 v6, 0x3ff, v0
	s_bfe_u32 s31, ttmp6, 0x4000c
	s_bfe_u32 s33, ttmp6, 0x40010
	s_clause 0x2
	s_load_b256 s[4:11], s[0:1], 0x20
	s_load_b128 s[24:27], s[0:1], 0x40
	s_load_b128 s[20:23], s[0:1], 0x78
	s_add_co_i32 s31, s31, 1
	s_and_b32 s34, ttmp7, 0xffff
	s_add_co_i32 s33, s33, 1
	s_and_b32 s30, ttmp6, 15
	s_mul_i32 s31, ttmp9, s31
	s_mul_i32 s33, s34, s33
	s_bfe_u32 s35, ttmp6, 0x40004
	v_lshl_add_u32 v7, v2, 4, v6
	s_add_co_i32 s30, s30, s31
	s_add_co_i32 s35, s35, s33
	s_cmp_eq_u32 s2, 0
	s_delay_alu instid0(VALU_DEP_1)
	v_dual_mov_b32 v3, 0 :: v_dual_bitop2_b32 v14, 31, v7 bitop3:0x40
	s_cselect_b32 s30, ttmp9, s30
	s_cselect_b32 s2, s34, s35
	s_ashr_i32 s31, s30, 31
	s_load_b256 s[12:19], s[0:1], 0x58
	s_lshl_b64 s[34:35], s[30:31], 5
	v_dual_lshrrev_b32 v8, 3, v7 :: v_dual_bitop2_b32 v15, 7, v0 bitop3:0x40
	v_dual_mov_b32 v9, v3 :: v_dual_bitop2_b32 v0, s34, v14 bitop3:0x54
	v_mov_b32_e32 v1, s35
	s_load_b32 s30, s[0:1], 0x50
	v_lshl_add_u32 v27, v2, 5, 0x400
	s_wait_kmcnt 0x0
	v_mad_nc_u64_u32 v[10:11], s24, v15, v[8:9]
	v_lshlrev_b32_e32 v9, 2, v15
	v_mul_u64_e32 v[12:13], s[6:7], v[0:1]
	s_lshl_b32 s6, s2, 5
	s_mov_b32 s7, s29
	s_load_b96 s[0:2], s[0:1], 0x10
	v_add_nc_u64_e32 v[4:5], s[6:7], v[2:3]
	v_lshl_or_b32 v16, v8, 5, v9
	v_lshlrev_b32_e32 v14, 2, v14
	v_lshlrev_b32_e32 v26, 2, v6
	v_mad_u32 v11, s25, v15, v11
	v_lshrrev_b32_e32 v15, 5, v7
	v_mul_u64_e32 v[0:1], s[20:21], v[4:5]
	v_mul_u64_e32 v[4:5], s[14:15], v[4:5]
	v_mov_b32_e32 v7, v3
	v_add_nc_u32_e32 v25, 0x400, v16
	v_lshlrev_b32_e32 v2, 1, v15
	s_cmp_eq_f32 s30, 0
	v_lshl_or_b32 v24, v15, 7, v14
	v_add_nc_u64_e32 v[6:7], s[34:35], v[6:7]
	v_add_nc_u64_e32 v[8:9], s[6:7], v[10:11]
	s_cselect_b32 s31, -1, 0
	s_lshl_b64 s[6:7], s[8:9], 1
	s_lshl_b64 s[8:9], s[14:15], 4
	;; [unrolled: 1-line block ×4, first 2 shown]
	s_delay_alu instid0(VALU_DEP_1) | instskip(SKIP_2) | instid1(VALU_DEP_2)
	v_lshlrev_b64_e32 v[8:9], 1, v[8:9]
	v_lshl_add_u64 v[10:11], v[12:13], 1, s[6:7]
	s_lshl_b64 s[6:7], s[20:21], 4
	v_lshl_add_u64 v[8:9], s[26:27], 1, v[8:9]
	s_wait_kmcnt 0x0
	v_cmp_gt_i64_e64 s26, s[0:1], 0
	s_lshl_b64 s[20:21], s[22:23], 1
	v_add_nc_u64_e32 v[10:11], v[10:11], v[2:3]
	s_branch .LBB152_4
.LBB152_2:                              ;   in Loop: Header=BB152_4 Depth=1
	s_or_b32 exec_lo, exec_lo, s22
	flat_store_d16_hi_b16 v[16:17], v12 offset:32
.LBB152_3:                              ;   in Loop: Header=BB152_4 Depth=1
	s_add_co_i32 s28, s28, 0x10000
	s_delay_alu instid0(SALU_CYCLE_1)
	s_cmp_lt_i32 s28, s3
	s_cbranch_scc0 .LBB152_58
.LBB152_4:                              ; =>This Loop Header: Depth=1
                                        ;     Child Loop BB152_6 Depth 2
	s_wait_xcnt 0x0
	v_dual_mov_b32 v2, s28 :: v_dual_mov_b32 v15, 0
	v_dual_mov_b32 v14, 0 :: v_dual_mov_b32 v13, 0
	v_mov_b32_e32 v12, 0
	s_clause 0x1
	global_load_b64 v[16:17], v2, s[12:13] scale_offset
	global_load_b64 v[18:19], v2, s[18:19] scale_offset
	s_and_not1_b32 vcc_lo, exec_lo, s26
	s_cbranch_vccnz .LBB152_7
; %bb.5:                                ;   in Loop: Header=BB152_4 Depth=1
	s_lshl_b64 s[22:23], s[28:29], 3
	v_mov_b32_e32 v12, 0
	s_add_nc_u64 s[24:25], s[10:11], s[22:23]
	s_add_nc_u64 s[22:23], s[4:5], s[22:23]
	s_clause 0x1
	global_load_b64 v[14:15], v3, s[24:25]
	global_load_b64 v[22:23], v3, s[22:23]
	s_wait_xcnt 0x0
	s_mov_b64 s[22:23], 0
	v_mov_b32_e32 v13, v12
	s_wait_loadcnt 0x1
	v_add_nc_u64_e32 v[20:21], v[14:15], v[8:9]
	s_wait_loadcnt 0x0
	v_add_nc_u64_e32 v[22:23], v[22:23], v[10:11]
	v_dual_mov_b32 v14, v12 :: v_dual_mov_b32 v15, v12
.LBB152_6:                              ;   Parent Loop BB152_4 Depth=1
                                        ; =>  This Inner Loop Header: Depth=2
	flat_load_u16 v2, v[22:23]
	flat_load_u16 v28, v[20:21]
	s_add_nc_u64 s[22:23], s[22:23], 8
	s_wait_xcnt 0x0
	v_add_nc_u64_e32 v[20:21], s[14:15], v[20:21]
	v_cmp_lt_i64_e64 s24, s[22:23], s[0:1]
	v_add_nc_u64_e32 v[22:23], 16, v[22:23]
	s_and_b32 vcc_lo, exec_lo, s24
	s_wait_loadcnt_dscnt 0x0
	v_dual_lshlrev_b32 v2, 16, v2 :: v_dual_lshlrev_b32 v28, 16, v28
	ds_store_b32 v24, v2
	ds_store_b32 v25, v28
	s_wait_dscnt 0x0
	s_barrier_signal -1
	s_barrier_wait -1
	ds_load_b128 v[28:31], v27
	ds_load_2addr_b32 v[44:45], v26 offset1:16
	ds_load_b128 v[32:35], v27 offset:512
	ds_load_2addr_b32 v[46:47], v26 offset0:32 offset1:48
	ds_load_2addr_b32 v[48:49], v26 offset0:64 offset1:80
	ds_load_b128 v[36:39], v27 offset:16
	ds_load_2addr_b32 v[50:51], v26 offset0:96 offset1:112
	ds_load_2addr_b32 v[52:53], v26 offset0:128 offset1:144
	;; [unrolled: 3-line block ×3, first 2 shown]
	s_wait_dscnt 0xa
	v_mov_b32_e32 v2, v31
	s_wait_dscnt 0x9
	v_pk_fma_f32 v[14:15], v[44:45], v[28:29], v[14:15] op_sel_hi:[1,0,1]
	s_wait_dscnt 0x8
	v_pk_fma_f32 v[12:13], v[44:45], v[32:33], v[12:13] op_sel_hi:[1,0,1]
	s_wait_dscnt 0x7
	s_delay_alu instid0(VALU_DEP_2) | instskip(NEXT) | instid1(VALU_DEP_2)
	v_pk_fma_f32 v[14:15], v[46:47], v[28:29], v[14:15] op_sel:[0,1,0]
	v_pk_fma_f32 v[12:13], v[46:47], v[32:33], v[12:13] op_sel:[0,1,0]
	v_mov_b32_e32 v28, v35
	s_wait_dscnt 0x6
	s_delay_alu instid0(VALU_DEP_3) | instskip(NEXT) | instid1(VALU_DEP_3)
	v_pk_fma_f32 v[14:15], v[48:49], v[30:31], v[14:15] op_sel_hi:[1,0,1]
	v_pk_fma_f32 v[12:13], v[48:49], v[34:35], v[12:13] op_sel_hi:[1,0,1]
	ds_load_2addr_b32 v[30:31], v26 offset0:224 offset1:240
	s_wait_dscnt 0x0
	s_barrier_signal -1
	v_pk_fma_f32 v[14:15], v[50:51], v[2:3], v[14:15] op_sel_hi:[1,0,1]
	v_pk_fma_f32 v[12:13], v[50:51], v[28:29], v[12:13] op_sel_hi:[1,0,1]
	v_dual_mov_b32 v2, v39 :: v_dual_mov_b32 v28, v43
	s_barrier_wait -1
	s_delay_alu instid0(VALU_DEP_3) | instskip(NEXT) | instid1(VALU_DEP_3)
	v_pk_fma_f32 v[14:15], v[52:53], v[36:37], v[14:15] op_sel_hi:[1,0,1]
	v_pk_fma_f32 v[12:13], v[52:53], v[40:41], v[12:13] op_sel_hi:[1,0,1]
	s_delay_alu instid0(VALU_DEP_2) | instskip(NEXT) | instid1(VALU_DEP_2)
	v_pk_fma_f32 v[14:15], v[54:55], v[36:37], v[14:15] op_sel:[0,1,0]
	v_pk_fma_f32 v[12:13], v[54:55], v[40:41], v[12:13] op_sel:[0,1,0]
	s_delay_alu instid0(VALU_DEP_2) | instskip(NEXT) | instid1(VALU_DEP_2)
	v_pk_fma_f32 v[14:15], v[56:57], v[38:39], v[14:15] op_sel_hi:[1,0,1]
	v_pk_fma_f32 v[12:13], v[56:57], v[42:43], v[12:13] op_sel_hi:[1,0,1]
	s_delay_alu instid0(VALU_DEP_2) | instskip(NEXT) | instid1(VALU_DEP_2)
	v_pk_fma_f32 v[14:15], v[30:31], v[2:3], v[14:15] op_sel_hi:[1,0,1]
	v_pk_fma_f32 v[12:13], v[30:31], v[28:29], v[12:13] op_sel_hi:[1,0,1]
	s_cbranch_vccnz .LBB152_6
.LBB152_7:                              ;   in Loop: Header=BB152_4 Depth=1
	s_wait_loadcnt 0x0
	v_add_nc_u64_e32 v[18:19], s[20:21], v[18:19]
	s_and_not1_b32 vcc_lo, exec_lo, s31
	s_cbranch_vccnz .LBB152_25
; %bb.8:                                ;   in Loop: Header=BB152_4 Depth=1
	v_mul_f32_e32 v20, s2, v14
	s_wait_xcnt 0x0
	s_delay_alu instid0(VALU_DEP_1) | instskip(NEXT) | instid1(VALU_DEP_1)
	v_and_b32_e32 v2, 0x7f800000, v20
	v_cmp_ne_u32_e32 vcc_lo, 0x7f800000, v2
                                        ; implicit-def: $vgpr2
	s_and_saveexec_b32 s22, vcc_lo
	s_delay_alu instid0(SALU_CYCLE_1)
	s_xor_b32 s22, exec_lo, s22
; %bb.9:                                ;   in Loop: Header=BB152_4 Depth=1
	v_bfe_u32 v2, v20, 16, 1
	s_delay_alu instid0(VALU_DEP_1)
	v_add3_u32 v2, v20, v2, 0x7fff
                                        ; implicit-def: $vgpr20
; %bb.10:                               ;   in Loop: Header=BB152_4 Depth=1
	s_and_not1_saveexec_b32 s22, s22
; %bb.11:                               ;   in Loop: Header=BB152_4 Depth=1
	v_and_b32_e32 v2, 0xffff, v20
	v_or_b32_e32 v21, 0x10000, v20
	s_delay_alu instid0(VALU_DEP_2) | instskip(NEXT) | instid1(VALU_DEP_2)
	v_cmp_eq_u32_e32 vcc_lo, 0, v2
	v_cndmask_b32_e32 v2, v21, v20, vcc_lo
; %bb.12:                               ;   in Loop: Header=BB152_4 Depth=1
	s_or_b32 exec_lo, exec_lo, s22
	v_mul_f32_e32 v28, s2, v15
	v_lshl_add_u64 v[20:21], v[0:1], 1, v[18:19]
	s_mov_b32 s22, exec_lo
	s_delay_alu instid0(VALU_DEP_2) | instskip(NEXT) | instid1(VALU_DEP_2)
	v_and_b32_e32 v29, 0x7f800000, v28
	v_lshl_add_u64 v[22:23], v[6:7], 1, v[20:21]
	flat_store_d16_hi_b16 v[22:23], v2
                                        ; implicit-def: $vgpr2
	s_wait_xcnt 0x0
	v_cmpx_ne_u32_e32 0x7f800000, v29
	s_xor_b32 s22, exec_lo, s22
; %bb.13:                               ;   in Loop: Header=BB152_4 Depth=1
	v_bfe_u32 v2, v28, 16, 1
	s_delay_alu instid0(VALU_DEP_1)
	v_add3_u32 v2, v28, v2, 0x7fff
                                        ; implicit-def: $vgpr28
; %bb.14:                               ;   in Loop: Header=BB152_4 Depth=1
	s_and_not1_saveexec_b32 s22, s22
; %bb.15:                               ;   in Loop: Header=BB152_4 Depth=1
	v_and_b32_e32 v2, 0xffff, v28
	v_or_b32_e32 v29, 0x10000, v28
	s_delay_alu instid0(VALU_DEP_2) | instskip(NEXT) | instid1(VALU_DEP_2)
	v_cmp_eq_u32_e32 vcc_lo, 0, v2
	v_cndmask_b32_e32 v2, v29, v28, vcc_lo
; %bb.16:                               ;   in Loop: Header=BB152_4 Depth=1
	s_or_b32 exec_lo, exec_lo, s22
	v_mul_f32_e32 v28, s2, v12
	s_mov_b32 s22, exec_lo
	flat_store_d16_hi_b16 v[22:23], v2 offset:32
                                        ; implicit-def: $vgpr2
	v_and_b32_e32 v29, 0x7f800000, v28
	s_wait_xcnt 0x0
	s_delay_alu instid0(VALU_DEP_1)
	v_cmpx_ne_u32_e32 0x7f800000, v29
	s_xor_b32 s22, exec_lo, s22
; %bb.17:                               ;   in Loop: Header=BB152_4 Depth=1
	v_bfe_u32 v2, v28, 16, 1
	s_delay_alu instid0(VALU_DEP_1)
	v_add3_u32 v2, v28, v2, 0x7fff
                                        ; implicit-def: $vgpr28
; %bb.18:                               ;   in Loop: Header=BB152_4 Depth=1
	s_and_not1_saveexec_b32 s22, s22
; %bb.19:                               ;   in Loop: Header=BB152_4 Depth=1
	v_and_b32_e32 v2, 0xffff, v28
	v_or_b32_e32 v22, 0x10000, v28
	s_delay_alu instid0(VALU_DEP_2) | instskip(NEXT) | instid1(VALU_DEP_2)
	v_cmp_eq_u32_e32 vcc_lo, 0, v2
	v_cndmask_b32_e32 v2, v22, v28, vcc_lo
; %bb.20:                               ;   in Loop: Header=BB152_4 Depth=1
	s_or_b32 exec_lo, exec_lo, s22
	v_mul_f32_e32 v22, s2, v13
	v_lshl_add_u64 v[20:21], s[6:7], 1, v[20:21]
	s_mov_b32 s22, exec_lo
	s_delay_alu instid0(VALU_DEP_2) | instskip(NEXT) | instid1(VALU_DEP_2)
	v_and_b32_e32 v23, 0x7f800000, v22
	v_lshl_add_u64 v[20:21], v[6:7], 1, v[20:21]
	flat_store_d16_hi_b16 v[20:21], v2
                                        ; implicit-def: $vgpr2
	s_wait_xcnt 0x0
	v_cmpx_ne_u32_e32 0x7f800000, v23
	s_xor_b32 s22, exec_lo, s22
; %bb.21:                               ;   in Loop: Header=BB152_4 Depth=1
	v_bfe_u32 v2, v22, 16, 1
	s_delay_alu instid0(VALU_DEP_1)
	v_add3_u32 v2, v22, v2, 0x7fff
                                        ; implicit-def: $vgpr22
; %bb.22:                               ;   in Loop: Header=BB152_4 Depth=1
	s_and_not1_saveexec_b32 s22, s22
; %bb.23:                               ;   in Loop: Header=BB152_4 Depth=1
	v_and_b32_e32 v2, 0xffff, v22
	v_or_b32_e32 v23, 0x10000, v22
	s_delay_alu instid0(VALU_DEP_2) | instskip(NEXT) | instid1(VALU_DEP_2)
	v_cmp_eq_u32_e32 vcc_lo, 0, v2
	v_cndmask_b32_e32 v2, v23, v22, vcc_lo
; %bb.24:                               ;   in Loop: Header=BB152_4 Depth=1
	s_or_b32 exec_lo, exec_lo, s22
	flat_store_d16_hi_b16 v[20:21], v2 offset:32
	s_branch .LBB152_3
.LBB152_25:                             ;   in Loop: Header=BB152_4 Depth=1
	s_cbranch_execz .LBB152_3
; %bb.26:                               ;   in Loop: Header=BB152_4 Depth=1
	v_add_nc_u64_e32 v[16:17], s[16:17], v[16:17]
	s_delay_alu instid0(VALU_DEP_1) | instskip(SKIP_1) | instid1(VALU_DEP_1)
	v_lshl_add_u64 v[16:17], v[4:5], 1, v[16:17]
	s_wait_xcnt 0x0
	v_lshl_add_u64 v[20:21], v[6:7], 1, v[16:17]
	flat_load_u16 v2, v[20:21]
	s_wait_loadcnt_dscnt 0x0
	v_lshlrev_b32_e32 v2, 16, v2
	s_delay_alu instid0(VALU_DEP_1) | instskip(NEXT) | instid1(VALU_DEP_1)
	v_mul_f32_e32 v2, s30, v2
	v_and_b32_e32 v22, 0x7f800000, v2
	s_delay_alu instid0(VALU_DEP_1) | instskip(SKIP_2) | instid1(SALU_CYCLE_1)
	v_cmp_ne_u32_e32 vcc_lo, 0x7f800000, v22
                                        ; implicit-def: $vgpr22
	s_wait_xcnt 0x0
	s_and_saveexec_b32 s22, vcc_lo
	s_xor_b32 s22, exec_lo, s22
; %bb.27:                               ;   in Loop: Header=BB152_4 Depth=1
	v_bfe_u32 v22, v2, 16, 1
	s_delay_alu instid0(VALU_DEP_1)
	v_add3_u32 v22, v2, v22, 0x7fff
                                        ; implicit-def: $vgpr2
; %bb.28:                               ;   in Loop: Header=BB152_4 Depth=1
	s_and_not1_saveexec_b32 s22, s22
; %bb.29:                               ;   in Loop: Header=BB152_4 Depth=1
	v_and_b32_e32 v22, 0xffff, v2
	v_or_b32_e32 v23, 0x10000, v2
	s_delay_alu instid0(VALU_DEP_2) | instskip(NEXT) | instid1(VALU_DEP_2)
	v_cmp_eq_u32_e32 vcc_lo, 0, v22
	v_cndmask_b32_e32 v22, v23, v2, vcc_lo
; %bb.30:                               ;   in Loop: Header=BB152_4 Depth=1
	s_or_b32 exec_lo, exec_lo, s22
	s_delay_alu instid0(VALU_DEP_1) | instskip(NEXT) | instid1(VALU_DEP_1)
	v_fma_mix_f32_bf16 v2, s2, v14, v22 op_sel:[0,0,1] op_sel_hi:[0,0,1]
	v_and_b32_e32 v14, 0x7f800000, v2
	s_delay_alu instid0(VALU_DEP_1) | instskip(SKIP_1) | instid1(SALU_CYCLE_1)
	v_cmp_ne_u32_e32 vcc_lo, 0x7f800000, v14
                                        ; implicit-def: $vgpr14
	s_and_saveexec_b32 s22, vcc_lo
	s_xor_b32 s22, exec_lo, s22
; %bb.31:                               ;   in Loop: Header=BB152_4 Depth=1
	v_bfe_u32 v14, v2, 16, 1
	s_delay_alu instid0(VALU_DEP_1)
	v_add3_u32 v14, v2, v14, 0x7fff
                                        ; implicit-def: $vgpr2
; %bb.32:                               ;   in Loop: Header=BB152_4 Depth=1
	s_and_not1_saveexec_b32 s22, s22
; %bb.33:                               ;   in Loop: Header=BB152_4 Depth=1
	v_and_b32_e32 v14, 0xffff, v2
	v_or_b32_e32 v22, 0x10000, v2
	s_delay_alu instid0(VALU_DEP_2) | instskip(NEXT) | instid1(VALU_DEP_2)
	v_cmp_eq_u32_e32 vcc_lo, 0, v14
	v_cndmask_b32_e32 v14, v22, v2, vcc_lo
; %bb.34:                               ;   in Loop: Header=BB152_4 Depth=1
	s_or_b32 exec_lo, exec_lo, s22
	v_lshl_add_u64 v[18:19], v[0:1], 1, v[18:19]
	s_delay_alu instid0(VALU_DEP_1) | instskip(SKIP_4) | instid1(VALU_DEP_1)
	v_lshl_add_u64 v[22:23], v[6:7], 1, v[18:19]
	flat_store_d16_hi_b16 v[22:23], v14
	flat_load_u16 v2, v[20:21] offset:32
	s_wait_loadcnt_dscnt 0x0
	v_lshlrev_b32_e32 v2, 16, v2
	v_mul_f32_e32 v2, s30, v2
	s_wait_xcnt 0x1
	s_delay_alu instid0(VALU_DEP_1) | instskip(NEXT) | instid1(VALU_DEP_1)
	v_and_b32_e32 v14, 0x7f800000, v2
	v_cmp_ne_u32_e32 vcc_lo, 0x7f800000, v14
                                        ; implicit-def: $vgpr14
	s_wait_xcnt 0x0
	s_and_saveexec_b32 s22, vcc_lo
	s_delay_alu instid0(SALU_CYCLE_1)
	s_xor_b32 s22, exec_lo, s22
; %bb.35:                               ;   in Loop: Header=BB152_4 Depth=1
	v_bfe_u32 v14, v2, 16, 1
	s_delay_alu instid0(VALU_DEP_1)
	v_add3_u32 v14, v2, v14, 0x7fff
                                        ; implicit-def: $vgpr2
; %bb.36:                               ;   in Loop: Header=BB152_4 Depth=1
	s_and_not1_saveexec_b32 s22, s22
; %bb.37:                               ;   in Loop: Header=BB152_4 Depth=1
	v_and_b32_e32 v14, 0xffff, v2
	v_or_b32_e32 v20, 0x10000, v2
	s_delay_alu instid0(VALU_DEP_2) | instskip(NEXT) | instid1(VALU_DEP_2)
	v_cmp_eq_u32_e32 vcc_lo, 0, v14
	v_cndmask_b32_e32 v14, v20, v2, vcc_lo
; %bb.38:                               ;   in Loop: Header=BB152_4 Depth=1
	s_or_b32 exec_lo, exec_lo, s22
	s_delay_alu instid0(VALU_DEP_1) | instskip(SKIP_1) | instid1(VALU_DEP_1)
	v_fma_mix_f32_bf16 v2, s2, v15, v14 op_sel:[0,0,1] op_sel_hi:[0,0,1]
	s_mov_b32 s22, exec_lo
                                        ; implicit-def: $vgpr20
	v_and_b32_e32 v14, 0x7f800000, v2
	s_delay_alu instid0(VALU_DEP_1)
	v_cmpx_ne_u32_e32 0x7f800000, v14
	s_xor_b32 s22, exec_lo, s22
; %bb.39:                               ;   in Loop: Header=BB152_4 Depth=1
	v_bfe_u32 v14, v2, 16, 1
	s_delay_alu instid0(VALU_DEP_1)
	v_add3_u32 v20, v2, v14, 0x7fff
                                        ; implicit-def: $vgpr2
; %bb.40:                               ;   in Loop: Header=BB152_4 Depth=1
	s_and_not1_saveexec_b32 s22, s22
; %bb.41:                               ;   in Loop: Header=BB152_4 Depth=1
	v_and_b32_e32 v14, 0xffff, v2
	v_or_b32_e32 v15, 0x10000, v2
	s_delay_alu instid0(VALU_DEP_2) | instskip(NEXT) | instid1(VALU_DEP_2)
	v_cmp_eq_u32_e32 vcc_lo, 0, v14
	v_cndmask_b32_e32 v20, v15, v2, vcc_lo
; %bb.42:                               ;   in Loop: Header=BB152_4 Depth=1
	s_or_b32 exec_lo, exec_lo, s22
	v_lshl_add_u64 v[14:15], s[8:9], 1, v[16:17]
	flat_store_d16_hi_b16 v[22:23], v20 offset:32
	v_lshl_add_u64 v[14:15], v[6:7], 1, v[14:15]
	flat_load_u16 v2, v[14:15]
	s_wait_loadcnt_dscnt 0x0
	v_lshlrev_b32_e32 v2, 16, v2
	s_delay_alu instid0(VALU_DEP_1) | instskip(NEXT) | instid1(VALU_DEP_1)
	v_mul_f32_e32 v2, s30, v2
	v_and_b32_e32 v16, 0x7f800000, v2
	s_delay_alu instid0(VALU_DEP_1) | instskip(SKIP_2) | instid1(SALU_CYCLE_1)
	v_cmp_ne_u32_e32 vcc_lo, 0x7f800000, v16
                                        ; implicit-def: $vgpr16
	s_wait_xcnt 0x0
	s_and_saveexec_b32 s22, vcc_lo
	s_xor_b32 s22, exec_lo, s22
; %bb.43:                               ;   in Loop: Header=BB152_4 Depth=1
	v_bfe_u32 v16, v2, 16, 1
	s_delay_alu instid0(VALU_DEP_1)
	v_add3_u32 v16, v2, v16, 0x7fff
                                        ; implicit-def: $vgpr2
; %bb.44:                               ;   in Loop: Header=BB152_4 Depth=1
	s_and_not1_saveexec_b32 s22, s22
; %bb.45:                               ;   in Loop: Header=BB152_4 Depth=1
	v_and_b32_e32 v16, 0xffff, v2
	v_or_b32_e32 v17, 0x10000, v2
	s_delay_alu instid0(VALU_DEP_2) | instskip(NEXT) | instid1(VALU_DEP_2)
	v_cmp_eq_u32_e32 vcc_lo, 0, v16
	v_cndmask_b32_e32 v16, v17, v2, vcc_lo
; %bb.46:                               ;   in Loop: Header=BB152_4 Depth=1
	s_or_b32 exec_lo, exec_lo, s22
	s_delay_alu instid0(VALU_DEP_1) | instskip(NEXT) | instid1(VALU_DEP_1)
	v_fma_mix_f32_bf16 v2, s2, v12, v16 op_sel:[0,0,1] op_sel_hi:[0,0,1]
	v_and_b32_e32 v12, 0x7f800000, v2
	s_delay_alu instid0(VALU_DEP_1) | instskip(SKIP_1) | instid1(SALU_CYCLE_1)
	v_cmp_ne_u32_e32 vcc_lo, 0x7f800000, v12
                                        ; implicit-def: $vgpr12
	s_and_saveexec_b32 s22, vcc_lo
	s_xor_b32 s22, exec_lo, s22
; %bb.47:                               ;   in Loop: Header=BB152_4 Depth=1
	v_bfe_u32 v12, v2, 16, 1
	s_delay_alu instid0(VALU_DEP_1)
	v_add3_u32 v12, v2, v12, 0x7fff
                                        ; implicit-def: $vgpr2
; %bb.48:                               ;   in Loop: Header=BB152_4 Depth=1
	s_and_not1_saveexec_b32 s22, s22
; %bb.49:                               ;   in Loop: Header=BB152_4 Depth=1
	v_and_b32_e32 v12, 0xffff, v2
	v_or_b32_e32 v16, 0x10000, v2
	s_delay_alu instid0(VALU_DEP_2) | instskip(NEXT) | instid1(VALU_DEP_2)
	v_cmp_eq_u32_e32 vcc_lo, 0, v12
	v_cndmask_b32_e32 v12, v16, v2, vcc_lo
; %bb.50:                               ;   in Loop: Header=BB152_4 Depth=1
	s_or_b32 exec_lo, exec_lo, s22
	v_lshl_add_u64 v[16:17], s[6:7], 1, v[18:19]
	s_delay_alu instid0(VALU_DEP_1) | instskip(SKIP_4) | instid1(VALU_DEP_1)
	v_lshl_add_u64 v[16:17], v[6:7], 1, v[16:17]
	flat_store_d16_hi_b16 v[16:17], v12
	flat_load_u16 v2, v[14:15] offset:32
	s_wait_loadcnt_dscnt 0x0
	v_lshlrev_b32_e32 v2, 16, v2
	v_mul_f32_e32 v2, s30, v2
	s_wait_xcnt 0x1
	s_delay_alu instid0(VALU_DEP_1) | instskip(NEXT) | instid1(VALU_DEP_1)
	v_and_b32_e32 v12, 0x7f800000, v2
	v_cmp_ne_u32_e32 vcc_lo, 0x7f800000, v12
                                        ; implicit-def: $vgpr12
	s_wait_xcnt 0x0
	s_and_saveexec_b32 s22, vcc_lo
	s_delay_alu instid0(SALU_CYCLE_1)
	s_xor_b32 s22, exec_lo, s22
; %bb.51:                               ;   in Loop: Header=BB152_4 Depth=1
	v_bfe_u32 v12, v2, 16, 1
	s_delay_alu instid0(VALU_DEP_1)
	v_add3_u32 v12, v2, v12, 0x7fff
                                        ; implicit-def: $vgpr2
; %bb.52:                               ;   in Loop: Header=BB152_4 Depth=1
	s_and_not1_saveexec_b32 s22, s22
; %bb.53:                               ;   in Loop: Header=BB152_4 Depth=1
	v_and_b32_e32 v12, 0xffff, v2
	v_or_b32_e32 v14, 0x10000, v2
	s_delay_alu instid0(VALU_DEP_2) | instskip(NEXT) | instid1(VALU_DEP_2)
	v_cmp_eq_u32_e32 vcc_lo, 0, v12
	v_cndmask_b32_e32 v12, v14, v2, vcc_lo
; %bb.54:                               ;   in Loop: Header=BB152_4 Depth=1
	s_or_b32 exec_lo, exec_lo, s22
	s_delay_alu instid0(VALU_DEP_1) | instskip(NEXT) | instid1(VALU_DEP_1)
	v_fma_mix_f32_bf16 v2, s2, v13, v12 op_sel:[0,0,1] op_sel_hi:[0,0,1]
	v_and_b32_e32 v12, 0x7f800000, v2
	s_delay_alu instid0(VALU_DEP_1) | instskip(SKIP_1) | instid1(SALU_CYCLE_1)
	v_cmp_ne_u32_e32 vcc_lo, 0x7f800000, v12
                                        ; implicit-def: $vgpr12
	s_and_saveexec_b32 s22, vcc_lo
	s_xor_b32 s22, exec_lo, s22
; %bb.55:                               ;   in Loop: Header=BB152_4 Depth=1
	v_bfe_u32 v12, v2, 16, 1
	s_delay_alu instid0(VALU_DEP_1)
	v_add3_u32 v12, v2, v12, 0x7fff
                                        ; implicit-def: $vgpr2
; %bb.56:                               ;   in Loop: Header=BB152_4 Depth=1
	s_and_not1_saveexec_b32 s22, s22
	s_cbranch_execz .LBB152_2
; %bb.57:                               ;   in Loop: Header=BB152_4 Depth=1
	v_and_b32_e32 v12, 0xffff, v2
	v_or_b32_e32 v13, 0x10000, v2
	s_delay_alu instid0(VALU_DEP_2) | instskip(NEXT) | instid1(VALU_DEP_2)
	v_cmp_eq_u32_e32 vcc_lo, 0, v12
	v_cndmask_b32_e32 v12, v13, v2, vcc_lo
	s_branch .LBB152_2
.LBB152_58:
	s_endpgm
	.section	.rodata,"a",@progbits
	.p2align	6, 0x0
	.amdhsa_kernel _ZN12_GLOBAL__N_127rocblas_gemm_batched_kernelIfLi16ELi16ELi32ELi32ELi8ELi32ELi8ELi8ELi32ELc84ELc84EKPK16rocblas_bfloat16S4_KPS1_EEvlllT_PT11_llS9_llS7_PT12_llPT13_lli
		.amdhsa_group_segment_fixed_size 2048
		.amdhsa_private_segment_fixed_size 0
		.amdhsa_kernarg_size 140
		.amdhsa_user_sgpr_count 2
		.amdhsa_user_sgpr_dispatch_ptr 0
		.amdhsa_user_sgpr_queue_ptr 0
		.amdhsa_user_sgpr_kernarg_segment_ptr 1
		.amdhsa_user_sgpr_dispatch_id 0
		.amdhsa_user_sgpr_kernarg_preload_length 0
		.amdhsa_user_sgpr_kernarg_preload_offset 0
		.amdhsa_user_sgpr_private_segment_size 0
		.amdhsa_wavefront_size32 1
		.amdhsa_uses_dynamic_stack 0
		.amdhsa_enable_private_segment 0
		.amdhsa_system_sgpr_workgroup_id_x 1
		.amdhsa_system_sgpr_workgroup_id_y 1
		.amdhsa_system_sgpr_workgroup_id_z 1
		.amdhsa_system_sgpr_workgroup_info 0
		.amdhsa_system_vgpr_workitem_id 1
		.amdhsa_next_free_vgpr 58
		.amdhsa_next_free_sgpr 36
		.amdhsa_named_barrier_count 0
		.amdhsa_reserve_vcc 1
		.amdhsa_float_round_mode_32 0
		.amdhsa_float_round_mode_16_64 0
		.amdhsa_float_denorm_mode_32 3
		.amdhsa_float_denorm_mode_16_64 3
		.amdhsa_fp16_overflow 0
		.amdhsa_memory_ordered 1
		.amdhsa_forward_progress 1
		.amdhsa_inst_pref_size 20
		.amdhsa_round_robin_scheduling 0
		.amdhsa_exception_fp_ieee_invalid_op 0
		.amdhsa_exception_fp_denorm_src 0
		.amdhsa_exception_fp_ieee_div_zero 0
		.amdhsa_exception_fp_ieee_overflow 0
		.amdhsa_exception_fp_ieee_underflow 0
		.amdhsa_exception_fp_ieee_inexact 0
		.amdhsa_exception_int_div_zero 0
	.end_amdhsa_kernel
	.section	.text._ZN12_GLOBAL__N_127rocblas_gemm_batched_kernelIfLi16ELi16ELi32ELi32ELi8ELi32ELi8ELi8ELi32ELc84ELc84EKPK16rocblas_bfloat16S4_KPS1_EEvlllT_PT11_llS9_llS7_PT12_llPT13_lli,"axG",@progbits,_ZN12_GLOBAL__N_127rocblas_gemm_batched_kernelIfLi16ELi16ELi32ELi32ELi8ELi32ELi8ELi8ELi32ELc84ELc84EKPK16rocblas_bfloat16S4_KPS1_EEvlllT_PT11_llS9_llS7_PT12_llPT13_lli,comdat
.Lfunc_end152:
	.size	_ZN12_GLOBAL__N_127rocblas_gemm_batched_kernelIfLi16ELi16ELi32ELi32ELi8ELi32ELi8ELi8ELi32ELc84ELc84EKPK16rocblas_bfloat16S4_KPS1_EEvlllT_PT11_llS9_llS7_PT12_llPT13_lli, .Lfunc_end152-_ZN12_GLOBAL__N_127rocblas_gemm_batched_kernelIfLi16ELi16ELi32ELi32ELi8ELi32ELi8ELi8ELi32ELc84ELc84EKPK16rocblas_bfloat16S4_KPS1_EEvlllT_PT11_llS9_llS7_PT12_llPT13_lli
                                        ; -- End function
	.set _ZN12_GLOBAL__N_127rocblas_gemm_batched_kernelIfLi16ELi16ELi32ELi32ELi8ELi32ELi8ELi8ELi32ELc84ELc84EKPK16rocblas_bfloat16S4_KPS1_EEvlllT_PT11_llS9_llS7_PT12_llPT13_lli.num_vgpr, 58
	.set _ZN12_GLOBAL__N_127rocblas_gemm_batched_kernelIfLi16ELi16ELi32ELi32ELi8ELi32ELi8ELi8ELi32ELc84ELc84EKPK16rocblas_bfloat16S4_KPS1_EEvlllT_PT11_llS9_llS7_PT12_llPT13_lli.num_agpr, 0
	.set _ZN12_GLOBAL__N_127rocblas_gemm_batched_kernelIfLi16ELi16ELi32ELi32ELi8ELi32ELi8ELi8ELi32ELc84ELc84EKPK16rocblas_bfloat16S4_KPS1_EEvlllT_PT11_llS9_llS7_PT12_llPT13_lli.numbered_sgpr, 36
	.set _ZN12_GLOBAL__N_127rocblas_gemm_batched_kernelIfLi16ELi16ELi32ELi32ELi8ELi32ELi8ELi8ELi32ELc84ELc84EKPK16rocblas_bfloat16S4_KPS1_EEvlllT_PT11_llS9_llS7_PT12_llPT13_lli.num_named_barrier, 0
	.set _ZN12_GLOBAL__N_127rocblas_gemm_batched_kernelIfLi16ELi16ELi32ELi32ELi8ELi32ELi8ELi8ELi32ELc84ELc84EKPK16rocblas_bfloat16S4_KPS1_EEvlllT_PT11_llS9_llS7_PT12_llPT13_lli.private_seg_size, 0
	.set _ZN12_GLOBAL__N_127rocblas_gemm_batched_kernelIfLi16ELi16ELi32ELi32ELi8ELi32ELi8ELi8ELi32ELc84ELc84EKPK16rocblas_bfloat16S4_KPS1_EEvlllT_PT11_llS9_llS7_PT12_llPT13_lli.uses_vcc, 1
	.set _ZN12_GLOBAL__N_127rocblas_gemm_batched_kernelIfLi16ELi16ELi32ELi32ELi8ELi32ELi8ELi8ELi32ELc84ELc84EKPK16rocblas_bfloat16S4_KPS1_EEvlllT_PT11_llS9_llS7_PT12_llPT13_lli.uses_flat_scratch, 0
	.set _ZN12_GLOBAL__N_127rocblas_gemm_batched_kernelIfLi16ELi16ELi32ELi32ELi8ELi32ELi8ELi8ELi32ELc84ELc84EKPK16rocblas_bfloat16S4_KPS1_EEvlllT_PT11_llS9_llS7_PT12_llPT13_lli.has_dyn_sized_stack, 0
	.set _ZN12_GLOBAL__N_127rocblas_gemm_batched_kernelIfLi16ELi16ELi32ELi32ELi8ELi32ELi8ELi8ELi32ELc84ELc84EKPK16rocblas_bfloat16S4_KPS1_EEvlllT_PT11_llS9_llS7_PT12_llPT13_lli.has_recursion, 0
	.set _ZN12_GLOBAL__N_127rocblas_gemm_batched_kernelIfLi16ELi16ELi32ELi32ELi8ELi32ELi8ELi8ELi32ELc84ELc84EKPK16rocblas_bfloat16S4_KPS1_EEvlllT_PT11_llS9_llS7_PT12_llPT13_lli.has_indirect_call, 0
	.section	.AMDGPU.csdata,"",@progbits
; Kernel info:
; codeLenInByte = 2540
; TotalNumSgprs: 38
; NumVgprs: 58
; ScratchSize: 0
; MemoryBound: 0
; FloatMode: 240
; IeeeMode: 1
; LDSByteSize: 2048 bytes/workgroup (compile time only)
; SGPRBlocks: 0
; VGPRBlocks: 3
; NumSGPRsForWavesPerEU: 38
; NumVGPRsForWavesPerEU: 58
; NamedBarCnt: 0
; Occupancy: 16
; WaveLimiterHint : 1
; COMPUTE_PGM_RSRC2:SCRATCH_EN: 0
; COMPUTE_PGM_RSRC2:USER_SGPR: 2
; COMPUTE_PGM_RSRC2:TRAP_HANDLER: 0
; COMPUTE_PGM_RSRC2:TGID_X_EN: 1
; COMPUTE_PGM_RSRC2:TGID_Y_EN: 1
; COMPUTE_PGM_RSRC2:TGID_Z_EN: 1
; COMPUTE_PGM_RSRC2:TIDIG_COMP_CNT: 1
	.section	.text._ZN12_GLOBAL__N_127rocblas_gemm_batched_kernelIfLi16ELi16ELi32ELi32ELi8ELi32ELi8ELi8ELi32ELc67ELc67EKPK16rocblas_bfloat16S4_KPS1_EEvlllT_PT11_llS9_llS7_PT12_llPT13_lli,"axG",@progbits,_ZN12_GLOBAL__N_127rocblas_gemm_batched_kernelIfLi16ELi16ELi32ELi32ELi8ELi32ELi8ELi8ELi32ELc67ELc67EKPK16rocblas_bfloat16S4_KPS1_EEvlllT_PT11_llS9_llS7_PT12_llPT13_lli,comdat
	.globl	_ZN12_GLOBAL__N_127rocblas_gemm_batched_kernelIfLi16ELi16ELi32ELi32ELi8ELi32ELi8ELi8ELi32ELc67ELc67EKPK16rocblas_bfloat16S4_KPS1_EEvlllT_PT11_llS9_llS7_PT12_llPT13_lli ; -- Begin function _ZN12_GLOBAL__N_127rocblas_gemm_batched_kernelIfLi16ELi16ELi32ELi32ELi8ELi32ELi8ELi8ELi32ELc67ELc67EKPK16rocblas_bfloat16S4_KPS1_EEvlllT_PT11_llS9_llS7_PT12_llPT13_lli
	.p2align	8
	.type	_ZN12_GLOBAL__N_127rocblas_gemm_batched_kernelIfLi16ELi16ELi32ELi32ELi8ELi32ELi8ELi8ELi32ELc67ELc67EKPK16rocblas_bfloat16S4_KPS1_EEvlllT_PT11_llS9_llS7_PT12_llPT13_lli,@function
_ZN12_GLOBAL__N_127rocblas_gemm_batched_kernelIfLi16ELi16ELi32ELi32ELi8ELi32ELi8ELi8ELi32ELc67ELc67EKPK16rocblas_bfloat16S4_KPS1_EEvlllT_PT11_llS9_llS7_PT12_llPT13_lli: ; @_ZN12_GLOBAL__N_127rocblas_gemm_batched_kernelIfLi16ELi16ELi32ELi32ELi8ELi32ELi8ELi8ELi32ELc67ELc67EKPK16rocblas_bfloat16S4_KPS1_EEvlllT_PT11_llS9_llS7_PT12_llPT13_lli
; %bb.0:
	s_load_b32 s3, s[0:1], 0x88
	s_bfe_u32 s2, ttmp6, 0x40014
	s_lshr_b32 s4, ttmp7, 16
	s_add_co_i32 s2, s2, 1
	s_bfe_u32 s6, ttmp6, 0x40008
	s_mul_i32 s5, s4, s2
	s_getreg_b32 s2, hwreg(HW_REG_IB_STS2, 6, 4)
	s_add_co_i32 s6, s6, s5
	s_cmp_eq_u32 s2, 0
	s_mov_b32 s29, 0
	s_cselect_b32 s28, s4, s6
	s_wait_kmcnt 0x0
	s_cmp_ge_i32 s28, s3
	s_cbranch_scc1 .LBB153_58
; %bb.1:
	v_bfe_u32 v2, v0, 10, 10
	v_and_b32_e32 v6, 0x3ff, v0
	s_bfe_u32 s31, ttmp6, 0x4000c
	s_bfe_u32 s33, ttmp6, 0x40010
	s_clause 0x2
	s_load_b256 s[4:11], s[0:1], 0x20
	s_load_b128 s[24:27], s[0:1], 0x40
	s_load_b128 s[20:23], s[0:1], 0x78
	s_add_co_i32 s31, s31, 1
	s_and_b32 s34, ttmp7, 0xffff
	s_add_co_i32 s33, s33, 1
	s_and_b32 s30, ttmp6, 15
	s_mul_i32 s31, ttmp9, s31
	s_mul_i32 s33, s34, s33
	s_bfe_u32 s35, ttmp6, 0x40004
	v_lshl_add_u32 v7, v2, 4, v6
	s_add_co_i32 s30, s30, s31
	s_add_co_i32 s35, s35, s33
	s_cmp_eq_u32 s2, 0
	s_delay_alu instid0(VALU_DEP_1)
	v_dual_mov_b32 v3, 0 :: v_dual_bitop2_b32 v14, 31, v7 bitop3:0x40
	s_cselect_b32 s30, ttmp9, s30
	s_cselect_b32 s2, s34, s35
	s_ashr_i32 s31, s30, 31
	s_load_b256 s[12:19], s[0:1], 0x58
	s_lshl_b64 s[34:35], s[30:31], 5
	v_dual_lshrrev_b32 v8, 3, v7 :: v_dual_bitop2_b32 v15, 7, v0 bitop3:0x40
	v_dual_mov_b32 v9, v3 :: v_dual_bitop2_b32 v0, s34, v14 bitop3:0x54
	v_mov_b32_e32 v1, s35
	s_load_b32 s30, s[0:1], 0x50
	v_lshl_add_u32 v27, v2, 5, 0x400
	s_wait_kmcnt 0x0
	v_mad_nc_u64_u32 v[10:11], s24, v15, v[8:9]
	v_lshlrev_b32_e32 v9, 2, v15
	v_mul_u64_e32 v[12:13], s[6:7], v[0:1]
	s_lshl_b32 s6, s2, 5
	s_mov_b32 s7, s29
	s_load_b96 s[0:2], s[0:1], 0x10
	v_add_nc_u64_e32 v[4:5], s[6:7], v[2:3]
	v_lshl_or_b32 v16, v8, 5, v9
	v_lshlrev_b32_e32 v14, 2, v14
	v_lshlrev_b32_e32 v26, 2, v6
	v_mad_u32 v11, s25, v15, v11
	v_lshrrev_b32_e32 v15, 5, v7
	v_mul_u64_e32 v[0:1], s[20:21], v[4:5]
	v_mul_u64_e32 v[4:5], s[14:15], v[4:5]
	v_mov_b32_e32 v7, v3
	v_add_nc_u32_e32 v25, 0x400, v16
	v_lshlrev_b32_e32 v2, 1, v15
	s_cmp_eq_f32 s30, 0
	v_lshl_or_b32 v24, v15, 7, v14
	v_add_nc_u64_e32 v[6:7], s[34:35], v[6:7]
	v_add_nc_u64_e32 v[8:9], s[6:7], v[10:11]
	s_cselect_b32 s31, -1, 0
	s_lshl_b64 s[6:7], s[8:9], 1
	s_lshl_b64 s[8:9], s[14:15], 4
	;; [unrolled: 1-line block ×4, first 2 shown]
	s_delay_alu instid0(VALU_DEP_1) | instskip(SKIP_2) | instid1(VALU_DEP_2)
	v_lshlrev_b64_e32 v[8:9], 1, v[8:9]
	v_lshl_add_u64 v[10:11], v[12:13], 1, s[6:7]
	s_lshl_b64 s[6:7], s[20:21], 4
	v_lshl_add_u64 v[8:9], s[26:27], 1, v[8:9]
	s_wait_kmcnt 0x0
	v_cmp_gt_i64_e64 s26, s[0:1], 0
	s_lshl_b64 s[20:21], s[22:23], 1
	v_add_nc_u64_e32 v[10:11], v[10:11], v[2:3]
	s_branch .LBB153_4
.LBB153_2:                              ;   in Loop: Header=BB153_4 Depth=1
	s_or_b32 exec_lo, exec_lo, s22
	flat_store_d16_hi_b16 v[16:17], v12 offset:32
.LBB153_3:                              ;   in Loop: Header=BB153_4 Depth=1
	s_add_co_i32 s28, s28, 0x10000
	s_delay_alu instid0(SALU_CYCLE_1)
	s_cmp_lt_i32 s28, s3
	s_cbranch_scc0 .LBB153_58
.LBB153_4:                              ; =>This Loop Header: Depth=1
                                        ;     Child Loop BB153_6 Depth 2
	s_wait_xcnt 0x0
	v_dual_mov_b32 v2, s28 :: v_dual_mov_b32 v15, 0
	v_dual_mov_b32 v14, 0 :: v_dual_mov_b32 v13, 0
	v_mov_b32_e32 v12, 0
	s_clause 0x1
	global_load_b64 v[16:17], v2, s[12:13] scale_offset
	global_load_b64 v[18:19], v2, s[18:19] scale_offset
	s_and_not1_b32 vcc_lo, exec_lo, s26
	s_cbranch_vccnz .LBB153_7
; %bb.5:                                ;   in Loop: Header=BB153_4 Depth=1
	s_lshl_b64 s[22:23], s[28:29], 3
	v_mov_b32_e32 v12, 0
	s_add_nc_u64 s[24:25], s[10:11], s[22:23]
	s_add_nc_u64 s[22:23], s[4:5], s[22:23]
	s_clause 0x1
	global_load_b64 v[14:15], v3, s[24:25]
	global_load_b64 v[22:23], v3, s[22:23]
	s_wait_xcnt 0x0
	s_mov_b64 s[22:23], 0
	v_mov_b32_e32 v13, v12
	s_wait_loadcnt 0x1
	v_add_nc_u64_e32 v[20:21], v[14:15], v[8:9]
	s_wait_loadcnt 0x0
	v_add_nc_u64_e32 v[22:23], v[22:23], v[10:11]
	v_dual_mov_b32 v14, v12 :: v_dual_mov_b32 v15, v12
.LBB153_6:                              ;   Parent Loop BB153_4 Depth=1
                                        ; =>  This Inner Loop Header: Depth=2
	flat_load_u16 v2, v[22:23]
	flat_load_u16 v28, v[20:21]
	s_add_nc_u64 s[22:23], s[22:23], 8
	s_wait_xcnt 0x0
	v_add_nc_u64_e32 v[20:21], s[14:15], v[20:21]
	v_cmp_lt_i64_e64 s24, s[22:23], s[0:1]
	v_add_nc_u64_e32 v[22:23], 16, v[22:23]
	s_and_b32 vcc_lo, exec_lo, s24
	s_wait_loadcnt_dscnt 0x0
	v_dual_lshlrev_b32 v2, 16, v2 :: v_dual_lshlrev_b32 v28, 16, v28
	ds_store_b32 v24, v2
	ds_store_b32 v25, v28
	s_wait_dscnt 0x0
	s_barrier_signal -1
	s_barrier_wait -1
	ds_load_b128 v[28:31], v27
	ds_load_2addr_b32 v[44:45], v26 offset1:16
	ds_load_b128 v[32:35], v27 offset:512
	ds_load_2addr_b32 v[46:47], v26 offset0:32 offset1:48
	ds_load_2addr_b32 v[48:49], v26 offset0:64 offset1:80
	ds_load_b128 v[36:39], v27 offset:16
	ds_load_2addr_b32 v[50:51], v26 offset0:96 offset1:112
	ds_load_2addr_b32 v[52:53], v26 offset0:128 offset1:144
	;; [unrolled: 3-line block ×3, first 2 shown]
	s_wait_dscnt 0xa
	v_mov_b32_e32 v2, v31
	s_wait_dscnt 0x9
	v_pk_fma_f32 v[14:15], v[44:45], v[28:29], v[14:15] op_sel_hi:[1,0,1]
	s_wait_dscnt 0x8
	v_pk_fma_f32 v[12:13], v[44:45], v[32:33], v[12:13] op_sel_hi:[1,0,1]
	s_wait_dscnt 0x7
	s_delay_alu instid0(VALU_DEP_2) | instskip(NEXT) | instid1(VALU_DEP_2)
	v_pk_fma_f32 v[14:15], v[46:47], v[28:29], v[14:15] op_sel:[0,1,0]
	v_pk_fma_f32 v[12:13], v[46:47], v[32:33], v[12:13] op_sel:[0,1,0]
	v_mov_b32_e32 v28, v35
	s_wait_dscnt 0x6
	s_delay_alu instid0(VALU_DEP_3) | instskip(NEXT) | instid1(VALU_DEP_3)
	v_pk_fma_f32 v[14:15], v[48:49], v[30:31], v[14:15] op_sel_hi:[1,0,1]
	v_pk_fma_f32 v[12:13], v[48:49], v[34:35], v[12:13] op_sel_hi:[1,0,1]
	ds_load_2addr_b32 v[30:31], v26 offset0:224 offset1:240
	s_wait_dscnt 0x0
	s_barrier_signal -1
	v_pk_fma_f32 v[14:15], v[50:51], v[2:3], v[14:15] op_sel_hi:[1,0,1]
	v_pk_fma_f32 v[12:13], v[50:51], v[28:29], v[12:13] op_sel_hi:[1,0,1]
	v_dual_mov_b32 v2, v39 :: v_dual_mov_b32 v28, v43
	s_barrier_wait -1
	s_delay_alu instid0(VALU_DEP_3) | instskip(NEXT) | instid1(VALU_DEP_3)
	v_pk_fma_f32 v[14:15], v[52:53], v[36:37], v[14:15] op_sel_hi:[1,0,1]
	v_pk_fma_f32 v[12:13], v[52:53], v[40:41], v[12:13] op_sel_hi:[1,0,1]
	s_delay_alu instid0(VALU_DEP_2) | instskip(NEXT) | instid1(VALU_DEP_2)
	v_pk_fma_f32 v[14:15], v[54:55], v[36:37], v[14:15] op_sel:[0,1,0]
	v_pk_fma_f32 v[12:13], v[54:55], v[40:41], v[12:13] op_sel:[0,1,0]
	s_delay_alu instid0(VALU_DEP_2) | instskip(NEXT) | instid1(VALU_DEP_2)
	v_pk_fma_f32 v[14:15], v[56:57], v[38:39], v[14:15] op_sel_hi:[1,0,1]
	v_pk_fma_f32 v[12:13], v[56:57], v[42:43], v[12:13] op_sel_hi:[1,0,1]
	s_delay_alu instid0(VALU_DEP_2) | instskip(NEXT) | instid1(VALU_DEP_2)
	v_pk_fma_f32 v[14:15], v[30:31], v[2:3], v[14:15] op_sel_hi:[1,0,1]
	v_pk_fma_f32 v[12:13], v[30:31], v[28:29], v[12:13] op_sel_hi:[1,0,1]
	s_cbranch_vccnz .LBB153_6
.LBB153_7:                              ;   in Loop: Header=BB153_4 Depth=1
	s_wait_loadcnt 0x0
	v_add_nc_u64_e32 v[18:19], s[20:21], v[18:19]
	s_and_not1_b32 vcc_lo, exec_lo, s31
	s_cbranch_vccnz .LBB153_25
; %bb.8:                                ;   in Loop: Header=BB153_4 Depth=1
	v_mul_f32_e32 v20, s2, v14
	s_wait_xcnt 0x0
	s_delay_alu instid0(VALU_DEP_1) | instskip(NEXT) | instid1(VALU_DEP_1)
	v_and_b32_e32 v2, 0x7f800000, v20
	v_cmp_ne_u32_e32 vcc_lo, 0x7f800000, v2
                                        ; implicit-def: $vgpr2
	s_and_saveexec_b32 s22, vcc_lo
	s_delay_alu instid0(SALU_CYCLE_1)
	s_xor_b32 s22, exec_lo, s22
; %bb.9:                                ;   in Loop: Header=BB153_4 Depth=1
	v_bfe_u32 v2, v20, 16, 1
	s_delay_alu instid0(VALU_DEP_1)
	v_add3_u32 v2, v20, v2, 0x7fff
                                        ; implicit-def: $vgpr20
; %bb.10:                               ;   in Loop: Header=BB153_4 Depth=1
	s_and_not1_saveexec_b32 s22, s22
; %bb.11:                               ;   in Loop: Header=BB153_4 Depth=1
	v_and_b32_e32 v2, 0xffff, v20
	v_or_b32_e32 v21, 0x10000, v20
	s_delay_alu instid0(VALU_DEP_2) | instskip(NEXT) | instid1(VALU_DEP_2)
	v_cmp_eq_u32_e32 vcc_lo, 0, v2
	v_cndmask_b32_e32 v2, v21, v20, vcc_lo
; %bb.12:                               ;   in Loop: Header=BB153_4 Depth=1
	s_or_b32 exec_lo, exec_lo, s22
	v_mul_f32_e32 v28, s2, v15
	v_lshl_add_u64 v[20:21], v[0:1], 1, v[18:19]
	s_mov_b32 s22, exec_lo
	s_delay_alu instid0(VALU_DEP_2) | instskip(NEXT) | instid1(VALU_DEP_2)
	v_and_b32_e32 v29, 0x7f800000, v28
	v_lshl_add_u64 v[22:23], v[6:7], 1, v[20:21]
	flat_store_d16_hi_b16 v[22:23], v2
                                        ; implicit-def: $vgpr2
	s_wait_xcnt 0x0
	v_cmpx_ne_u32_e32 0x7f800000, v29
	s_xor_b32 s22, exec_lo, s22
; %bb.13:                               ;   in Loop: Header=BB153_4 Depth=1
	v_bfe_u32 v2, v28, 16, 1
	s_delay_alu instid0(VALU_DEP_1)
	v_add3_u32 v2, v28, v2, 0x7fff
                                        ; implicit-def: $vgpr28
; %bb.14:                               ;   in Loop: Header=BB153_4 Depth=1
	s_and_not1_saveexec_b32 s22, s22
; %bb.15:                               ;   in Loop: Header=BB153_4 Depth=1
	v_and_b32_e32 v2, 0xffff, v28
	v_or_b32_e32 v29, 0x10000, v28
	s_delay_alu instid0(VALU_DEP_2) | instskip(NEXT) | instid1(VALU_DEP_2)
	v_cmp_eq_u32_e32 vcc_lo, 0, v2
	v_cndmask_b32_e32 v2, v29, v28, vcc_lo
; %bb.16:                               ;   in Loop: Header=BB153_4 Depth=1
	s_or_b32 exec_lo, exec_lo, s22
	v_mul_f32_e32 v28, s2, v12
	s_mov_b32 s22, exec_lo
	flat_store_d16_hi_b16 v[22:23], v2 offset:32
                                        ; implicit-def: $vgpr2
	v_and_b32_e32 v29, 0x7f800000, v28
	s_wait_xcnt 0x0
	s_delay_alu instid0(VALU_DEP_1)
	v_cmpx_ne_u32_e32 0x7f800000, v29
	s_xor_b32 s22, exec_lo, s22
; %bb.17:                               ;   in Loop: Header=BB153_4 Depth=1
	v_bfe_u32 v2, v28, 16, 1
	s_delay_alu instid0(VALU_DEP_1)
	v_add3_u32 v2, v28, v2, 0x7fff
                                        ; implicit-def: $vgpr28
; %bb.18:                               ;   in Loop: Header=BB153_4 Depth=1
	s_and_not1_saveexec_b32 s22, s22
; %bb.19:                               ;   in Loop: Header=BB153_4 Depth=1
	v_and_b32_e32 v2, 0xffff, v28
	v_or_b32_e32 v22, 0x10000, v28
	s_delay_alu instid0(VALU_DEP_2) | instskip(NEXT) | instid1(VALU_DEP_2)
	v_cmp_eq_u32_e32 vcc_lo, 0, v2
	v_cndmask_b32_e32 v2, v22, v28, vcc_lo
; %bb.20:                               ;   in Loop: Header=BB153_4 Depth=1
	s_or_b32 exec_lo, exec_lo, s22
	v_mul_f32_e32 v22, s2, v13
	v_lshl_add_u64 v[20:21], s[6:7], 1, v[20:21]
	s_mov_b32 s22, exec_lo
	s_delay_alu instid0(VALU_DEP_2) | instskip(NEXT) | instid1(VALU_DEP_2)
	v_and_b32_e32 v23, 0x7f800000, v22
	v_lshl_add_u64 v[20:21], v[6:7], 1, v[20:21]
	flat_store_d16_hi_b16 v[20:21], v2
                                        ; implicit-def: $vgpr2
	s_wait_xcnt 0x0
	v_cmpx_ne_u32_e32 0x7f800000, v23
	s_xor_b32 s22, exec_lo, s22
; %bb.21:                               ;   in Loop: Header=BB153_4 Depth=1
	v_bfe_u32 v2, v22, 16, 1
	s_delay_alu instid0(VALU_DEP_1)
	v_add3_u32 v2, v22, v2, 0x7fff
                                        ; implicit-def: $vgpr22
; %bb.22:                               ;   in Loop: Header=BB153_4 Depth=1
	s_and_not1_saveexec_b32 s22, s22
; %bb.23:                               ;   in Loop: Header=BB153_4 Depth=1
	v_and_b32_e32 v2, 0xffff, v22
	v_or_b32_e32 v23, 0x10000, v22
	s_delay_alu instid0(VALU_DEP_2) | instskip(NEXT) | instid1(VALU_DEP_2)
	v_cmp_eq_u32_e32 vcc_lo, 0, v2
	v_cndmask_b32_e32 v2, v23, v22, vcc_lo
; %bb.24:                               ;   in Loop: Header=BB153_4 Depth=1
	s_or_b32 exec_lo, exec_lo, s22
	flat_store_d16_hi_b16 v[20:21], v2 offset:32
	s_branch .LBB153_3
.LBB153_25:                             ;   in Loop: Header=BB153_4 Depth=1
	s_cbranch_execz .LBB153_3
; %bb.26:                               ;   in Loop: Header=BB153_4 Depth=1
	v_add_nc_u64_e32 v[16:17], s[16:17], v[16:17]
	s_delay_alu instid0(VALU_DEP_1) | instskip(SKIP_1) | instid1(VALU_DEP_1)
	v_lshl_add_u64 v[16:17], v[4:5], 1, v[16:17]
	s_wait_xcnt 0x0
	v_lshl_add_u64 v[20:21], v[6:7], 1, v[16:17]
	flat_load_u16 v2, v[20:21]
	s_wait_loadcnt_dscnt 0x0
	v_lshlrev_b32_e32 v2, 16, v2
	s_delay_alu instid0(VALU_DEP_1) | instskip(NEXT) | instid1(VALU_DEP_1)
	v_mul_f32_e32 v2, s30, v2
	v_and_b32_e32 v22, 0x7f800000, v2
	s_delay_alu instid0(VALU_DEP_1) | instskip(SKIP_2) | instid1(SALU_CYCLE_1)
	v_cmp_ne_u32_e32 vcc_lo, 0x7f800000, v22
                                        ; implicit-def: $vgpr22
	s_wait_xcnt 0x0
	s_and_saveexec_b32 s22, vcc_lo
	s_xor_b32 s22, exec_lo, s22
; %bb.27:                               ;   in Loop: Header=BB153_4 Depth=1
	v_bfe_u32 v22, v2, 16, 1
	s_delay_alu instid0(VALU_DEP_1)
	v_add3_u32 v22, v2, v22, 0x7fff
                                        ; implicit-def: $vgpr2
; %bb.28:                               ;   in Loop: Header=BB153_4 Depth=1
	s_and_not1_saveexec_b32 s22, s22
; %bb.29:                               ;   in Loop: Header=BB153_4 Depth=1
	v_and_b32_e32 v22, 0xffff, v2
	v_or_b32_e32 v23, 0x10000, v2
	s_delay_alu instid0(VALU_DEP_2) | instskip(NEXT) | instid1(VALU_DEP_2)
	v_cmp_eq_u32_e32 vcc_lo, 0, v22
	v_cndmask_b32_e32 v22, v23, v2, vcc_lo
; %bb.30:                               ;   in Loop: Header=BB153_4 Depth=1
	s_or_b32 exec_lo, exec_lo, s22
	s_delay_alu instid0(VALU_DEP_1) | instskip(NEXT) | instid1(VALU_DEP_1)
	v_fma_mix_f32_bf16 v2, s2, v14, v22 op_sel:[0,0,1] op_sel_hi:[0,0,1]
	v_and_b32_e32 v14, 0x7f800000, v2
	s_delay_alu instid0(VALU_DEP_1) | instskip(SKIP_1) | instid1(SALU_CYCLE_1)
	v_cmp_ne_u32_e32 vcc_lo, 0x7f800000, v14
                                        ; implicit-def: $vgpr14
	s_and_saveexec_b32 s22, vcc_lo
	s_xor_b32 s22, exec_lo, s22
; %bb.31:                               ;   in Loop: Header=BB153_4 Depth=1
	v_bfe_u32 v14, v2, 16, 1
	s_delay_alu instid0(VALU_DEP_1)
	v_add3_u32 v14, v2, v14, 0x7fff
                                        ; implicit-def: $vgpr2
; %bb.32:                               ;   in Loop: Header=BB153_4 Depth=1
	s_and_not1_saveexec_b32 s22, s22
; %bb.33:                               ;   in Loop: Header=BB153_4 Depth=1
	v_and_b32_e32 v14, 0xffff, v2
	v_or_b32_e32 v22, 0x10000, v2
	s_delay_alu instid0(VALU_DEP_2) | instskip(NEXT) | instid1(VALU_DEP_2)
	v_cmp_eq_u32_e32 vcc_lo, 0, v14
	v_cndmask_b32_e32 v14, v22, v2, vcc_lo
; %bb.34:                               ;   in Loop: Header=BB153_4 Depth=1
	s_or_b32 exec_lo, exec_lo, s22
	v_lshl_add_u64 v[18:19], v[0:1], 1, v[18:19]
	s_delay_alu instid0(VALU_DEP_1) | instskip(SKIP_4) | instid1(VALU_DEP_1)
	v_lshl_add_u64 v[22:23], v[6:7], 1, v[18:19]
	flat_store_d16_hi_b16 v[22:23], v14
	flat_load_u16 v2, v[20:21] offset:32
	s_wait_loadcnt_dscnt 0x0
	v_lshlrev_b32_e32 v2, 16, v2
	v_mul_f32_e32 v2, s30, v2
	s_wait_xcnt 0x1
	s_delay_alu instid0(VALU_DEP_1) | instskip(NEXT) | instid1(VALU_DEP_1)
	v_and_b32_e32 v14, 0x7f800000, v2
	v_cmp_ne_u32_e32 vcc_lo, 0x7f800000, v14
                                        ; implicit-def: $vgpr14
	s_wait_xcnt 0x0
	s_and_saveexec_b32 s22, vcc_lo
	s_delay_alu instid0(SALU_CYCLE_1)
	s_xor_b32 s22, exec_lo, s22
; %bb.35:                               ;   in Loop: Header=BB153_4 Depth=1
	v_bfe_u32 v14, v2, 16, 1
	s_delay_alu instid0(VALU_DEP_1)
	v_add3_u32 v14, v2, v14, 0x7fff
                                        ; implicit-def: $vgpr2
; %bb.36:                               ;   in Loop: Header=BB153_4 Depth=1
	s_and_not1_saveexec_b32 s22, s22
; %bb.37:                               ;   in Loop: Header=BB153_4 Depth=1
	v_and_b32_e32 v14, 0xffff, v2
	v_or_b32_e32 v20, 0x10000, v2
	s_delay_alu instid0(VALU_DEP_2) | instskip(NEXT) | instid1(VALU_DEP_2)
	v_cmp_eq_u32_e32 vcc_lo, 0, v14
	v_cndmask_b32_e32 v14, v20, v2, vcc_lo
; %bb.38:                               ;   in Loop: Header=BB153_4 Depth=1
	s_or_b32 exec_lo, exec_lo, s22
	s_delay_alu instid0(VALU_DEP_1) | instskip(SKIP_1) | instid1(VALU_DEP_1)
	v_fma_mix_f32_bf16 v2, s2, v15, v14 op_sel:[0,0,1] op_sel_hi:[0,0,1]
	s_mov_b32 s22, exec_lo
                                        ; implicit-def: $vgpr20
	v_and_b32_e32 v14, 0x7f800000, v2
	s_delay_alu instid0(VALU_DEP_1)
	v_cmpx_ne_u32_e32 0x7f800000, v14
	s_xor_b32 s22, exec_lo, s22
; %bb.39:                               ;   in Loop: Header=BB153_4 Depth=1
	v_bfe_u32 v14, v2, 16, 1
	s_delay_alu instid0(VALU_DEP_1)
	v_add3_u32 v20, v2, v14, 0x7fff
                                        ; implicit-def: $vgpr2
; %bb.40:                               ;   in Loop: Header=BB153_4 Depth=1
	s_and_not1_saveexec_b32 s22, s22
; %bb.41:                               ;   in Loop: Header=BB153_4 Depth=1
	v_and_b32_e32 v14, 0xffff, v2
	v_or_b32_e32 v15, 0x10000, v2
	s_delay_alu instid0(VALU_DEP_2) | instskip(NEXT) | instid1(VALU_DEP_2)
	v_cmp_eq_u32_e32 vcc_lo, 0, v14
	v_cndmask_b32_e32 v20, v15, v2, vcc_lo
; %bb.42:                               ;   in Loop: Header=BB153_4 Depth=1
	s_or_b32 exec_lo, exec_lo, s22
	v_lshl_add_u64 v[14:15], s[8:9], 1, v[16:17]
	flat_store_d16_hi_b16 v[22:23], v20 offset:32
	v_lshl_add_u64 v[14:15], v[6:7], 1, v[14:15]
	flat_load_u16 v2, v[14:15]
	s_wait_loadcnt_dscnt 0x0
	v_lshlrev_b32_e32 v2, 16, v2
	s_delay_alu instid0(VALU_DEP_1) | instskip(NEXT) | instid1(VALU_DEP_1)
	v_mul_f32_e32 v2, s30, v2
	v_and_b32_e32 v16, 0x7f800000, v2
	s_delay_alu instid0(VALU_DEP_1) | instskip(SKIP_2) | instid1(SALU_CYCLE_1)
	v_cmp_ne_u32_e32 vcc_lo, 0x7f800000, v16
                                        ; implicit-def: $vgpr16
	s_wait_xcnt 0x0
	s_and_saveexec_b32 s22, vcc_lo
	s_xor_b32 s22, exec_lo, s22
; %bb.43:                               ;   in Loop: Header=BB153_4 Depth=1
	v_bfe_u32 v16, v2, 16, 1
	s_delay_alu instid0(VALU_DEP_1)
	v_add3_u32 v16, v2, v16, 0x7fff
                                        ; implicit-def: $vgpr2
; %bb.44:                               ;   in Loop: Header=BB153_4 Depth=1
	s_and_not1_saveexec_b32 s22, s22
; %bb.45:                               ;   in Loop: Header=BB153_4 Depth=1
	v_and_b32_e32 v16, 0xffff, v2
	v_or_b32_e32 v17, 0x10000, v2
	s_delay_alu instid0(VALU_DEP_2) | instskip(NEXT) | instid1(VALU_DEP_2)
	v_cmp_eq_u32_e32 vcc_lo, 0, v16
	v_cndmask_b32_e32 v16, v17, v2, vcc_lo
; %bb.46:                               ;   in Loop: Header=BB153_4 Depth=1
	s_or_b32 exec_lo, exec_lo, s22
	s_delay_alu instid0(VALU_DEP_1) | instskip(NEXT) | instid1(VALU_DEP_1)
	v_fma_mix_f32_bf16 v2, s2, v12, v16 op_sel:[0,0,1] op_sel_hi:[0,0,1]
	v_and_b32_e32 v12, 0x7f800000, v2
	s_delay_alu instid0(VALU_DEP_1) | instskip(SKIP_1) | instid1(SALU_CYCLE_1)
	v_cmp_ne_u32_e32 vcc_lo, 0x7f800000, v12
                                        ; implicit-def: $vgpr12
	s_and_saveexec_b32 s22, vcc_lo
	s_xor_b32 s22, exec_lo, s22
; %bb.47:                               ;   in Loop: Header=BB153_4 Depth=1
	v_bfe_u32 v12, v2, 16, 1
	s_delay_alu instid0(VALU_DEP_1)
	v_add3_u32 v12, v2, v12, 0x7fff
                                        ; implicit-def: $vgpr2
; %bb.48:                               ;   in Loop: Header=BB153_4 Depth=1
	s_and_not1_saveexec_b32 s22, s22
; %bb.49:                               ;   in Loop: Header=BB153_4 Depth=1
	v_and_b32_e32 v12, 0xffff, v2
	v_or_b32_e32 v16, 0x10000, v2
	s_delay_alu instid0(VALU_DEP_2) | instskip(NEXT) | instid1(VALU_DEP_2)
	v_cmp_eq_u32_e32 vcc_lo, 0, v12
	v_cndmask_b32_e32 v12, v16, v2, vcc_lo
; %bb.50:                               ;   in Loop: Header=BB153_4 Depth=1
	s_or_b32 exec_lo, exec_lo, s22
	v_lshl_add_u64 v[16:17], s[6:7], 1, v[18:19]
	s_delay_alu instid0(VALU_DEP_1) | instskip(SKIP_4) | instid1(VALU_DEP_1)
	v_lshl_add_u64 v[16:17], v[6:7], 1, v[16:17]
	flat_store_d16_hi_b16 v[16:17], v12
	flat_load_u16 v2, v[14:15] offset:32
	s_wait_loadcnt_dscnt 0x0
	v_lshlrev_b32_e32 v2, 16, v2
	v_mul_f32_e32 v2, s30, v2
	s_wait_xcnt 0x1
	s_delay_alu instid0(VALU_DEP_1) | instskip(NEXT) | instid1(VALU_DEP_1)
	v_and_b32_e32 v12, 0x7f800000, v2
	v_cmp_ne_u32_e32 vcc_lo, 0x7f800000, v12
                                        ; implicit-def: $vgpr12
	s_wait_xcnt 0x0
	s_and_saveexec_b32 s22, vcc_lo
	s_delay_alu instid0(SALU_CYCLE_1)
	s_xor_b32 s22, exec_lo, s22
; %bb.51:                               ;   in Loop: Header=BB153_4 Depth=1
	v_bfe_u32 v12, v2, 16, 1
	s_delay_alu instid0(VALU_DEP_1)
	v_add3_u32 v12, v2, v12, 0x7fff
                                        ; implicit-def: $vgpr2
; %bb.52:                               ;   in Loop: Header=BB153_4 Depth=1
	s_and_not1_saveexec_b32 s22, s22
; %bb.53:                               ;   in Loop: Header=BB153_4 Depth=1
	v_and_b32_e32 v12, 0xffff, v2
	v_or_b32_e32 v14, 0x10000, v2
	s_delay_alu instid0(VALU_DEP_2) | instskip(NEXT) | instid1(VALU_DEP_2)
	v_cmp_eq_u32_e32 vcc_lo, 0, v12
	v_cndmask_b32_e32 v12, v14, v2, vcc_lo
; %bb.54:                               ;   in Loop: Header=BB153_4 Depth=1
	s_or_b32 exec_lo, exec_lo, s22
	s_delay_alu instid0(VALU_DEP_1) | instskip(NEXT) | instid1(VALU_DEP_1)
	v_fma_mix_f32_bf16 v2, s2, v13, v12 op_sel:[0,0,1] op_sel_hi:[0,0,1]
	v_and_b32_e32 v12, 0x7f800000, v2
	s_delay_alu instid0(VALU_DEP_1) | instskip(SKIP_1) | instid1(SALU_CYCLE_1)
	v_cmp_ne_u32_e32 vcc_lo, 0x7f800000, v12
                                        ; implicit-def: $vgpr12
	s_and_saveexec_b32 s22, vcc_lo
	s_xor_b32 s22, exec_lo, s22
; %bb.55:                               ;   in Loop: Header=BB153_4 Depth=1
	v_bfe_u32 v12, v2, 16, 1
	s_delay_alu instid0(VALU_DEP_1)
	v_add3_u32 v12, v2, v12, 0x7fff
                                        ; implicit-def: $vgpr2
; %bb.56:                               ;   in Loop: Header=BB153_4 Depth=1
	s_and_not1_saveexec_b32 s22, s22
	s_cbranch_execz .LBB153_2
; %bb.57:                               ;   in Loop: Header=BB153_4 Depth=1
	v_and_b32_e32 v12, 0xffff, v2
	v_or_b32_e32 v13, 0x10000, v2
	s_delay_alu instid0(VALU_DEP_2) | instskip(NEXT) | instid1(VALU_DEP_2)
	v_cmp_eq_u32_e32 vcc_lo, 0, v12
	v_cndmask_b32_e32 v12, v13, v2, vcc_lo
	s_branch .LBB153_2
.LBB153_58:
	s_endpgm
	.section	.rodata,"a",@progbits
	.p2align	6, 0x0
	.amdhsa_kernel _ZN12_GLOBAL__N_127rocblas_gemm_batched_kernelIfLi16ELi16ELi32ELi32ELi8ELi32ELi8ELi8ELi32ELc67ELc67EKPK16rocblas_bfloat16S4_KPS1_EEvlllT_PT11_llS9_llS7_PT12_llPT13_lli
		.amdhsa_group_segment_fixed_size 2048
		.amdhsa_private_segment_fixed_size 0
		.amdhsa_kernarg_size 140
		.amdhsa_user_sgpr_count 2
		.amdhsa_user_sgpr_dispatch_ptr 0
		.amdhsa_user_sgpr_queue_ptr 0
		.amdhsa_user_sgpr_kernarg_segment_ptr 1
		.amdhsa_user_sgpr_dispatch_id 0
		.amdhsa_user_sgpr_kernarg_preload_length 0
		.amdhsa_user_sgpr_kernarg_preload_offset 0
		.amdhsa_user_sgpr_private_segment_size 0
		.amdhsa_wavefront_size32 1
		.amdhsa_uses_dynamic_stack 0
		.amdhsa_enable_private_segment 0
		.amdhsa_system_sgpr_workgroup_id_x 1
		.amdhsa_system_sgpr_workgroup_id_y 1
		.amdhsa_system_sgpr_workgroup_id_z 1
		.amdhsa_system_sgpr_workgroup_info 0
		.amdhsa_system_vgpr_workitem_id 1
		.amdhsa_next_free_vgpr 58
		.amdhsa_next_free_sgpr 36
		.amdhsa_named_barrier_count 0
		.amdhsa_reserve_vcc 1
		.amdhsa_float_round_mode_32 0
		.amdhsa_float_round_mode_16_64 0
		.amdhsa_float_denorm_mode_32 3
		.amdhsa_float_denorm_mode_16_64 3
		.amdhsa_fp16_overflow 0
		.amdhsa_memory_ordered 1
		.amdhsa_forward_progress 1
		.amdhsa_inst_pref_size 20
		.amdhsa_round_robin_scheduling 0
		.amdhsa_exception_fp_ieee_invalid_op 0
		.amdhsa_exception_fp_denorm_src 0
		.amdhsa_exception_fp_ieee_div_zero 0
		.amdhsa_exception_fp_ieee_overflow 0
		.amdhsa_exception_fp_ieee_underflow 0
		.amdhsa_exception_fp_ieee_inexact 0
		.amdhsa_exception_int_div_zero 0
	.end_amdhsa_kernel
	.section	.text._ZN12_GLOBAL__N_127rocblas_gemm_batched_kernelIfLi16ELi16ELi32ELi32ELi8ELi32ELi8ELi8ELi32ELc67ELc67EKPK16rocblas_bfloat16S4_KPS1_EEvlllT_PT11_llS9_llS7_PT12_llPT13_lli,"axG",@progbits,_ZN12_GLOBAL__N_127rocblas_gemm_batched_kernelIfLi16ELi16ELi32ELi32ELi8ELi32ELi8ELi8ELi32ELc67ELc67EKPK16rocblas_bfloat16S4_KPS1_EEvlllT_PT11_llS9_llS7_PT12_llPT13_lli,comdat
.Lfunc_end153:
	.size	_ZN12_GLOBAL__N_127rocblas_gemm_batched_kernelIfLi16ELi16ELi32ELi32ELi8ELi32ELi8ELi8ELi32ELc67ELc67EKPK16rocblas_bfloat16S4_KPS1_EEvlllT_PT11_llS9_llS7_PT12_llPT13_lli, .Lfunc_end153-_ZN12_GLOBAL__N_127rocblas_gemm_batched_kernelIfLi16ELi16ELi32ELi32ELi8ELi32ELi8ELi8ELi32ELc67ELc67EKPK16rocblas_bfloat16S4_KPS1_EEvlllT_PT11_llS9_llS7_PT12_llPT13_lli
                                        ; -- End function
	.set _ZN12_GLOBAL__N_127rocblas_gemm_batched_kernelIfLi16ELi16ELi32ELi32ELi8ELi32ELi8ELi8ELi32ELc67ELc67EKPK16rocblas_bfloat16S4_KPS1_EEvlllT_PT11_llS9_llS7_PT12_llPT13_lli.num_vgpr, 58
	.set _ZN12_GLOBAL__N_127rocblas_gemm_batched_kernelIfLi16ELi16ELi32ELi32ELi8ELi32ELi8ELi8ELi32ELc67ELc67EKPK16rocblas_bfloat16S4_KPS1_EEvlllT_PT11_llS9_llS7_PT12_llPT13_lli.num_agpr, 0
	.set _ZN12_GLOBAL__N_127rocblas_gemm_batched_kernelIfLi16ELi16ELi32ELi32ELi8ELi32ELi8ELi8ELi32ELc67ELc67EKPK16rocblas_bfloat16S4_KPS1_EEvlllT_PT11_llS9_llS7_PT12_llPT13_lli.numbered_sgpr, 36
	.set _ZN12_GLOBAL__N_127rocblas_gemm_batched_kernelIfLi16ELi16ELi32ELi32ELi8ELi32ELi8ELi8ELi32ELc67ELc67EKPK16rocblas_bfloat16S4_KPS1_EEvlllT_PT11_llS9_llS7_PT12_llPT13_lli.num_named_barrier, 0
	.set _ZN12_GLOBAL__N_127rocblas_gemm_batched_kernelIfLi16ELi16ELi32ELi32ELi8ELi32ELi8ELi8ELi32ELc67ELc67EKPK16rocblas_bfloat16S4_KPS1_EEvlllT_PT11_llS9_llS7_PT12_llPT13_lli.private_seg_size, 0
	.set _ZN12_GLOBAL__N_127rocblas_gemm_batched_kernelIfLi16ELi16ELi32ELi32ELi8ELi32ELi8ELi8ELi32ELc67ELc67EKPK16rocblas_bfloat16S4_KPS1_EEvlllT_PT11_llS9_llS7_PT12_llPT13_lli.uses_vcc, 1
	.set _ZN12_GLOBAL__N_127rocblas_gemm_batched_kernelIfLi16ELi16ELi32ELi32ELi8ELi32ELi8ELi8ELi32ELc67ELc67EKPK16rocblas_bfloat16S4_KPS1_EEvlllT_PT11_llS9_llS7_PT12_llPT13_lli.uses_flat_scratch, 0
	.set _ZN12_GLOBAL__N_127rocblas_gemm_batched_kernelIfLi16ELi16ELi32ELi32ELi8ELi32ELi8ELi8ELi32ELc67ELc67EKPK16rocblas_bfloat16S4_KPS1_EEvlllT_PT11_llS9_llS7_PT12_llPT13_lli.has_dyn_sized_stack, 0
	.set _ZN12_GLOBAL__N_127rocblas_gemm_batched_kernelIfLi16ELi16ELi32ELi32ELi8ELi32ELi8ELi8ELi32ELc67ELc67EKPK16rocblas_bfloat16S4_KPS1_EEvlllT_PT11_llS9_llS7_PT12_llPT13_lli.has_recursion, 0
	.set _ZN12_GLOBAL__N_127rocblas_gemm_batched_kernelIfLi16ELi16ELi32ELi32ELi8ELi32ELi8ELi8ELi32ELc67ELc67EKPK16rocblas_bfloat16S4_KPS1_EEvlllT_PT11_llS9_llS7_PT12_llPT13_lli.has_indirect_call, 0
	.section	.AMDGPU.csdata,"",@progbits
; Kernel info:
; codeLenInByte = 2540
; TotalNumSgprs: 38
; NumVgprs: 58
; ScratchSize: 0
; MemoryBound: 0
; FloatMode: 240
; IeeeMode: 1
; LDSByteSize: 2048 bytes/workgroup (compile time only)
; SGPRBlocks: 0
; VGPRBlocks: 3
; NumSGPRsForWavesPerEU: 38
; NumVGPRsForWavesPerEU: 58
; NamedBarCnt: 0
; Occupancy: 16
; WaveLimiterHint : 1
; COMPUTE_PGM_RSRC2:SCRATCH_EN: 0
; COMPUTE_PGM_RSRC2:USER_SGPR: 2
; COMPUTE_PGM_RSRC2:TRAP_HANDLER: 0
; COMPUTE_PGM_RSRC2:TGID_X_EN: 1
; COMPUTE_PGM_RSRC2:TGID_Y_EN: 1
; COMPUTE_PGM_RSRC2:TGID_Z_EN: 1
; COMPUTE_PGM_RSRC2:TIDIG_COMP_CNT: 1
	.section	.text._ZN12_GLOBAL__N_127rocblas_gemm_batched_kernelIfLi16ELi16ELi32ELi32ELi8ELi32ELi8ELi8ELi32ELc67ELc78EKPK16rocblas_bfloat16S4_KPS1_EEvlllT_PT11_llS9_llS7_PT12_llPT13_lli,"axG",@progbits,_ZN12_GLOBAL__N_127rocblas_gemm_batched_kernelIfLi16ELi16ELi32ELi32ELi8ELi32ELi8ELi8ELi32ELc67ELc78EKPK16rocblas_bfloat16S4_KPS1_EEvlllT_PT11_llS9_llS7_PT12_llPT13_lli,comdat
	.globl	_ZN12_GLOBAL__N_127rocblas_gemm_batched_kernelIfLi16ELi16ELi32ELi32ELi8ELi32ELi8ELi8ELi32ELc67ELc78EKPK16rocblas_bfloat16S4_KPS1_EEvlllT_PT11_llS9_llS7_PT12_llPT13_lli ; -- Begin function _ZN12_GLOBAL__N_127rocblas_gemm_batched_kernelIfLi16ELi16ELi32ELi32ELi8ELi32ELi8ELi8ELi32ELc67ELc78EKPK16rocblas_bfloat16S4_KPS1_EEvlllT_PT11_llS9_llS7_PT12_llPT13_lli
	.p2align	8
	.type	_ZN12_GLOBAL__N_127rocblas_gemm_batched_kernelIfLi16ELi16ELi32ELi32ELi8ELi32ELi8ELi8ELi32ELc67ELc78EKPK16rocblas_bfloat16S4_KPS1_EEvlllT_PT11_llS9_llS7_PT12_llPT13_lli,@function
_ZN12_GLOBAL__N_127rocblas_gemm_batched_kernelIfLi16ELi16ELi32ELi32ELi8ELi32ELi8ELi8ELi32ELc67ELc78EKPK16rocblas_bfloat16S4_KPS1_EEvlllT_PT11_llS9_llS7_PT12_llPT13_lli: ; @_ZN12_GLOBAL__N_127rocblas_gemm_batched_kernelIfLi16ELi16ELi32ELi32ELi8ELi32ELi8ELi8ELi32ELc67ELc78EKPK16rocblas_bfloat16S4_KPS1_EEvlllT_PT11_llS9_llS7_PT12_llPT13_lli
; %bb.0:
	s_load_b32 s3, s[0:1], 0x88
	s_bfe_u32 s2, ttmp6, 0x40014
	s_lshr_b32 s4, ttmp7, 16
	s_add_co_i32 s2, s2, 1
	s_bfe_u32 s6, ttmp6, 0x40008
	s_mul_i32 s5, s4, s2
	s_getreg_b32 s2, hwreg(HW_REG_IB_STS2, 6, 4)
	s_add_co_i32 s6, s6, s5
	s_cmp_eq_u32 s2, 0
	s_mov_b32 s29, 0
	s_cselect_b32 s28, s4, s6
	s_wait_kmcnt 0x0
	s_cmp_ge_i32 s28, s3
	s_cbranch_scc1 .LBB154_58
; %bb.1:
	v_bfe_u32 v2, v0, 10, 10
	v_and_b32_e32 v8, 0x3ff, v0
	s_bfe_u32 s12, ttmp6, 0x4000c
	s_bfe_u32 s14, ttmp6, 0x40010
	s_clause 0x2
	s_load_b256 s[4:11], s[0:1], 0x20
	s_load_b128 s[20:23], s[0:1], 0x40
	s_load_b32 s30, s[0:1], 0x50
	s_add_co_i32 s12, s12, 1
	s_and_b32 s15, ttmp7, 0xffff
	s_add_co_i32 s14, s14, 1
	v_lshl_add_u32 v1, v2, 4, v8
	v_mov_b32_e32 v3, 0
	s_and_b32 s13, ttmp6, 15
	s_mul_i32 s12, ttmp9, s12
	s_mul_i32 s14, s15, s14
	s_bfe_u32 s16, ttmp6, 0x40004
	s_add_co_i32 s13, s13, s12
	s_add_co_i32 s16, s16, s14
	s_cmp_eq_u32 s2, 0
	v_dual_mov_b32 v11, v3 :: v_dual_lshrrev_b32 v10, 3, v1
	v_and_b32_e32 v16, 31, v1
	s_cselect_b32 s2, s15, s16
	s_cselect_b32 s12, ttmp9, s13
	s_lshl_b32 s34, s2, 5
	s_mov_b32 s35, s29
	s_ashr_i32 s13, s12, 31
	v_add_nc_u64_e32 v[4:5], s[34:35], v[10:11]
	s_load_b128 s[24:27], s[0:1], 0x78
	s_lshl_b64 s[36:37], s[12:13], 5
	s_load_b256 s[12:19], s[0:1], 0x58
	v_dual_mov_b32 v7, s37 :: v_dual_bitop2_b32 v6, s36, v16 bitop3:0x54
	s_wait_xcnt 0x0
	s_load_b96 s[0:2], s[0:1], 0x10
	s_wait_kmcnt 0x0
	v_mul_u64_e32 v[12:13], s[20:21], v[4:5]
	s_cmp_eq_f32 s30, 0
	v_dual_mov_b32 v9, v3 :: v_dual_bitop2_b32 v0, 7, v0 bitop3:0x40
	v_mul_u64_e32 v[14:15], s[6:7], v[6:7]
	v_add_nc_u64_e32 v[6:7], s[34:35], v[2:3]
	s_cselect_b32 s31, -1, 0
	s_lshl_b64 s[6:7], s[22:23], 1
	v_dual_lshlrev_b32 v11, 2, v0 :: v_dual_lshrrev_b32 v17, 5, v1
	v_lshl_add_u32 v24, v2, 5, 0x400
	v_lshlrev_b32_e32 v2, 1, v0
	v_lshlrev_b32_e32 v16, 2, v16
	;; [unrolled: 1-line block ×3, first 2 shown]
	v_mul_u64_e32 v[4:5], s[24:25], v[6:7]
	v_add_nc_u64_e32 v[8:9], s[36:37], v[8:9]
	v_mul_u64_e32 v[6:7], s[14:15], v[6:7]
	s_lshl_b64 s[16:17], s[16:17], 1
	v_cmp_gt_i64_e64 s22, s[0:1], 0
	v_lshl_add_u64 v[0:1], v[12:13], 1, s[6:7]
	s_lshl_b64 s[6:7], s[8:9], 1
	v_lshl_or_b32 v12, v10, 5, v11
	s_lshl_b64 s[8:9], s[14:15], 4
	v_lshl_add_u64 v[10:11], v[14:15], 1, s[6:7]
	v_add_nc_u64_e32 v[0:1], v[0:1], v[2:3]
	v_lshlrev_b32_e32 v2, 1, v17
	v_lshl_or_b32 v25, v17, 7, v16
	v_add_nc_u32_e32 v26, 0x400, v12
	s_lshl_b64 s[6:7], s[24:25], 4
	s_lshl_b64 s[14:15], s[26:27], 1
	v_add_nc_u64_e32 v[10:11], v[10:11], v[2:3]
	s_branch .LBB154_4
.LBB154_2:                              ;   in Loop: Header=BB154_4 Depth=1
	s_or_b32 exec_lo, exec_lo, s20
	flat_store_d16_hi_b16 v[16:17], v12 offset:32
.LBB154_3:                              ;   in Loop: Header=BB154_4 Depth=1
	s_add_co_i32 s28, s28, 0x10000
	s_delay_alu instid0(SALU_CYCLE_1)
	s_cmp_lt_i32 s28, s3
	s_cbranch_scc0 .LBB154_58
.LBB154_4:                              ; =>This Loop Header: Depth=1
                                        ;     Child Loop BB154_6 Depth 2
	s_wait_xcnt 0x0
	v_dual_mov_b32 v2, s28 :: v_dual_mov_b32 v15, 0
	v_dual_mov_b32 v14, 0 :: v_dual_mov_b32 v13, 0
	v_mov_b32_e32 v12, 0
	s_clause 0x1
	global_load_b64 v[16:17], v2, s[12:13] scale_offset
	global_load_b64 v[18:19], v2, s[18:19] scale_offset
	s_and_not1_b32 vcc_lo, exec_lo, s22
	s_cbranch_vccnz .LBB154_7
; %bb.5:                                ;   in Loop: Header=BB154_4 Depth=1
	s_lshl_b64 s[20:21], s[28:29], 3
	v_mov_b32_e32 v12, 0
	s_add_nc_u64 s[24:25], s[10:11], s[20:21]
	s_add_nc_u64 s[20:21], s[4:5], s[20:21]
	s_clause 0x1
	global_load_b64 v[14:15], v3, s[24:25]
	global_load_b64 v[22:23], v3, s[20:21]
	s_wait_xcnt 0x0
	s_mov_b64 s[20:21], 0
	v_mov_b32_e32 v13, v12
	s_wait_loadcnt 0x1
	v_add_nc_u64_e32 v[20:21], v[14:15], v[0:1]
	s_wait_loadcnt 0x0
	v_add_nc_u64_e32 v[22:23], v[22:23], v[10:11]
	v_dual_mov_b32 v14, v12 :: v_dual_mov_b32 v15, v12
.LBB154_6:                              ;   Parent Loop BB154_4 Depth=1
                                        ; =>  This Inner Loop Header: Depth=2
	flat_load_u16 v2, v[22:23]
	flat_load_u16 v28, v[20:21]
	s_add_nc_u64 s[20:21], s[20:21], 8
	s_wait_xcnt 0x0
	v_add_nc_u64_e32 v[20:21], 16, v[20:21]
	v_cmp_lt_i64_e64 s23, s[20:21], s[0:1]
	v_add_nc_u64_e32 v[22:23], 16, v[22:23]
	s_and_b32 vcc_lo, exec_lo, s23
	s_wait_loadcnt_dscnt 0x0
	v_dual_lshlrev_b32 v2, 16, v2 :: v_dual_lshlrev_b32 v28, 16, v28
	ds_store_b32 v25, v2
	ds_store_b32 v26, v28
	s_wait_dscnt 0x0
	s_barrier_signal -1
	s_barrier_wait -1
	ds_load_b128 v[28:31], v24
	ds_load_2addr_b32 v[44:45], v27 offset1:16
	ds_load_b128 v[32:35], v24 offset:512
	ds_load_2addr_b32 v[46:47], v27 offset0:32 offset1:48
	ds_load_2addr_b32 v[48:49], v27 offset0:64 offset1:80
	ds_load_b128 v[36:39], v24 offset:16
	ds_load_2addr_b32 v[50:51], v27 offset0:96 offset1:112
	ds_load_2addr_b32 v[52:53], v27 offset0:128 offset1:144
	;; [unrolled: 3-line block ×3, first 2 shown]
	s_wait_dscnt 0xa
	v_mov_b32_e32 v2, v31
	s_wait_dscnt 0x9
	v_pk_fma_f32 v[14:15], v[44:45], v[28:29], v[14:15] op_sel_hi:[1,0,1]
	s_wait_dscnt 0x8
	v_pk_fma_f32 v[12:13], v[44:45], v[32:33], v[12:13] op_sel_hi:[1,0,1]
	s_wait_dscnt 0x7
	s_delay_alu instid0(VALU_DEP_2) | instskip(NEXT) | instid1(VALU_DEP_2)
	v_pk_fma_f32 v[14:15], v[46:47], v[28:29], v[14:15] op_sel:[0,1,0]
	v_pk_fma_f32 v[12:13], v[46:47], v[32:33], v[12:13] op_sel:[0,1,0]
	v_mov_b32_e32 v28, v35
	s_wait_dscnt 0x6
	s_delay_alu instid0(VALU_DEP_3) | instskip(NEXT) | instid1(VALU_DEP_3)
	v_pk_fma_f32 v[14:15], v[48:49], v[30:31], v[14:15] op_sel_hi:[1,0,1]
	v_pk_fma_f32 v[12:13], v[48:49], v[34:35], v[12:13] op_sel_hi:[1,0,1]
	ds_load_2addr_b32 v[30:31], v27 offset0:224 offset1:240
	s_wait_dscnt 0x0
	s_barrier_signal -1
	v_pk_fma_f32 v[14:15], v[50:51], v[2:3], v[14:15] op_sel_hi:[1,0,1]
	v_pk_fma_f32 v[12:13], v[50:51], v[28:29], v[12:13] op_sel_hi:[1,0,1]
	v_dual_mov_b32 v2, v39 :: v_dual_mov_b32 v28, v43
	s_barrier_wait -1
	s_delay_alu instid0(VALU_DEP_3) | instskip(NEXT) | instid1(VALU_DEP_3)
	v_pk_fma_f32 v[14:15], v[52:53], v[36:37], v[14:15] op_sel_hi:[1,0,1]
	v_pk_fma_f32 v[12:13], v[52:53], v[40:41], v[12:13] op_sel_hi:[1,0,1]
	s_delay_alu instid0(VALU_DEP_2) | instskip(NEXT) | instid1(VALU_DEP_2)
	v_pk_fma_f32 v[14:15], v[54:55], v[36:37], v[14:15] op_sel:[0,1,0]
	v_pk_fma_f32 v[12:13], v[54:55], v[40:41], v[12:13] op_sel:[0,1,0]
	s_delay_alu instid0(VALU_DEP_2) | instskip(NEXT) | instid1(VALU_DEP_2)
	v_pk_fma_f32 v[14:15], v[56:57], v[38:39], v[14:15] op_sel_hi:[1,0,1]
	v_pk_fma_f32 v[12:13], v[56:57], v[42:43], v[12:13] op_sel_hi:[1,0,1]
	s_delay_alu instid0(VALU_DEP_2) | instskip(NEXT) | instid1(VALU_DEP_2)
	v_pk_fma_f32 v[14:15], v[30:31], v[2:3], v[14:15] op_sel_hi:[1,0,1]
	v_pk_fma_f32 v[12:13], v[30:31], v[28:29], v[12:13] op_sel_hi:[1,0,1]
	s_cbranch_vccnz .LBB154_6
.LBB154_7:                              ;   in Loop: Header=BB154_4 Depth=1
	s_wait_loadcnt 0x0
	v_add_nc_u64_e32 v[18:19], s[14:15], v[18:19]
	s_and_not1_b32 vcc_lo, exec_lo, s31
	s_cbranch_vccnz .LBB154_25
; %bb.8:                                ;   in Loop: Header=BB154_4 Depth=1
	v_mul_f32_e32 v20, s2, v14
	s_wait_xcnt 0x0
	s_delay_alu instid0(VALU_DEP_1) | instskip(NEXT) | instid1(VALU_DEP_1)
	v_and_b32_e32 v2, 0x7f800000, v20
	v_cmp_ne_u32_e32 vcc_lo, 0x7f800000, v2
                                        ; implicit-def: $vgpr2
	s_and_saveexec_b32 s20, vcc_lo
	s_delay_alu instid0(SALU_CYCLE_1)
	s_xor_b32 s20, exec_lo, s20
; %bb.9:                                ;   in Loop: Header=BB154_4 Depth=1
	v_bfe_u32 v2, v20, 16, 1
	s_delay_alu instid0(VALU_DEP_1)
	v_add3_u32 v2, v20, v2, 0x7fff
                                        ; implicit-def: $vgpr20
; %bb.10:                               ;   in Loop: Header=BB154_4 Depth=1
	s_and_not1_saveexec_b32 s20, s20
; %bb.11:                               ;   in Loop: Header=BB154_4 Depth=1
	v_and_b32_e32 v2, 0xffff, v20
	v_or_b32_e32 v21, 0x10000, v20
	s_delay_alu instid0(VALU_DEP_2) | instskip(NEXT) | instid1(VALU_DEP_2)
	v_cmp_eq_u32_e32 vcc_lo, 0, v2
	v_cndmask_b32_e32 v2, v21, v20, vcc_lo
; %bb.12:                               ;   in Loop: Header=BB154_4 Depth=1
	s_or_b32 exec_lo, exec_lo, s20
	v_mul_f32_e32 v28, s2, v15
	v_lshl_add_u64 v[20:21], v[4:5], 1, v[18:19]
	s_mov_b32 s20, exec_lo
	s_delay_alu instid0(VALU_DEP_2) | instskip(NEXT) | instid1(VALU_DEP_2)
	v_and_b32_e32 v29, 0x7f800000, v28
	v_lshl_add_u64 v[22:23], v[8:9], 1, v[20:21]
	flat_store_d16_hi_b16 v[22:23], v2
                                        ; implicit-def: $vgpr2
	s_wait_xcnt 0x0
	v_cmpx_ne_u32_e32 0x7f800000, v29
	s_xor_b32 s20, exec_lo, s20
; %bb.13:                               ;   in Loop: Header=BB154_4 Depth=1
	v_bfe_u32 v2, v28, 16, 1
	s_delay_alu instid0(VALU_DEP_1)
	v_add3_u32 v2, v28, v2, 0x7fff
                                        ; implicit-def: $vgpr28
; %bb.14:                               ;   in Loop: Header=BB154_4 Depth=1
	s_and_not1_saveexec_b32 s20, s20
; %bb.15:                               ;   in Loop: Header=BB154_4 Depth=1
	v_and_b32_e32 v2, 0xffff, v28
	v_or_b32_e32 v29, 0x10000, v28
	s_delay_alu instid0(VALU_DEP_2) | instskip(NEXT) | instid1(VALU_DEP_2)
	v_cmp_eq_u32_e32 vcc_lo, 0, v2
	v_cndmask_b32_e32 v2, v29, v28, vcc_lo
; %bb.16:                               ;   in Loop: Header=BB154_4 Depth=1
	s_or_b32 exec_lo, exec_lo, s20
	v_mul_f32_e32 v28, s2, v12
	s_mov_b32 s20, exec_lo
	flat_store_d16_hi_b16 v[22:23], v2 offset:32
                                        ; implicit-def: $vgpr2
	v_and_b32_e32 v29, 0x7f800000, v28
	s_wait_xcnt 0x0
	s_delay_alu instid0(VALU_DEP_1)
	v_cmpx_ne_u32_e32 0x7f800000, v29
	s_xor_b32 s20, exec_lo, s20
; %bb.17:                               ;   in Loop: Header=BB154_4 Depth=1
	v_bfe_u32 v2, v28, 16, 1
	s_delay_alu instid0(VALU_DEP_1)
	v_add3_u32 v2, v28, v2, 0x7fff
                                        ; implicit-def: $vgpr28
; %bb.18:                               ;   in Loop: Header=BB154_4 Depth=1
	s_and_not1_saveexec_b32 s20, s20
; %bb.19:                               ;   in Loop: Header=BB154_4 Depth=1
	v_and_b32_e32 v2, 0xffff, v28
	v_or_b32_e32 v22, 0x10000, v28
	s_delay_alu instid0(VALU_DEP_2) | instskip(NEXT) | instid1(VALU_DEP_2)
	v_cmp_eq_u32_e32 vcc_lo, 0, v2
	v_cndmask_b32_e32 v2, v22, v28, vcc_lo
; %bb.20:                               ;   in Loop: Header=BB154_4 Depth=1
	s_or_b32 exec_lo, exec_lo, s20
	v_mul_f32_e32 v22, s2, v13
	v_lshl_add_u64 v[20:21], s[6:7], 1, v[20:21]
	s_mov_b32 s20, exec_lo
	s_delay_alu instid0(VALU_DEP_2) | instskip(NEXT) | instid1(VALU_DEP_2)
	v_and_b32_e32 v23, 0x7f800000, v22
	v_lshl_add_u64 v[20:21], v[8:9], 1, v[20:21]
	flat_store_d16_hi_b16 v[20:21], v2
                                        ; implicit-def: $vgpr2
	s_wait_xcnt 0x0
	v_cmpx_ne_u32_e32 0x7f800000, v23
	s_xor_b32 s20, exec_lo, s20
; %bb.21:                               ;   in Loop: Header=BB154_4 Depth=1
	v_bfe_u32 v2, v22, 16, 1
	s_delay_alu instid0(VALU_DEP_1)
	v_add3_u32 v2, v22, v2, 0x7fff
                                        ; implicit-def: $vgpr22
; %bb.22:                               ;   in Loop: Header=BB154_4 Depth=1
	s_and_not1_saveexec_b32 s20, s20
; %bb.23:                               ;   in Loop: Header=BB154_4 Depth=1
	v_and_b32_e32 v2, 0xffff, v22
	v_or_b32_e32 v23, 0x10000, v22
	s_delay_alu instid0(VALU_DEP_2) | instskip(NEXT) | instid1(VALU_DEP_2)
	v_cmp_eq_u32_e32 vcc_lo, 0, v2
	v_cndmask_b32_e32 v2, v23, v22, vcc_lo
; %bb.24:                               ;   in Loop: Header=BB154_4 Depth=1
	s_or_b32 exec_lo, exec_lo, s20
	flat_store_d16_hi_b16 v[20:21], v2 offset:32
	s_branch .LBB154_3
.LBB154_25:                             ;   in Loop: Header=BB154_4 Depth=1
	s_cbranch_execz .LBB154_3
; %bb.26:                               ;   in Loop: Header=BB154_4 Depth=1
	v_add_nc_u64_e32 v[16:17], s[16:17], v[16:17]
	s_delay_alu instid0(VALU_DEP_1) | instskip(SKIP_1) | instid1(VALU_DEP_1)
	v_lshl_add_u64 v[16:17], v[6:7], 1, v[16:17]
	s_wait_xcnt 0x0
	v_lshl_add_u64 v[20:21], v[8:9], 1, v[16:17]
	flat_load_u16 v2, v[20:21]
	s_wait_loadcnt_dscnt 0x0
	v_lshlrev_b32_e32 v2, 16, v2
	s_delay_alu instid0(VALU_DEP_1) | instskip(NEXT) | instid1(VALU_DEP_1)
	v_mul_f32_e32 v2, s30, v2
	v_and_b32_e32 v22, 0x7f800000, v2
	s_delay_alu instid0(VALU_DEP_1) | instskip(SKIP_2) | instid1(SALU_CYCLE_1)
	v_cmp_ne_u32_e32 vcc_lo, 0x7f800000, v22
                                        ; implicit-def: $vgpr22
	s_wait_xcnt 0x0
	s_and_saveexec_b32 s20, vcc_lo
	s_xor_b32 s20, exec_lo, s20
; %bb.27:                               ;   in Loop: Header=BB154_4 Depth=1
	v_bfe_u32 v22, v2, 16, 1
	s_delay_alu instid0(VALU_DEP_1)
	v_add3_u32 v22, v2, v22, 0x7fff
                                        ; implicit-def: $vgpr2
; %bb.28:                               ;   in Loop: Header=BB154_4 Depth=1
	s_and_not1_saveexec_b32 s20, s20
; %bb.29:                               ;   in Loop: Header=BB154_4 Depth=1
	v_and_b32_e32 v22, 0xffff, v2
	v_or_b32_e32 v23, 0x10000, v2
	s_delay_alu instid0(VALU_DEP_2) | instskip(NEXT) | instid1(VALU_DEP_2)
	v_cmp_eq_u32_e32 vcc_lo, 0, v22
	v_cndmask_b32_e32 v22, v23, v2, vcc_lo
; %bb.30:                               ;   in Loop: Header=BB154_4 Depth=1
	s_or_b32 exec_lo, exec_lo, s20
	s_delay_alu instid0(VALU_DEP_1) | instskip(NEXT) | instid1(VALU_DEP_1)
	v_fma_mix_f32_bf16 v2, s2, v14, v22 op_sel:[0,0,1] op_sel_hi:[0,0,1]
	v_and_b32_e32 v14, 0x7f800000, v2
	s_delay_alu instid0(VALU_DEP_1) | instskip(SKIP_1) | instid1(SALU_CYCLE_1)
	v_cmp_ne_u32_e32 vcc_lo, 0x7f800000, v14
                                        ; implicit-def: $vgpr14
	s_and_saveexec_b32 s20, vcc_lo
	s_xor_b32 s20, exec_lo, s20
; %bb.31:                               ;   in Loop: Header=BB154_4 Depth=1
	v_bfe_u32 v14, v2, 16, 1
	s_delay_alu instid0(VALU_DEP_1)
	v_add3_u32 v14, v2, v14, 0x7fff
                                        ; implicit-def: $vgpr2
; %bb.32:                               ;   in Loop: Header=BB154_4 Depth=1
	s_and_not1_saveexec_b32 s20, s20
; %bb.33:                               ;   in Loop: Header=BB154_4 Depth=1
	v_and_b32_e32 v14, 0xffff, v2
	v_or_b32_e32 v22, 0x10000, v2
	s_delay_alu instid0(VALU_DEP_2) | instskip(NEXT) | instid1(VALU_DEP_2)
	v_cmp_eq_u32_e32 vcc_lo, 0, v14
	v_cndmask_b32_e32 v14, v22, v2, vcc_lo
; %bb.34:                               ;   in Loop: Header=BB154_4 Depth=1
	s_or_b32 exec_lo, exec_lo, s20
	v_lshl_add_u64 v[18:19], v[4:5], 1, v[18:19]
	s_delay_alu instid0(VALU_DEP_1) | instskip(SKIP_4) | instid1(VALU_DEP_1)
	v_lshl_add_u64 v[22:23], v[8:9], 1, v[18:19]
	flat_store_d16_hi_b16 v[22:23], v14
	flat_load_u16 v2, v[20:21] offset:32
	s_wait_loadcnt_dscnt 0x0
	v_lshlrev_b32_e32 v2, 16, v2
	v_mul_f32_e32 v2, s30, v2
	s_wait_xcnt 0x1
	s_delay_alu instid0(VALU_DEP_1) | instskip(NEXT) | instid1(VALU_DEP_1)
	v_and_b32_e32 v14, 0x7f800000, v2
	v_cmp_ne_u32_e32 vcc_lo, 0x7f800000, v14
                                        ; implicit-def: $vgpr14
	s_wait_xcnt 0x0
	s_and_saveexec_b32 s20, vcc_lo
	s_delay_alu instid0(SALU_CYCLE_1)
	s_xor_b32 s20, exec_lo, s20
; %bb.35:                               ;   in Loop: Header=BB154_4 Depth=1
	v_bfe_u32 v14, v2, 16, 1
	s_delay_alu instid0(VALU_DEP_1)
	v_add3_u32 v14, v2, v14, 0x7fff
                                        ; implicit-def: $vgpr2
; %bb.36:                               ;   in Loop: Header=BB154_4 Depth=1
	s_and_not1_saveexec_b32 s20, s20
; %bb.37:                               ;   in Loop: Header=BB154_4 Depth=1
	v_and_b32_e32 v14, 0xffff, v2
	v_or_b32_e32 v20, 0x10000, v2
	s_delay_alu instid0(VALU_DEP_2) | instskip(NEXT) | instid1(VALU_DEP_2)
	v_cmp_eq_u32_e32 vcc_lo, 0, v14
	v_cndmask_b32_e32 v14, v20, v2, vcc_lo
; %bb.38:                               ;   in Loop: Header=BB154_4 Depth=1
	s_or_b32 exec_lo, exec_lo, s20
	s_delay_alu instid0(VALU_DEP_1) | instskip(SKIP_1) | instid1(VALU_DEP_1)
	v_fma_mix_f32_bf16 v2, s2, v15, v14 op_sel:[0,0,1] op_sel_hi:[0,0,1]
	s_mov_b32 s20, exec_lo
                                        ; implicit-def: $vgpr20
	v_and_b32_e32 v14, 0x7f800000, v2
	s_delay_alu instid0(VALU_DEP_1)
	v_cmpx_ne_u32_e32 0x7f800000, v14
	s_xor_b32 s20, exec_lo, s20
; %bb.39:                               ;   in Loop: Header=BB154_4 Depth=1
	v_bfe_u32 v14, v2, 16, 1
	s_delay_alu instid0(VALU_DEP_1)
	v_add3_u32 v20, v2, v14, 0x7fff
                                        ; implicit-def: $vgpr2
; %bb.40:                               ;   in Loop: Header=BB154_4 Depth=1
	s_and_not1_saveexec_b32 s20, s20
; %bb.41:                               ;   in Loop: Header=BB154_4 Depth=1
	v_and_b32_e32 v14, 0xffff, v2
	v_or_b32_e32 v15, 0x10000, v2
	s_delay_alu instid0(VALU_DEP_2) | instskip(NEXT) | instid1(VALU_DEP_2)
	v_cmp_eq_u32_e32 vcc_lo, 0, v14
	v_cndmask_b32_e32 v20, v15, v2, vcc_lo
; %bb.42:                               ;   in Loop: Header=BB154_4 Depth=1
	s_or_b32 exec_lo, exec_lo, s20
	v_lshl_add_u64 v[14:15], s[8:9], 1, v[16:17]
	flat_store_d16_hi_b16 v[22:23], v20 offset:32
	v_lshl_add_u64 v[14:15], v[8:9], 1, v[14:15]
	flat_load_u16 v2, v[14:15]
	s_wait_loadcnt_dscnt 0x0
	v_lshlrev_b32_e32 v2, 16, v2
	s_delay_alu instid0(VALU_DEP_1) | instskip(NEXT) | instid1(VALU_DEP_1)
	v_mul_f32_e32 v2, s30, v2
	v_and_b32_e32 v16, 0x7f800000, v2
	s_delay_alu instid0(VALU_DEP_1) | instskip(SKIP_2) | instid1(SALU_CYCLE_1)
	v_cmp_ne_u32_e32 vcc_lo, 0x7f800000, v16
                                        ; implicit-def: $vgpr16
	s_wait_xcnt 0x0
	s_and_saveexec_b32 s20, vcc_lo
	s_xor_b32 s20, exec_lo, s20
; %bb.43:                               ;   in Loop: Header=BB154_4 Depth=1
	v_bfe_u32 v16, v2, 16, 1
	s_delay_alu instid0(VALU_DEP_1)
	v_add3_u32 v16, v2, v16, 0x7fff
                                        ; implicit-def: $vgpr2
; %bb.44:                               ;   in Loop: Header=BB154_4 Depth=1
	s_and_not1_saveexec_b32 s20, s20
; %bb.45:                               ;   in Loop: Header=BB154_4 Depth=1
	v_and_b32_e32 v16, 0xffff, v2
	v_or_b32_e32 v17, 0x10000, v2
	s_delay_alu instid0(VALU_DEP_2) | instskip(NEXT) | instid1(VALU_DEP_2)
	v_cmp_eq_u32_e32 vcc_lo, 0, v16
	v_cndmask_b32_e32 v16, v17, v2, vcc_lo
; %bb.46:                               ;   in Loop: Header=BB154_4 Depth=1
	s_or_b32 exec_lo, exec_lo, s20
	s_delay_alu instid0(VALU_DEP_1) | instskip(NEXT) | instid1(VALU_DEP_1)
	v_fma_mix_f32_bf16 v2, s2, v12, v16 op_sel:[0,0,1] op_sel_hi:[0,0,1]
	v_and_b32_e32 v12, 0x7f800000, v2
	s_delay_alu instid0(VALU_DEP_1) | instskip(SKIP_1) | instid1(SALU_CYCLE_1)
	v_cmp_ne_u32_e32 vcc_lo, 0x7f800000, v12
                                        ; implicit-def: $vgpr12
	s_and_saveexec_b32 s20, vcc_lo
	s_xor_b32 s20, exec_lo, s20
; %bb.47:                               ;   in Loop: Header=BB154_4 Depth=1
	v_bfe_u32 v12, v2, 16, 1
	s_delay_alu instid0(VALU_DEP_1)
	v_add3_u32 v12, v2, v12, 0x7fff
                                        ; implicit-def: $vgpr2
; %bb.48:                               ;   in Loop: Header=BB154_4 Depth=1
	s_and_not1_saveexec_b32 s20, s20
; %bb.49:                               ;   in Loop: Header=BB154_4 Depth=1
	v_and_b32_e32 v12, 0xffff, v2
	v_or_b32_e32 v16, 0x10000, v2
	s_delay_alu instid0(VALU_DEP_2) | instskip(NEXT) | instid1(VALU_DEP_2)
	v_cmp_eq_u32_e32 vcc_lo, 0, v12
	v_cndmask_b32_e32 v12, v16, v2, vcc_lo
; %bb.50:                               ;   in Loop: Header=BB154_4 Depth=1
	s_or_b32 exec_lo, exec_lo, s20
	v_lshl_add_u64 v[16:17], s[6:7], 1, v[18:19]
	s_delay_alu instid0(VALU_DEP_1) | instskip(SKIP_4) | instid1(VALU_DEP_1)
	v_lshl_add_u64 v[16:17], v[8:9], 1, v[16:17]
	flat_store_d16_hi_b16 v[16:17], v12
	flat_load_u16 v2, v[14:15] offset:32
	s_wait_loadcnt_dscnt 0x0
	v_lshlrev_b32_e32 v2, 16, v2
	v_mul_f32_e32 v2, s30, v2
	s_wait_xcnt 0x1
	s_delay_alu instid0(VALU_DEP_1) | instskip(NEXT) | instid1(VALU_DEP_1)
	v_and_b32_e32 v12, 0x7f800000, v2
	v_cmp_ne_u32_e32 vcc_lo, 0x7f800000, v12
                                        ; implicit-def: $vgpr12
	s_wait_xcnt 0x0
	s_and_saveexec_b32 s20, vcc_lo
	s_delay_alu instid0(SALU_CYCLE_1)
	s_xor_b32 s20, exec_lo, s20
; %bb.51:                               ;   in Loop: Header=BB154_4 Depth=1
	v_bfe_u32 v12, v2, 16, 1
	s_delay_alu instid0(VALU_DEP_1)
	v_add3_u32 v12, v2, v12, 0x7fff
                                        ; implicit-def: $vgpr2
; %bb.52:                               ;   in Loop: Header=BB154_4 Depth=1
	s_and_not1_saveexec_b32 s20, s20
; %bb.53:                               ;   in Loop: Header=BB154_4 Depth=1
	v_and_b32_e32 v12, 0xffff, v2
	v_or_b32_e32 v14, 0x10000, v2
	s_delay_alu instid0(VALU_DEP_2) | instskip(NEXT) | instid1(VALU_DEP_2)
	v_cmp_eq_u32_e32 vcc_lo, 0, v12
	v_cndmask_b32_e32 v12, v14, v2, vcc_lo
; %bb.54:                               ;   in Loop: Header=BB154_4 Depth=1
	s_or_b32 exec_lo, exec_lo, s20
	s_delay_alu instid0(VALU_DEP_1) | instskip(NEXT) | instid1(VALU_DEP_1)
	v_fma_mix_f32_bf16 v2, s2, v13, v12 op_sel:[0,0,1] op_sel_hi:[0,0,1]
	v_and_b32_e32 v12, 0x7f800000, v2
	s_delay_alu instid0(VALU_DEP_1) | instskip(SKIP_1) | instid1(SALU_CYCLE_1)
	v_cmp_ne_u32_e32 vcc_lo, 0x7f800000, v12
                                        ; implicit-def: $vgpr12
	s_and_saveexec_b32 s20, vcc_lo
	s_xor_b32 s20, exec_lo, s20
; %bb.55:                               ;   in Loop: Header=BB154_4 Depth=1
	v_bfe_u32 v12, v2, 16, 1
	s_delay_alu instid0(VALU_DEP_1)
	v_add3_u32 v12, v2, v12, 0x7fff
                                        ; implicit-def: $vgpr2
; %bb.56:                               ;   in Loop: Header=BB154_4 Depth=1
	s_and_not1_saveexec_b32 s20, s20
	s_cbranch_execz .LBB154_2
; %bb.57:                               ;   in Loop: Header=BB154_4 Depth=1
	v_and_b32_e32 v12, 0xffff, v2
	v_or_b32_e32 v13, 0x10000, v2
	s_delay_alu instid0(VALU_DEP_2) | instskip(NEXT) | instid1(VALU_DEP_2)
	v_cmp_eq_u32_e32 vcc_lo, 0, v12
	v_cndmask_b32_e32 v12, v13, v2, vcc_lo
	s_branch .LBB154_2
.LBB154_58:
	s_endpgm
	.section	.rodata,"a",@progbits
	.p2align	6, 0x0
	.amdhsa_kernel _ZN12_GLOBAL__N_127rocblas_gemm_batched_kernelIfLi16ELi16ELi32ELi32ELi8ELi32ELi8ELi8ELi32ELc67ELc78EKPK16rocblas_bfloat16S4_KPS1_EEvlllT_PT11_llS9_llS7_PT12_llPT13_lli
		.amdhsa_group_segment_fixed_size 2048
		.amdhsa_private_segment_fixed_size 0
		.amdhsa_kernarg_size 140
		.amdhsa_user_sgpr_count 2
		.amdhsa_user_sgpr_dispatch_ptr 0
		.amdhsa_user_sgpr_queue_ptr 0
		.amdhsa_user_sgpr_kernarg_segment_ptr 1
		.amdhsa_user_sgpr_dispatch_id 0
		.amdhsa_user_sgpr_kernarg_preload_length 0
		.amdhsa_user_sgpr_kernarg_preload_offset 0
		.amdhsa_user_sgpr_private_segment_size 0
		.amdhsa_wavefront_size32 1
		.amdhsa_uses_dynamic_stack 0
		.amdhsa_enable_private_segment 0
		.amdhsa_system_sgpr_workgroup_id_x 1
		.amdhsa_system_sgpr_workgroup_id_y 1
		.amdhsa_system_sgpr_workgroup_id_z 1
		.amdhsa_system_sgpr_workgroup_info 0
		.amdhsa_system_vgpr_workitem_id 1
		.amdhsa_next_free_vgpr 58
		.amdhsa_next_free_sgpr 38
		.amdhsa_named_barrier_count 0
		.amdhsa_reserve_vcc 1
		.amdhsa_float_round_mode_32 0
		.amdhsa_float_round_mode_16_64 0
		.amdhsa_float_denorm_mode_32 3
		.amdhsa_float_denorm_mode_16_64 3
		.amdhsa_fp16_overflow 0
		.amdhsa_memory_ordered 1
		.amdhsa_forward_progress 1
		.amdhsa_inst_pref_size 20
		.amdhsa_round_robin_scheduling 0
		.amdhsa_exception_fp_ieee_invalid_op 0
		.amdhsa_exception_fp_denorm_src 0
		.amdhsa_exception_fp_ieee_div_zero 0
		.amdhsa_exception_fp_ieee_overflow 0
		.amdhsa_exception_fp_ieee_underflow 0
		.amdhsa_exception_fp_ieee_inexact 0
		.amdhsa_exception_int_div_zero 0
	.end_amdhsa_kernel
	.section	.text._ZN12_GLOBAL__N_127rocblas_gemm_batched_kernelIfLi16ELi16ELi32ELi32ELi8ELi32ELi8ELi8ELi32ELc67ELc78EKPK16rocblas_bfloat16S4_KPS1_EEvlllT_PT11_llS9_llS7_PT12_llPT13_lli,"axG",@progbits,_ZN12_GLOBAL__N_127rocblas_gemm_batched_kernelIfLi16ELi16ELi32ELi32ELi8ELi32ELi8ELi8ELi32ELc67ELc78EKPK16rocblas_bfloat16S4_KPS1_EEvlllT_PT11_llS9_llS7_PT12_llPT13_lli,comdat
.Lfunc_end154:
	.size	_ZN12_GLOBAL__N_127rocblas_gemm_batched_kernelIfLi16ELi16ELi32ELi32ELi8ELi32ELi8ELi8ELi32ELc67ELc78EKPK16rocblas_bfloat16S4_KPS1_EEvlllT_PT11_llS9_llS7_PT12_llPT13_lli, .Lfunc_end154-_ZN12_GLOBAL__N_127rocblas_gemm_batched_kernelIfLi16ELi16ELi32ELi32ELi8ELi32ELi8ELi8ELi32ELc67ELc78EKPK16rocblas_bfloat16S4_KPS1_EEvlllT_PT11_llS9_llS7_PT12_llPT13_lli
                                        ; -- End function
	.set _ZN12_GLOBAL__N_127rocblas_gemm_batched_kernelIfLi16ELi16ELi32ELi32ELi8ELi32ELi8ELi8ELi32ELc67ELc78EKPK16rocblas_bfloat16S4_KPS1_EEvlllT_PT11_llS9_llS7_PT12_llPT13_lli.num_vgpr, 58
	.set _ZN12_GLOBAL__N_127rocblas_gemm_batched_kernelIfLi16ELi16ELi32ELi32ELi8ELi32ELi8ELi8ELi32ELc67ELc78EKPK16rocblas_bfloat16S4_KPS1_EEvlllT_PT11_llS9_llS7_PT12_llPT13_lli.num_agpr, 0
	.set _ZN12_GLOBAL__N_127rocblas_gemm_batched_kernelIfLi16ELi16ELi32ELi32ELi8ELi32ELi8ELi8ELi32ELc67ELc78EKPK16rocblas_bfloat16S4_KPS1_EEvlllT_PT11_llS9_llS7_PT12_llPT13_lli.numbered_sgpr, 38
	.set _ZN12_GLOBAL__N_127rocblas_gemm_batched_kernelIfLi16ELi16ELi32ELi32ELi8ELi32ELi8ELi8ELi32ELc67ELc78EKPK16rocblas_bfloat16S4_KPS1_EEvlllT_PT11_llS9_llS7_PT12_llPT13_lli.num_named_barrier, 0
	.set _ZN12_GLOBAL__N_127rocblas_gemm_batched_kernelIfLi16ELi16ELi32ELi32ELi8ELi32ELi8ELi8ELi32ELc67ELc78EKPK16rocblas_bfloat16S4_KPS1_EEvlllT_PT11_llS9_llS7_PT12_llPT13_lli.private_seg_size, 0
	.set _ZN12_GLOBAL__N_127rocblas_gemm_batched_kernelIfLi16ELi16ELi32ELi32ELi8ELi32ELi8ELi8ELi32ELc67ELc78EKPK16rocblas_bfloat16S4_KPS1_EEvlllT_PT11_llS9_llS7_PT12_llPT13_lli.uses_vcc, 1
	.set _ZN12_GLOBAL__N_127rocblas_gemm_batched_kernelIfLi16ELi16ELi32ELi32ELi8ELi32ELi8ELi8ELi32ELc67ELc78EKPK16rocblas_bfloat16S4_KPS1_EEvlllT_PT11_llS9_llS7_PT12_llPT13_lli.uses_flat_scratch, 0
	.set _ZN12_GLOBAL__N_127rocblas_gemm_batched_kernelIfLi16ELi16ELi32ELi32ELi8ELi32ELi8ELi8ELi32ELc67ELc78EKPK16rocblas_bfloat16S4_KPS1_EEvlllT_PT11_llS9_llS7_PT12_llPT13_lli.has_dyn_sized_stack, 0
	.set _ZN12_GLOBAL__N_127rocblas_gemm_batched_kernelIfLi16ELi16ELi32ELi32ELi8ELi32ELi8ELi8ELi32ELc67ELc78EKPK16rocblas_bfloat16S4_KPS1_EEvlllT_PT11_llS9_llS7_PT12_llPT13_lli.has_recursion, 0
	.set _ZN12_GLOBAL__N_127rocblas_gemm_batched_kernelIfLi16ELi16ELi32ELi32ELi8ELi32ELi8ELi8ELi32ELc67ELc78EKPK16rocblas_bfloat16S4_KPS1_EEvlllT_PT11_llS9_llS7_PT12_llPT13_lli.has_indirect_call, 0
	.section	.AMDGPU.csdata,"",@progbits
; Kernel info:
; codeLenInByte = 2524
; TotalNumSgprs: 40
; NumVgprs: 58
; ScratchSize: 0
; MemoryBound: 0
; FloatMode: 240
; IeeeMode: 1
; LDSByteSize: 2048 bytes/workgroup (compile time only)
; SGPRBlocks: 0
; VGPRBlocks: 3
; NumSGPRsForWavesPerEU: 40
; NumVGPRsForWavesPerEU: 58
; NamedBarCnt: 0
; Occupancy: 16
; WaveLimiterHint : 1
; COMPUTE_PGM_RSRC2:SCRATCH_EN: 0
; COMPUTE_PGM_RSRC2:USER_SGPR: 2
; COMPUTE_PGM_RSRC2:TRAP_HANDLER: 0
; COMPUTE_PGM_RSRC2:TGID_X_EN: 1
; COMPUTE_PGM_RSRC2:TGID_Y_EN: 1
; COMPUTE_PGM_RSRC2:TGID_Z_EN: 1
; COMPUTE_PGM_RSRC2:TIDIG_COMP_CNT: 1
	.section	.text._ZN12_GLOBAL__N_127rocblas_gemm_batched_kernelIfLi16ELi16ELi32ELi32ELi8ELi32ELi8ELi8ELi32ELc67ELc84EKPK16rocblas_bfloat16S4_KPS1_EEvlllT_PT11_llS9_llS7_PT12_llPT13_lli,"axG",@progbits,_ZN12_GLOBAL__N_127rocblas_gemm_batched_kernelIfLi16ELi16ELi32ELi32ELi8ELi32ELi8ELi8ELi32ELc67ELc84EKPK16rocblas_bfloat16S4_KPS1_EEvlllT_PT11_llS9_llS7_PT12_llPT13_lli,comdat
	.globl	_ZN12_GLOBAL__N_127rocblas_gemm_batched_kernelIfLi16ELi16ELi32ELi32ELi8ELi32ELi8ELi8ELi32ELc67ELc84EKPK16rocblas_bfloat16S4_KPS1_EEvlllT_PT11_llS9_llS7_PT12_llPT13_lli ; -- Begin function _ZN12_GLOBAL__N_127rocblas_gemm_batched_kernelIfLi16ELi16ELi32ELi32ELi8ELi32ELi8ELi8ELi32ELc67ELc84EKPK16rocblas_bfloat16S4_KPS1_EEvlllT_PT11_llS9_llS7_PT12_llPT13_lli
	.p2align	8
	.type	_ZN12_GLOBAL__N_127rocblas_gemm_batched_kernelIfLi16ELi16ELi32ELi32ELi8ELi32ELi8ELi8ELi32ELc67ELc84EKPK16rocblas_bfloat16S4_KPS1_EEvlllT_PT11_llS9_llS7_PT12_llPT13_lli,@function
_ZN12_GLOBAL__N_127rocblas_gemm_batched_kernelIfLi16ELi16ELi32ELi32ELi8ELi32ELi8ELi8ELi32ELc67ELc84EKPK16rocblas_bfloat16S4_KPS1_EEvlllT_PT11_llS9_llS7_PT12_llPT13_lli: ; @_ZN12_GLOBAL__N_127rocblas_gemm_batched_kernelIfLi16ELi16ELi32ELi32ELi8ELi32ELi8ELi8ELi32ELc67ELc84EKPK16rocblas_bfloat16S4_KPS1_EEvlllT_PT11_llS9_llS7_PT12_llPT13_lli
; %bb.0:
	s_load_b32 s3, s[0:1], 0x88
	s_bfe_u32 s2, ttmp6, 0x40014
	s_lshr_b32 s4, ttmp7, 16
	s_add_co_i32 s2, s2, 1
	s_bfe_u32 s6, ttmp6, 0x40008
	s_mul_i32 s5, s4, s2
	s_getreg_b32 s2, hwreg(HW_REG_IB_STS2, 6, 4)
	s_add_co_i32 s6, s6, s5
	s_cmp_eq_u32 s2, 0
	s_mov_b32 s29, 0
	s_cselect_b32 s28, s4, s6
	s_wait_kmcnt 0x0
	s_cmp_ge_i32 s28, s3
	s_cbranch_scc1 .LBB155_58
; %bb.1:
	v_bfe_u32 v2, v0, 10, 10
	v_and_b32_e32 v6, 0x3ff, v0
	s_bfe_u32 s31, ttmp6, 0x4000c
	s_bfe_u32 s33, ttmp6, 0x40010
	s_clause 0x2
	s_load_b256 s[4:11], s[0:1], 0x20
	s_load_b128 s[24:27], s[0:1], 0x40
	s_load_b128 s[20:23], s[0:1], 0x78
	s_add_co_i32 s31, s31, 1
	s_and_b32 s34, ttmp7, 0xffff
	s_add_co_i32 s33, s33, 1
	s_and_b32 s30, ttmp6, 15
	s_mul_i32 s31, ttmp9, s31
	s_mul_i32 s33, s34, s33
	s_bfe_u32 s35, ttmp6, 0x40004
	v_lshl_add_u32 v7, v2, 4, v6
	s_add_co_i32 s30, s30, s31
	s_add_co_i32 s35, s35, s33
	s_cmp_eq_u32 s2, 0
	s_delay_alu instid0(VALU_DEP_1)
	v_dual_mov_b32 v3, 0 :: v_dual_bitop2_b32 v14, 31, v7 bitop3:0x40
	s_cselect_b32 s30, ttmp9, s30
	s_cselect_b32 s2, s34, s35
	s_ashr_i32 s31, s30, 31
	s_load_b256 s[12:19], s[0:1], 0x58
	s_lshl_b64 s[34:35], s[30:31], 5
	v_dual_lshrrev_b32 v8, 3, v7 :: v_dual_bitop2_b32 v15, 7, v0 bitop3:0x40
	v_dual_mov_b32 v9, v3 :: v_dual_bitop2_b32 v0, s34, v14 bitop3:0x54
	v_mov_b32_e32 v1, s35
	s_load_b32 s30, s[0:1], 0x50
	v_lshl_add_u32 v27, v2, 5, 0x400
	s_wait_kmcnt 0x0
	v_mad_nc_u64_u32 v[10:11], s24, v15, v[8:9]
	v_lshlrev_b32_e32 v9, 2, v15
	v_mul_u64_e32 v[12:13], s[6:7], v[0:1]
	s_lshl_b32 s6, s2, 5
	s_mov_b32 s7, s29
	s_load_b96 s[0:2], s[0:1], 0x10
	v_add_nc_u64_e32 v[4:5], s[6:7], v[2:3]
	v_lshl_or_b32 v16, v8, 5, v9
	v_lshlrev_b32_e32 v14, 2, v14
	v_lshlrev_b32_e32 v26, 2, v6
	v_mad_u32 v11, s25, v15, v11
	v_lshrrev_b32_e32 v15, 5, v7
	v_mul_u64_e32 v[0:1], s[20:21], v[4:5]
	v_mul_u64_e32 v[4:5], s[14:15], v[4:5]
	v_mov_b32_e32 v7, v3
	v_add_nc_u32_e32 v25, 0x400, v16
	v_lshlrev_b32_e32 v2, 1, v15
	s_cmp_eq_f32 s30, 0
	v_lshl_or_b32 v24, v15, 7, v14
	v_add_nc_u64_e32 v[6:7], s[34:35], v[6:7]
	v_add_nc_u64_e32 v[8:9], s[6:7], v[10:11]
	s_cselect_b32 s31, -1, 0
	s_lshl_b64 s[6:7], s[8:9], 1
	s_lshl_b64 s[8:9], s[14:15], 4
	;; [unrolled: 1-line block ×4, first 2 shown]
	s_delay_alu instid0(VALU_DEP_1) | instskip(SKIP_2) | instid1(VALU_DEP_2)
	v_lshlrev_b64_e32 v[8:9], 1, v[8:9]
	v_lshl_add_u64 v[10:11], v[12:13], 1, s[6:7]
	s_lshl_b64 s[6:7], s[20:21], 4
	v_lshl_add_u64 v[8:9], s[26:27], 1, v[8:9]
	s_wait_kmcnt 0x0
	v_cmp_gt_i64_e64 s26, s[0:1], 0
	s_lshl_b64 s[20:21], s[22:23], 1
	v_add_nc_u64_e32 v[10:11], v[10:11], v[2:3]
	s_branch .LBB155_4
.LBB155_2:                              ;   in Loop: Header=BB155_4 Depth=1
	s_or_b32 exec_lo, exec_lo, s22
	flat_store_d16_hi_b16 v[16:17], v12 offset:32
.LBB155_3:                              ;   in Loop: Header=BB155_4 Depth=1
	s_add_co_i32 s28, s28, 0x10000
	s_delay_alu instid0(SALU_CYCLE_1)
	s_cmp_lt_i32 s28, s3
	s_cbranch_scc0 .LBB155_58
.LBB155_4:                              ; =>This Loop Header: Depth=1
                                        ;     Child Loop BB155_6 Depth 2
	s_wait_xcnt 0x0
	v_dual_mov_b32 v2, s28 :: v_dual_mov_b32 v15, 0
	v_dual_mov_b32 v14, 0 :: v_dual_mov_b32 v13, 0
	v_mov_b32_e32 v12, 0
	s_clause 0x1
	global_load_b64 v[16:17], v2, s[12:13] scale_offset
	global_load_b64 v[18:19], v2, s[18:19] scale_offset
	s_and_not1_b32 vcc_lo, exec_lo, s26
	s_cbranch_vccnz .LBB155_7
; %bb.5:                                ;   in Loop: Header=BB155_4 Depth=1
	s_lshl_b64 s[22:23], s[28:29], 3
	v_mov_b32_e32 v12, 0
	s_add_nc_u64 s[24:25], s[10:11], s[22:23]
	s_add_nc_u64 s[22:23], s[4:5], s[22:23]
	s_clause 0x1
	global_load_b64 v[14:15], v3, s[24:25]
	global_load_b64 v[22:23], v3, s[22:23]
	s_wait_xcnt 0x0
	s_mov_b64 s[22:23], 0
	v_mov_b32_e32 v13, v12
	s_wait_loadcnt 0x1
	v_add_nc_u64_e32 v[20:21], v[14:15], v[8:9]
	s_wait_loadcnt 0x0
	v_add_nc_u64_e32 v[22:23], v[22:23], v[10:11]
	v_dual_mov_b32 v14, v12 :: v_dual_mov_b32 v15, v12
.LBB155_6:                              ;   Parent Loop BB155_4 Depth=1
                                        ; =>  This Inner Loop Header: Depth=2
	flat_load_u16 v2, v[22:23]
	flat_load_u16 v28, v[20:21]
	s_add_nc_u64 s[22:23], s[22:23], 8
	s_wait_xcnt 0x0
	v_add_nc_u64_e32 v[20:21], s[14:15], v[20:21]
	v_cmp_lt_i64_e64 s24, s[22:23], s[0:1]
	v_add_nc_u64_e32 v[22:23], 16, v[22:23]
	s_and_b32 vcc_lo, exec_lo, s24
	s_wait_loadcnt_dscnt 0x0
	v_dual_lshlrev_b32 v2, 16, v2 :: v_dual_lshlrev_b32 v28, 16, v28
	ds_store_b32 v24, v2
	ds_store_b32 v25, v28
	s_wait_dscnt 0x0
	s_barrier_signal -1
	s_barrier_wait -1
	ds_load_b128 v[28:31], v27
	ds_load_2addr_b32 v[44:45], v26 offset1:16
	ds_load_b128 v[32:35], v27 offset:512
	ds_load_2addr_b32 v[46:47], v26 offset0:32 offset1:48
	ds_load_2addr_b32 v[48:49], v26 offset0:64 offset1:80
	ds_load_b128 v[36:39], v27 offset:16
	ds_load_2addr_b32 v[50:51], v26 offset0:96 offset1:112
	ds_load_2addr_b32 v[52:53], v26 offset0:128 offset1:144
	;; [unrolled: 3-line block ×3, first 2 shown]
	s_wait_dscnt 0xa
	v_mov_b32_e32 v2, v31
	s_wait_dscnt 0x9
	v_pk_fma_f32 v[14:15], v[44:45], v[28:29], v[14:15] op_sel_hi:[1,0,1]
	s_wait_dscnt 0x8
	v_pk_fma_f32 v[12:13], v[44:45], v[32:33], v[12:13] op_sel_hi:[1,0,1]
	s_wait_dscnt 0x7
	s_delay_alu instid0(VALU_DEP_2) | instskip(NEXT) | instid1(VALU_DEP_2)
	v_pk_fma_f32 v[14:15], v[46:47], v[28:29], v[14:15] op_sel:[0,1,0]
	v_pk_fma_f32 v[12:13], v[46:47], v[32:33], v[12:13] op_sel:[0,1,0]
	v_mov_b32_e32 v28, v35
	s_wait_dscnt 0x6
	s_delay_alu instid0(VALU_DEP_3) | instskip(NEXT) | instid1(VALU_DEP_3)
	v_pk_fma_f32 v[14:15], v[48:49], v[30:31], v[14:15] op_sel_hi:[1,0,1]
	v_pk_fma_f32 v[12:13], v[48:49], v[34:35], v[12:13] op_sel_hi:[1,0,1]
	ds_load_2addr_b32 v[30:31], v26 offset0:224 offset1:240
	s_wait_dscnt 0x0
	s_barrier_signal -1
	v_pk_fma_f32 v[14:15], v[50:51], v[2:3], v[14:15] op_sel_hi:[1,0,1]
	v_pk_fma_f32 v[12:13], v[50:51], v[28:29], v[12:13] op_sel_hi:[1,0,1]
	v_dual_mov_b32 v2, v39 :: v_dual_mov_b32 v28, v43
	s_barrier_wait -1
	s_delay_alu instid0(VALU_DEP_3) | instskip(NEXT) | instid1(VALU_DEP_3)
	v_pk_fma_f32 v[14:15], v[52:53], v[36:37], v[14:15] op_sel_hi:[1,0,1]
	v_pk_fma_f32 v[12:13], v[52:53], v[40:41], v[12:13] op_sel_hi:[1,0,1]
	s_delay_alu instid0(VALU_DEP_2) | instskip(NEXT) | instid1(VALU_DEP_2)
	v_pk_fma_f32 v[14:15], v[54:55], v[36:37], v[14:15] op_sel:[0,1,0]
	v_pk_fma_f32 v[12:13], v[54:55], v[40:41], v[12:13] op_sel:[0,1,0]
	s_delay_alu instid0(VALU_DEP_2) | instskip(NEXT) | instid1(VALU_DEP_2)
	v_pk_fma_f32 v[14:15], v[56:57], v[38:39], v[14:15] op_sel_hi:[1,0,1]
	v_pk_fma_f32 v[12:13], v[56:57], v[42:43], v[12:13] op_sel_hi:[1,0,1]
	s_delay_alu instid0(VALU_DEP_2) | instskip(NEXT) | instid1(VALU_DEP_2)
	v_pk_fma_f32 v[14:15], v[30:31], v[2:3], v[14:15] op_sel_hi:[1,0,1]
	v_pk_fma_f32 v[12:13], v[30:31], v[28:29], v[12:13] op_sel_hi:[1,0,1]
	s_cbranch_vccnz .LBB155_6
.LBB155_7:                              ;   in Loop: Header=BB155_4 Depth=1
	s_wait_loadcnt 0x0
	v_add_nc_u64_e32 v[18:19], s[20:21], v[18:19]
	s_and_not1_b32 vcc_lo, exec_lo, s31
	s_cbranch_vccnz .LBB155_25
; %bb.8:                                ;   in Loop: Header=BB155_4 Depth=1
	v_mul_f32_e32 v20, s2, v14
	s_wait_xcnt 0x0
	s_delay_alu instid0(VALU_DEP_1) | instskip(NEXT) | instid1(VALU_DEP_1)
	v_and_b32_e32 v2, 0x7f800000, v20
	v_cmp_ne_u32_e32 vcc_lo, 0x7f800000, v2
                                        ; implicit-def: $vgpr2
	s_and_saveexec_b32 s22, vcc_lo
	s_delay_alu instid0(SALU_CYCLE_1)
	s_xor_b32 s22, exec_lo, s22
; %bb.9:                                ;   in Loop: Header=BB155_4 Depth=1
	v_bfe_u32 v2, v20, 16, 1
	s_delay_alu instid0(VALU_DEP_1)
	v_add3_u32 v2, v20, v2, 0x7fff
                                        ; implicit-def: $vgpr20
; %bb.10:                               ;   in Loop: Header=BB155_4 Depth=1
	s_and_not1_saveexec_b32 s22, s22
; %bb.11:                               ;   in Loop: Header=BB155_4 Depth=1
	v_and_b32_e32 v2, 0xffff, v20
	v_or_b32_e32 v21, 0x10000, v20
	s_delay_alu instid0(VALU_DEP_2) | instskip(NEXT) | instid1(VALU_DEP_2)
	v_cmp_eq_u32_e32 vcc_lo, 0, v2
	v_cndmask_b32_e32 v2, v21, v20, vcc_lo
; %bb.12:                               ;   in Loop: Header=BB155_4 Depth=1
	s_or_b32 exec_lo, exec_lo, s22
	v_mul_f32_e32 v28, s2, v15
	v_lshl_add_u64 v[20:21], v[0:1], 1, v[18:19]
	s_mov_b32 s22, exec_lo
	s_delay_alu instid0(VALU_DEP_2) | instskip(NEXT) | instid1(VALU_DEP_2)
	v_and_b32_e32 v29, 0x7f800000, v28
	v_lshl_add_u64 v[22:23], v[6:7], 1, v[20:21]
	flat_store_d16_hi_b16 v[22:23], v2
                                        ; implicit-def: $vgpr2
	s_wait_xcnt 0x0
	v_cmpx_ne_u32_e32 0x7f800000, v29
	s_xor_b32 s22, exec_lo, s22
; %bb.13:                               ;   in Loop: Header=BB155_4 Depth=1
	v_bfe_u32 v2, v28, 16, 1
	s_delay_alu instid0(VALU_DEP_1)
	v_add3_u32 v2, v28, v2, 0x7fff
                                        ; implicit-def: $vgpr28
; %bb.14:                               ;   in Loop: Header=BB155_4 Depth=1
	s_and_not1_saveexec_b32 s22, s22
; %bb.15:                               ;   in Loop: Header=BB155_4 Depth=1
	v_and_b32_e32 v2, 0xffff, v28
	v_or_b32_e32 v29, 0x10000, v28
	s_delay_alu instid0(VALU_DEP_2) | instskip(NEXT) | instid1(VALU_DEP_2)
	v_cmp_eq_u32_e32 vcc_lo, 0, v2
	v_cndmask_b32_e32 v2, v29, v28, vcc_lo
; %bb.16:                               ;   in Loop: Header=BB155_4 Depth=1
	s_or_b32 exec_lo, exec_lo, s22
	v_mul_f32_e32 v28, s2, v12
	s_mov_b32 s22, exec_lo
	flat_store_d16_hi_b16 v[22:23], v2 offset:32
                                        ; implicit-def: $vgpr2
	v_and_b32_e32 v29, 0x7f800000, v28
	s_wait_xcnt 0x0
	s_delay_alu instid0(VALU_DEP_1)
	v_cmpx_ne_u32_e32 0x7f800000, v29
	s_xor_b32 s22, exec_lo, s22
; %bb.17:                               ;   in Loop: Header=BB155_4 Depth=1
	v_bfe_u32 v2, v28, 16, 1
	s_delay_alu instid0(VALU_DEP_1)
	v_add3_u32 v2, v28, v2, 0x7fff
                                        ; implicit-def: $vgpr28
; %bb.18:                               ;   in Loop: Header=BB155_4 Depth=1
	s_and_not1_saveexec_b32 s22, s22
; %bb.19:                               ;   in Loop: Header=BB155_4 Depth=1
	v_and_b32_e32 v2, 0xffff, v28
	v_or_b32_e32 v22, 0x10000, v28
	s_delay_alu instid0(VALU_DEP_2) | instskip(NEXT) | instid1(VALU_DEP_2)
	v_cmp_eq_u32_e32 vcc_lo, 0, v2
	v_cndmask_b32_e32 v2, v22, v28, vcc_lo
; %bb.20:                               ;   in Loop: Header=BB155_4 Depth=1
	s_or_b32 exec_lo, exec_lo, s22
	v_mul_f32_e32 v22, s2, v13
	v_lshl_add_u64 v[20:21], s[6:7], 1, v[20:21]
	s_mov_b32 s22, exec_lo
	s_delay_alu instid0(VALU_DEP_2) | instskip(NEXT) | instid1(VALU_DEP_2)
	v_and_b32_e32 v23, 0x7f800000, v22
	v_lshl_add_u64 v[20:21], v[6:7], 1, v[20:21]
	flat_store_d16_hi_b16 v[20:21], v2
                                        ; implicit-def: $vgpr2
	s_wait_xcnt 0x0
	v_cmpx_ne_u32_e32 0x7f800000, v23
	s_xor_b32 s22, exec_lo, s22
; %bb.21:                               ;   in Loop: Header=BB155_4 Depth=1
	v_bfe_u32 v2, v22, 16, 1
	s_delay_alu instid0(VALU_DEP_1)
	v_add3_u32 v2, v22, v2, 0x7fff
                                        ; implicit-def: $vgpr22
; %bb.22:                               ;   in Loop: Header=BB155_4 Depth=1
	s_and_not1_saveexec_b32 s22, s22
; %bb.23:                               ;   in Loop: Header=BB155_4 Depth=1
	v_and_b32_e32 v2, 0xffff, v22
	v_or_b32_e32 v23, 0x10000, v22
	s_delay_alu instid0(VALU_DEP_2) | instskip(NEXT) | instid1(VALU_DEP_2)
	v_cmp_eq_u32_e32 vcc_lo, 0, v2
	v_cndmask_b32_e32 v2, v23, v22, vcc_lo
; %bb.24:                               ;   in Loop: Header=BB155_4 Depth=1
	s_or_b32 exec_lo, exec_lo, s22
	flat_store_d16_hi_b16 v[20:21], v2 offset:32
	s_branch .LBB155_3
.LBB155_25:                             ;   in Loop: Header=BB155_4 Depth=1
	s_cbranch_execz .LBB155_3
; %bb.26:                               ;   in Loop: Header=BB155_4 Depth=1
	v_add_nc_u64_e32 v[16:17], s[16:17], v[16:17]
	s_delay_alu instid0(VALU_DEP_1) | instskip(SKIP_1) | instid1(VALU_DEP_1)
	v_lshl_add_u64 v[16:17], v[4:5], 1, v[16:17]
	s_wait_xcnt 0x0
	v_lshl_add_u64 v[20:21], v[6:7], 1, v[16:17]
	flat_load_u16 v2, v[20:21]
	s_wait_loadcnt_dscnt 0x0
	v_lshlrev_b32_e32 v2, 16, v2
	s_delay_alu instid0(VALU_DEP_1) | instskip(NEXT) | instid1(VALU_DEP_1)
	v_mul_f32_e32 v2, s30, v2
	v_and_b32_e32 v22, 0x7f800000, v2
	s_delay_alu instid0(VALU_DEP_1) | instskip(SKIP_2) | instid1(SALU_CYCLE_1)
	v_cmp_ne_u32_e32 vcc_lo, 0x7f800000, v22
                                        ; implicit-def: $vgpr22
	s_wait_xcnt 0x0
	s_and_saveexec_b32 s22, vcc_lo
	s_xor_b32 s22, exec_lo, s22
; %bb.27:                               ;   in Loop: Header=BB155_4 Depth=1
	v_bfe_u32 v22, v2, 16, 1
	s_delay_alu instid0(VALU_DEP_1)
	v_add3_u32 v22, v2, v22, 0x7fff
                                        ; implicit-def: $vgpr2
; %bb.28:                               ;   in Loop: Header=BB155_4 Depth=1
	s_and_not1_saveexec_b32 s22, s22
; %bb.29:                               ;   in Loop: Header=BB155_4 Depth=1
	v_and_b32_e32 v22, 0xffff, v2
	v_or_b32_e32 v23, 0x10000, v2
	s_delay_alu instid0(VALU_DEP_2) | instskip(NEXT) | instid1(VALU_DEP_2)
	v_cmp_eq_u32_e32 vcc_lo, 0, v22
	v_cndmask_b32_e32 v22, v23, v2, vcc_lo
; %bb.30:                               ;   in Loop: Header=BB155_4 Depth=1
	s_or_b32 exec_lo, exec_lo, s22
	s_delay_alu instid0(VALU_DEP_1) | instskip(NEXT) | instid1(VALU_DEP_1)
	v_fma_mix_f32_bf16 v2, s2, v14, v22 op_sel:[0,0,1] op_sel_hi:[0,0,1]
	v_and_b32_e32 v14, 0x7f800000, v2
	s_delay_alu instid0(VALU_DEP_1) | instskip(SKIP_1) | instid1(SALU_CYCLE_1)
	v_cmp_ne_u32_e32 vcc_lo, 0x7f800000, v14
                                        ; implicit-def: $vgpr14
	s_and_saveexec_b32 s22, vcc_lo
	s_xor_b32 s22, exec_lo, s22
; %bb.31:                               ;   in Loop: Header=BB155_4 Depth=1
	v_bfe_u32 v14, v2, 16, 1
	s_delay_alu instid0(VALU_DEP_1)
	v_add3_u32 v14, v2, v14, 0x7fff
                                        ; implicit-def: $vgpr2
; %bb.32:                               ;   in Loop: Header=BB155_4 Depth=1
	s_and_not1_saveexec_b32 s22, s22
; %bb.33:                               ;   in Loop: Header=BB155_4 Depth=1
	v_and_b32_e32 v14, 0xffff, v2
	v_or_b32_e32 v22, 0x10000, v2
	s_delay_alu instid0(VALU_DEP_2) | instskip(NEXT) | instid1(VALU_DEP_2)
	v_cmp_eq_u32_e32 vcc_lo, 0, v14
	v_cndmask_b32_e32 v14, v22, v2, vcc_lo
; %bb.34:                               ;   in Loop: Header=BB155_4 Depth=1
	s_or_b32 exec_lo, exec_lo, s22
	v_lshl_add_u64 v[18:19], v[0:1], 1, v[18:19]
	s_delay_alu instid0(VALU_DEP_1) | instskip(SKIP_4) | instid1(VALU_DEP_1)
	v_lshl_add_u64 v[22:23], v[6:7], 1, v[18:19]
	flat_store_d16_hi_b16 v[22:23], v14
	flat_load_u16 v2, v[20:21] offset:32
	s_wait_loadcnt_dscnt 0x0
	v_lshlrev_b32_e32 v2, 16, v2
	v_mul_f32_e32 v2, s30, v2
	s_wait_xcnt 0x1
	s_delay_alu instid0(VALU_DEP_1) | instskip(NEXT) | instid1(VALU_DEP_1)
	v_and_b32_e32 v14, 0x7f800000, v2
	v_cmp_ne_u32_e32 vcc_lo, 0x7f800000, v14
                                        ; implicit-def: $vgpr14
	s_wait_xcnt 0x0
	s_and_saveexec_b32 s22, vcc_lo
	s_delay_alu instid0(SALU_CYCLE_1)
	s_xor_b32 s22, exec_lo, s22
; %bb.35:                               ;   in Loop: Header=BB155_4 Depth=1
	v_bfe_u32 v14, v2, 16, 1
	s_delay_alu instid0(VALU_DEP_1)
	v_add3_u32 v14, v2, v14, 0x7fff
                                        ; implicit-def: $vgpr2
; %bb.36:                               ;   in Loop: Header=BB155_4 Depth=1
	s_and_not1_saveexec_b32 s22, s22
; %bb.37:                               ;   in Loop: Header=BB155_4 Depth=1
	v_and_b32_e32 v14, 0xffff, v2
	v_or_b32_e32 v20, 0x10000, v2
	s_delay_alu instid0(VALU_DEP_2) | instskip(NEXT) | instid1(VALU_DEP_2)
	v_cmp_eq_u32_e32 vcc_lo, 0, v14
	v_cndmask_b32_e32 v14, v20, v2, vcc_lo
; %bb.38:                               ;   in Loop: Header=BB155_4 Depth=1
	s_or_b32 exec_lo, exec_lo, s22
	s_delay_alu instid0(VALU_DEP_1) | instskip(SKIP_1) | instid1(VALU_DEP_1)
	v_fma_mix_f32_bf16 v2, s2, v15, v14 op_sel:[0,0,1] op_sel_hi:[0,0,1]
	s_mov_b32 s22, exec_lo
                                        ; implicit-def: $vgpr20
	v_and_b32_e32 v14, 0x7f800000, v2
	s_delay_alu instid0(VALU_DEP_1)
	v_cmpx_ne_u32_e32 0x7f800000, v14
	s_xor_b32 s22, exec_lo, s22
; %bb.39:                               ;   in Loop: Header=BB155_4 Depth=1
	v_bfe_u32 v14, v2, 16, 1
	s_delay_alu instid0(VALU_DEP_1)
	v_add3_u32 v20, v2, v14, 0x7fff
                                        ; implicit-def: $vgpr2
; %bb.40:                               ;   in Loop: Header=BB155_4 Depth=1
	s_and_not1_saveexec_b32 s22, s22
; %bb.41:                               ;   in Loop: Header=BB155_4 Depth=1
	v_and_b32_e32 v14, 0xffff, v2
	v_or_b32_e32 v15, 0x10000, v2
	s_delay_alu instid0(VALU_DEP_2) | instskip(NEXT) | instid1(VALU_DEP_2)
	v_cmp_eq_u32_e32 vcc_lo, 0, v14
	v_cndmask_b32_e32 v20, v15, v2, vcc_lo
; %bb.42:                               ;   in Loop: Header=BB155_4 Depth=1
	s_or_b32 exec_lo, exec_lo, s22
	v_lshl_add_u64 v[14:15], s[8:9], 1, v[16:17]
	flat_store_d16_hi_b16 v[22:23], v20 offset:32
	v_lshl_add_u64 v[14:15], v[6:7], 1, v[14:15]
	flat_load_u16 v2, v[14:15]
	s_wait_loadcnt_dscnt 0x0
	v_lshlrev_b32_e32 v2, 16, v2
	s_delay_alu instid0(VALU_DEP_1) | instskip(NEXT) | instid1(VALU_DEP_1)
	v_mul_f32_e32 v2, s30, v2
	v_and_b32_e32 v16, 0x7f800000, v2
	s_delay_alu instid0(VALU_DEP_1) | instskip(SKIP_2) | instid1(SALU_CYCLE_1)
	v_cmp_ne_u32_e32 vcc_lo, 0x7f800000, v16
                                        ; implicit-def: $vgpr16
	s_wait_xcnt 0x0
	s_and_saveexec_b32 s22, vcc_lo
	s_xor_b32 s22, exec_lo, s22
; %bb.43:                               ;   in Loop: Header=BB155_4 Depth=1
	v_bfe_u32 v16, v2, 16, 1
	s_delay_alu instid0(VALU_DEP_1)
	v_add3_u32 v16, v2, v16, 0x7fff
                                        ; implicit-def: $vgpr2
; %bb.44:                               ;   in Loop: Header=BB155_4 Depth=1
	s_and_not1_saveexec_b32 s22, s22
; %bb.45:                               ;   in Loop: Header=BB155_4 Depth=1
	v_and_b32_e32 v16, 0xffff, v2
	v_or_b32_e32 v17, 0x10000, v2
	s_delay_alu instid0(VALU_DEP_2) | instskip(NEXT) | instid1(VALU_DEP_2)
	v_cmp_eq_u32_e32 vcc_lo, 0, v16
	v_cndmask_b32_e32 v16, v17, v2, vcc_lo
; %bb.46:                               ;   in Loop: Header=BB155_4 Depth=1
	s_or_b32 exec_lo, exec_lo, s22
	s_delay_alu instid0(VALU_DEP_1) | instskip(NEXT) | instid1(VALU_DEP_1)
	v_fma_mix_f32_bf16 v2, s2, v12, v16 op_sel:[0,0,1] op_sel_hi:[0,0,1]
	v_and_b32_e32 v12, 0x7f800000, v2
	s_delay_alu instid0(VALU_DEP_1) | instskip(SKIP_1) | instid1(SALU_CYCLE_1)
	v_cmp_ne_u32_e32 vcc_lo, 0x7f800000, v12
                                        ; implicit-def: $vgpr12
	s_and_saveexec_b32 s22, vcc_lo
	s_xor_b32 s22, exec_lo, s22
; %bb.47:                               ;   in Loop: Header=BB155_4 Depth=1
	v_bfe_u32 v12, v2, 16, 1
	s_delay_alu instid0(VALU_DEP_1)
	v_add3_u32 v12, v2, v12, 0x7fff
                                        ; implicit-def: $vgpr2
; %bb.48:                               ;   in Loop: Header=BB155_4 Depth=1
	s_and_not1_saveexec_b32 s22, s22
; %bb.49:                               ;   in Loop: Header=BB155_4 Depth=1
	v_and_b32_e32 v12, 0xffff, v2
	v_or_b32_e32 v16, 0x10000, v2
	s_delay_alu instid0(VALU_DEP_2) | instskip(NEXT) | instid1(VALU_DEP_2)
	v_cmp_eq_u32_e32 vcc_lo, 0, v12
	v_cndmask_b32_e32 v12, v16, v2, vcc_lo
; %bb.50:                               ;   in Loop: Header=BB155_4 Depth=1
	s_or_b32 exec_lo, exec_lo, s22
	v_lshl_add_u64 v[16:17], s[6:7], 1, v[18:19]
	s_delay_alu instid0(VALU_DEP_1) | instskip(SKIP_4) | instid1(VALU_DEP_1)
	v_lshl_add_u64 v[16:17], v[6:7], 1, v[16:17]
	flat_store_d16_hi_b16 v[16:17], v12
	flat_load_u16 v2, v[14:15] offset:32
	s_wait_loadcnt_dscnt 0x0
	v_lshlrev_b32_e32 v2, 16, v2
	v_mul_f32_e32 v2, s30, v2
	s_wait_xcnt 0x1
	s_delay_alu instid0(VALU_DEP_1) | instskip(NEXT) | instid1(VALU_DEP_1)
	v_and_b32_e32 v12, 0x7f800000, v2
	v_cmp_ne_u32_e32 vcc_lo, 0x7f800000, v12
                                        ; implicit-def: $vgpr12
	s_wait_xcnt 0x0
	s_and_saveexec_b32 s22, vcc_lo
	s_delay_alu instid0(SALU_CYCLE_1)
	s_xor_b32 s22, exec_lo, s22
; %bb.51:                               ;   in Loop: Header=BB155_4 Depth=1
	v_bfe_u32 v12, v2, 16, 1
	s_delay_alu instid0(VALU_DEP_1)
	v_add3_u32 v12, v2, v12, 0x7fff
                                        ; implicit-def: $vgpr2
; %bb.52:                               ;   in Loop: Header=BB155_4 Depth=1
	s_and_not1_saveexec_b32 s22, s22
; %bb.53:                               ;   in Loop: Header=BB155_4 Depth=1
	v_and_b32_e32 v12, 0xffff, v2
	v_or_b32_e32 v14, 0x10000, v2
	s_delay_alu instid0(VALU_DEP_2) | instskip(NEXT) | instid1(VALU_DEP_2)
	v_cmp_eq_u32_e32 vcc_lo, 0, v12
	v_cndmask_b32_e32 v12, v14, v2, vcc_lo
; %bb.54:                               ;   in Loop: Header=BB155_4 Depth=1
	s_or_b32 exec_lo, exec_lo, s22
	s_delay_alu instid0(VALU_DEP_1) | instskip(NEXT) | instid1(VALU_DEP_1)
	v_fma_mix_f32_bf16 v2, s2, v13, v12 op_sel:[0,0,1] op_sel_hi:[0,0,1]
	v_and_b32_e32 v12, 0x7f800000, v2
	s_delay_alu instid0(VALU_DEP_1) | instskip(SKIP_1) | instid1(SALU_CYCLE_1)
	v_cmp_ne_u32_e32 vcc_lo, 0x7f800000, v12
                                        ; implicit-def: $vgpr12
	s_and_saveexec_b32 s22, vcc_lo
	s_xor_b32 s22, exec_lo, s22
; %bb.55:                               ;   in Loop: Header=BB155_4 Depth=1
	v_bfe_u32 v12, v2, 16, 1
	s_delay_alu instid0(VALU_DEP_1)
	v_add3_u32 v12, v2, v12, 0x7fff
                                        ; implicit-def: $vgpr2
; %bb.56:                               ;   in Loop: Header=BB155_4 Depth=1
	s_and_not1_saveexec_b32 s22, s22
	s_cbranch_execz .LBB155_2
; %bb.57:                               ;   in Loop: Header=BB155_4 Depth=1
	v_and_b32_e32 v12, 0xffff, v2
	v_or_b32_e32 v13, 0x10000, v2
	s_delay_alu instid0(VALU_DEP_2) | instskip(NEXT) | instid1(VALU_DEP_2)
	v_cmp_eq_u32_e32 vcc_lo, 0, v12
	v_cndmask_b32_e32 v12, v13, v2, vcc_lo
	s_branch .LBB155_2
.LBB155_58:
	s_endpgm
	.section	.rodata,"a",@progbits
	.p2align	6, 0x0
	.amdhsa_kernel _ZN12_GLOBAL__N_127rocblas_gemm_batched_kernelIfLi16ELi16ELi32ELi32ELi8ELi32ELi8ELi8ELi32ELc67ELc84EKPK16rocblas_bfloat16S4_KPS1_EEvlllT_PT11_llS9_llS7_PT12_llPT13_lli
		.amdhsa_group_segment_fixed_size 2048
		.amdhsa_private_segment_fixed_size 0
		.amdhsa_kernarg_size 140
		.amdhsa_user_sgpr_count 2
		.amdhsa_user_sgpr_dispatch_ptr 0
		.amdhsa_user_sgpr_queue_ptr 0
		.amdhsa_user_sgpr_kernarg_segment_ptr 1
		.amdhsa_user_sgpr_dispatch_id 0
		.amdhsa_user_sgpr_kernarg_preload_length 0
		.amdhsa_user_sgpr_kernarg_preload_offset 0
		.amdhsa_user_sgpr_private_segment_size 0
		.amdhsa_wavefront_size32 1
		.amdhsa_uses_dynamic_stack 0
		.amdhsa_enable_private_segment 0
		.amdhsa_system_sgpr_workgroup_id_x 1
		.amdhsa_system_sgpr_workgroup_id_y 1
		.amdhsa_system_sgpr_workgroup_id_z 1
		.amdhsa_system_sgpr_workgroup_info 0
		.amdhsa_system_vgpr_workitem_id 1
		.amdhsa_next_free_vgpr 58
		.amdhsa_next_free_sgpr 36
		.amdhsa_named_barrier_count 0
		.amdhsa_reserve_vcc 1
		.amdhsa_float_round_mode_32 0
		.amdhsa_float_round_mode_16_64 0
		.amdhsa_float_denorm_mode_32 3
		.amdhsa_float_denorm_mode_16_64 3
		.amdhsa_fp16_overflow 0
		.amdhsa_memory_ordered 1
		.amdhsa_forward_progress 1
		.amdhsa_inst_pref_size 20
		.amdhsa_round_robin_scheduling 0
		.amdhsa_exception_fp_ieee_invalid_op 0
		.amdhsa_exception_fp_denorm_src 0
		.amdhsa_exception_fp_ieee_div_zero 0
		.amdhsa_exception_fp_ieee_overflow 0
		.amdhsa_exception_fp_ieee_underflow 0
		.amdhsa_exception_fp_ieee_inexact 0
		.amdhsa_exception_int_div_zero 0
	.end_amdhsa_kernel
	.section	.text._ZN12_GLOBAL__N_127rocblas_gemm_batched_kernelIfLi16ELi16ELi32ELi32ELi8ELi32ELi8ELi8ELi32ELc67ELc84EKPK16rocblas_bfloat16S4_KPS1_EEvlllT_PT11_llS9_llS7_PT12_llPT13_lli,"axG",@progbits,_ZN12_GLOBAL__N_127rocblas_gemm_batched_kernelIfLi16ELi16ELi32ELi32ELi8ELi32ELi8ELi8ELi32ELc67ELc84EKPK16rocblas_bfloat16S4_KPS1_EEvlllT_PT11_llS9_llS7_PT12_llPT13_lli,comdat
.Lfunc_end155:
	.size	_ZN12_GLOBAL__N_127rocblas_gemm_batched_kernelIfLi16ELi16ELi32ELi32ELi8ELi32ELi8ELi8ELi32ELc67ELc84EKPK16rocblas_bfloat16S4_KPS1_EEvlllT_PT11_llS9_llS7_PT12_llPT13_lli, .Lfunc_end155-_ZN12_GLOBAL__N_127rocblas_gemm_batched_kernelIfLi16ELi16ELi32ELi32ELi8ELi32ELi8ELi8ELi32ELc67ELc84EKPK16rocblas_bfloat16S4_KPS1_EEvlllT_PT11_llS9_llS7_PT12_llPT13_lli
                                        ; -- End function
	.set _ZN12_GLOBAL__N_127rocblas_gemm_batched_kernelIfLi16ELi16ELi32ELi32ELi8ELi32ELi8ELi8ELi32ELc67ELc84EKPK16rocblas_bfloat16S4_KPS1_EEvlllT_PT11_llS9_llS7_PT12_llPT13_lli.num_vgpr, 58
	.set _ZN12_GLOBAL__N_127rocblas_gemm_batched_kernelIfLi16ELi16ELi32ELi32ELi8ELi32ELi8ELi8ELi32ELc67ELc84EKPK16rocblas_bfloat16S4_KPS1_EEvlllT_PT11_llS9_llS7_PT12_llPT13_lli.num_agpr, 0
	.set _ZN12_GLOBAL__N_127rocblas_gemm_batched_kernelIfLi16ELi16ELi32ELi32ELi8ELi32ELi8ELi8ELi32ELc67ELc84EKPK16rocblas_bfloat16S4_KPS1_EEvlllT_PT11_llS9_llS7_PT12_llPT13_lli.numbered_sgpr, 36
	.set _ZN12_GLOBAL__N_127rocblas_gemm_batched_kernelIfLi16ELi16ELi32ELi32ELi8ELi32ELi8ELi8ELi32ELc67ELc84EKPK16rocblas_bfloat16S4_KPS1_EEvlllT_PT11_llS9_llS7_PT12_llPT13_lli.num_named_barrier, 0
	.set _ZN12_GLOBAL__N_127rocblas_gemm_batched_kernelIfLi16ELi16ELi32ELi32ELi8ELi32ELi8ELi8ELi32ELc67ELc84EKPK16rocblas_bfloat16S4_KPS1_EEvlllT_PT11_llS9_llS7_PT12_llPT13_lli.private_seg_size, 0
	.set _ZN12_GLOBAL__N_127rocblas_gemm_batched_kernelIfLi16ELi16ELi32ELi32ELi8ELi32ELi8ELi8ELi32ELc67ELc84EKPK16rocblas_bfloat16S4_KPS1_EEvlllT_PT11_llS9_llS7_PT12_llPT13_lli.uses_vcc, 1
	.set _ZN12_GLOBAL__N_127rocblas_gemm_batched_kernelIfLi16ELi16ELi32ELi32ELi8ELi32ELi8ELi8ELi32ELc67ELc84EKPK16rocblas_bfloat16S4_KPS1_EEvlllT_PT11_llS9_llS7_PT12_llPT13_lli.uses_flat_scratch, 0
	.set _ZN12_GLOBAL__N_127rocblas_gemm_batched_kernelIfLi16ELi16ELi32ELi32ELi8ELi32ELi8ELi8ELi32ELc67ELc84EKPK16rocblas_bfloat16S4_KPS1_EEvlllT_PT11_llS9_llS7_PT12_llPT13_lli.has_dyn_sized_stack, 0
	.set _ZN12_GLOBAL__N_127rocblas_gemm_batched_kernelIfLi16ELi16ELi32ELi32ELi8ELi32ELi8ELi8ELi32ELc67ELc84EKPK16rocblas_bfloat16S4_KPS1_EEvlllT_PT11_llS9_llS7_PT12_llPT13_lli.has_recursion, 0
	.set _ZN12_GLOBAL__N_127rocblas_gemm_batched_kernelIfLi16ELi16ELi32ELi32ELi8ELi32ELi8ELi8ELi32ELc67ELc84EKPK16rocblas_bfloat16S4_KPS1_EEvlllT_PT11_llS9_llS7_PT12_llPT13_lli.has_indirect_call, 0
	.section	.AMDGPU.csdata,"",@progbits
; Kernel info:
; codeLenInByte = 2540
; TotalNumSgprs: 38
; NumVgprs: 58
; ScratchSize: 0
; MemoryBound: 0
; FloatMode: 240
; IeeeMode: 1
; LDSByteSize: 2048 bytes/workgroup (compile time only)
; SGPRBlocks: 0
; VGPRBlocks: 3
; NumSGPRsForWavesPerEU: 38
; NumVGPRsForWavesPerEU: 58
; NamedBarCnt: 0
; Occupancy: 16
; WaveLimiterHint : 1
; COMPUTE_PGM_RSRC2:SCRATCH_EN: 0
; COMPUTE_PGM_RSRC2:USER_SGPR: 2
; COMPUTE_PGM_RSRC2:TRAP_HANDLER: 0
; COMPUTE_PGM_RSRC2:TGID_X_EN: 1
; COMPUTE_PGM_RSRC2:TGID_Y_EN: 1
; COMPUTE_PGM_RSRC2:TGID_Z_EN: 1
; COMPUTE_PGM_RSRC2:TIDIG_COMP_CNT: 1
	.section	.text._ZN12_GLOBAL__N_127rocblas_gemm_batched_kernelIfLi16ELi16ELi32ELi32ELi8ELi32ELi8ELi8ELi32ELc78ELc67EKPK16rocblas_bfloat16S4_KPS1_EEvlllT_PT11_llS9_llS7_PT12_llPT13_lli,"axG",@progbits,_ZN12_GLOBAL__N_127rocblas_gemm_batched_kernelIfLi16ELi16ELi32ELi32ELi8ELi32ELi8ELi8ELi32ELc78ELc67EKPK16rocblas_bfloat16S4_KPS1_EEvlllT_PT11_llS9_llS7_PT12_llPT13_lli,comdat
	.globl	_ZN12_GLOBAL__N_127rocblas_gemm_batched_kernelIfLi16ELi16ELi32ELi32ELi8ELi32ELi8ELi8ELi32ELc78ELc67EKPK16rocblas_bfloat16S4_KPS1_EEvlllT_PT11_llS9_llS7_PT12_llPT13_lli ; -- Begin function _ZN12_GLOBAL__N_127rocblas_gemm_batched_kernelIfLi16ELi16ELi32ELi32ELi8ELi32ELi8ELi8ELi32ELc78ELc67EKPK16rocblas_bfloat16S4_KPS1_EEvlllT_PT11_llS9_llS7_PT12_llPT13_lli
	.p2align	8
	.type	_ZN12_GLOBAL__N_127rocblas_gemm_batched_kernelIfLi16ELi16ELi32ELi32ELi8ELi32ELi8ELi8ELi32ELc78ELc67EKPK16rocblas_bfloat16S4_KPS1_EEvlllT_PT11_llS9_llS7_PT12_llPT13_lli,@function
_ZN12_GLOBAL__N_127rocblas_gemm_batched_kernelIfLi16ELi16ELi32ELi32ELi8ELi32ELi8ELi8ELi32ELc78ELc67EKPK16rocblas_bfloat16S4_KPS1_EEvlllT_PT11_llS9_llS7_PT12_llPT13_lli: ; @_ZN12_GLOBAL__N_127rocblas_gemm_batched_kernelIfLi16ELi16ELi32ELi32ELi8ELi32ELi8ELi8ELi32ELc78ELc67EKPK16rocblas_bfloat16S4_KPS1_EEvlllT_PT11_llS9_llS7_PT12_llPT13_lli
; %bb.0:
	s_load_b32 s3, s[0:1], 0x88
	s_bfe_u32 s2, ttmp6, 0x40014
	s_lshr_b32 s4, ttmp7, 16
	s_add_co_i32 s2, s2, 1
	s_bfe_u32 s6, ttmp6, 0x40008
	s_mul_i32 s5, s4, s2
	s_getreg_b32 s2, hwreg(HW_REG_IB_STS2, 6, 4)
	s_add_co_i32 s6, s6, s5
	s_cmp_eq_u32 s2, 0
	s_mov_b32 s29, 0
	s_cselect_b32 s28, s4, s6
	s_wait_kmcnt 0x0
	s_cmp_ge_i32 s28, s3
	s_cbranch_scc1 .LBB156_58
; %bb.1:
	s_clause 0x2
	s_load_b256 s[4:11], s[0:1], 0x20
	s_load_b128 s[24:27], s[0:1], 0x40
	s_load_b32 s30, s[0:1], 0x50
	v_bfe_u32 v2, v0, 10, 10
	v_and_b32_e32 v6, 0x3ff, v0
	s_bfe_u32 s31, ttmp6, 0x4000c
	s_bfe_u32 s34, ttmp6, 0x40010
	s_add_co_i32 s31, s31, 1
	s_and_b32 s35, ttmp7, 0xffff
	s_add_co_i32 s34, s34, 1
	v_lshl_add_u32 v7, v2, 4, v6
	v_dual_mov_b32 v3, 0 :: v_dual_bitop2_b32 v15, 7, v0 bitop3:0x40
	s_clause 0x1
	s_load_b128 s[20:23], s[0:1], 0x78
	s_load_b256 s[12:19], s[0:1], 0x58
	s_and_b32 s33, ttmp6, 15
	s_mul_i32 s31, ttmp9, s31
	s_mul_i32 s34, s35, s34
	s_bfe_u32 s36, ttmp6, 0x40004
	s_add_co_i32 s33, s33, s31
	s_add_co_i32 s36, s36, s34
	s_cmp_eq_u32 s2, 0
	v_dual_mov_b32 v9, v3 :: v_dual_lshrrev_b32 v8, 3, v7
	s_cselect_b32 s34, ttmp9, s33
	v_dual_lshrrev_b32 v16, 5, v7 :: v_dual_bitop2_b32 v14, 31, v7 bitop3:0x40
	s_cselect_b32 s2, s35, s36
	s_ashr_i32 s35, s34, 31
	s_wait_kmcnt 0x0
	v_mad_nc_u64_u32 v[10:11], s24, v15, v[8:9]
	s_lshl_b64 s[34:35], s[34:35], 5
	s_lshl_b32 s36, s2, 5
	s_mov_b32 s37, s29
	v_mad_nc_u64_u32 v[12:13], s6, v16, s[34:35]
	v_add_nc_u64_e32 v[4:5], s[36:37], v[2:3]
	s_load_b96 s[0:2], s[0:1], 0x10
	v_dual_lshlrev_b32 v7, 2, v15 :: v_dual_lshlrev_b32 v17, 2, v14
	v_lshlrev_b32_e32 v26, 2, v6
	s_cmp_eq_f32 s30, 0
	v_mad_u32 v11, s25, v15, v11
	s_delay_alu instid0(VALU_DEP_4)
	v_mul_u64_e32 v[0:1], s[20:21], v[4:5]
	v_mul_u64_e32 v[4:5], s[14:15], v[4:5]
	v_mov_b32_e32 v15, v3
	v_mad_u32 v13, s7, v16, v13
	v_lshl_or_b32 v18, v8, 5, v7
	v_mov_b32_e32 v7, v3
	v_lshl_or_b32 v24, v16, 7, v17
	v_lshl_add_u32 v2, v2, 5, 0x400
	s_cselect_b32 s31, -1, 0
	v_add_nc_u32_e32 v25, 0x400, v18
	v_add_nc_u64_e32 v[8:9], s[36:37], v[10:11]
	v_add_nc_u64_e32 v[6:7], s[34:35], v[6:7]
	s_lshl_b64 s[20:21], s[20:21], 4
	s_lshl_b64 s[14:15], s[14:15], 4
	v_add_nc_u64_e32 v[10:11], v[12:13], v[14:15]
	s_lshl_b64 s[24:25], s[24:25], 4
	s_lshl_b64 s[6:7], s[6:7], 4
	v_lshlrev_b64_e32 v[8:9], 1, v[8:9]
	s_lshl_b64 s[16:17], s[16:17], 1
	s_delay_alu instid0(VALU_DEP_2) | instskip(NEXT) | instid1(VALU_DEP_2)
	v_lshlrev_b64_e32 v[10:11], 1, v[10:11]
	v_lshl_add_u64 v[8:9], s[26:27], 1, v[8:9]
	s_wait_kmcnt 0x0
	v_cmp_gt_i64_e64 s26, s[0:1], 0
	s_delay_alu instid0(VALU_DEP_3)
	v_lshl_add_u64 v[10:11], s[8:9], 1, v[10:11]
	s_lshl_b64 s[8:9], s[22:23], 1
	s_branch .LBB156_4
.LBB156_2:                              ;   in Loop: Header=BB156_4 Depth=1
	s_or_b32 exec_lo, exec_lo, s22
	flat_store_d16_hi_b16 v[16:17], v13 offset:32
.LBB156_3:                              ;   in Loop: Header=BB156_4 Depth=1
	s_add_co_i32 s28, s28, 0x10000
	s_delay_alu instid0(SALU_CYCLE_1)
	s_cmp_lt_i32 s28, s3
	s_cbranch_scc0 .LBB156_58
.LBB156_4:                              ; =>This Loop Header: Depth=1
                                        ;     Child Loop BB156_6 Depth 2
	v_dual_mov_b32 v12, s28 :: v_dual_mov_b32 v15, 0
	s_wait_xcnt 0x0
	v_dual_mov_b32 v14, 0 :: v_dual_mov_b32 v13, 0
	s_and_not1_b32 vcc_lo, exec_lo, s26
	s_clause 0x1
	global_load_b64 v[16:17], v12, s[12:13] scale_offset
	global_load_b64 v[18:19], v12, s[18:19] scale_offset
	s_wait_xcnt 0x0
	v_mov_b32_e32 v12, 0
	s_cbranch_vccnz .LBB156_7
; %bb.5:                                ;   in Loop: Header=BB156_4 Depth=1
	s_lshl_b64 s[22:23], s[28:29], 3
	v_mov_b32_e32 v12, 0
	s_add_nc_u64 s[34:35], s[10:11], s[22:23]
	s_add_nc_u64 s[22:23], s[4:5], s[22:23]
	s_clause 0x1
	global_load_b64 v[14:15], v3, s[34:35]
	global_load_b64 v[22:23], v3, s[22:23]
	s_wait_xcnt 0x0
	s_mov_b64 s[22:23], 0
	v_mov_b32_e32 v13, v12
	s_wait_loadcnt 0x1
	v_add_nc_u64_e32 v[20:21], v[14:15], v[8:9]
	s_wait_loadcnt 0x0
	v_add_nc_u64_e32 v[22:23], v[22:23], v[10:11]
	v_dual_mov_b32 v14, v12 :: v_dual_mov_b32 v15, v12
.LBB156_6:                              ;   Parent Loop BB156_4 Depth=1
                                        ; =>  This Inner Loop Header: Depth=2
	flat_load_u16 v27, v[22:23]
	flat_load_u16 v28, v[20:21]
	s_add_nc_u64 s[22:23], s[22:23], 8
	s_wait_xcnt 0x0
	v_add_nc_u64_e32 v[20:21], s[24:25], v[20:21]
	v_cmp_lt_i64_e64 s27, s[22:23], s[0:1]
	v_add_nc_u64_e32 v[22:23], s[6:7], v[22:23]
	s_and_b32 vcc_lo, exec_lo, s27
	s_wait_loadcnt_dscnt 0x0
	v_dual_lshlrev_b32 v27, 16, v27 :: v_dual_lshlrev_b32 v28, 16, v28
	ds_store_b32 v24, v27
	ds_store_b32 v25, v28
	s_wait_dscnt 0x0
	s_barrier_signal -1
	s_barrier_wait -1
	ds_load_b128 v[28:31], v2
	ds_load_2addr_b32 v[44:45], v26 offset1:16
	ds_load_b128 v[32:35], v2 offset:512
	ds_load_2addr_b32 v[46:47], v26 offset0:32 offset1:48
	ds_load_2addr_b32 v[48:49], v26 offset0:64 offset1:80
	ds_load_b128 v[36:39], v2 offset:16
	ds_load_2addr_b32 v[50:51], v26 offset0:96 offset1:112
	ds_load_2addr_b32 v[52:53], v26 offset0:128 offset1:144
	;; [unrolled: 3-line block ×3, first 2 shown]
	s_wait_dscnt 0x9
	v_pk_fma_f32 v[14:15], v[44:45], v[28:29], v[14:15] op_sel_hi:[1,0,1]
	s_wait_dscnt 0x8
	v_pk_fma_f32 v[12:13], v[44:45], v[32:33], v[12:13] op_sel_hi:[1,0,1]
	v_mov_b32_e32 v44, v31
	s_wait_dscnt 0x7
	v_pk_fma_f32 v[14:15], v[46:47], v[28:29], v[14:15] op_sel:[0,1,0]
	s_delay_alu instid0(VALU_DEP_3) | instskip(SKIP_2) | instid1(VALU_DEP_3)
	v_pk_fma_f32 v[12:13], v[46:47], v[32:33], v[12:13] op_sel:[0,1,0]
	s_wait_dscnt 0x2
	v_dual_mov_b32 v28, v35 :: v_dual_mov_b32 v32, v43
	v_pk_fma_f32 v[14:15], v[48:49], v[30:31], v[14:15] op_sel_hi:[1,0,1]
	s_delay_alu instid0(VALU_DEP_3)
	v_pk_fma_f32 v[12:13], v[48:49], v[34:35], v[12:13] op_sel_hi:[1,0,1]
	ds_load_2addr_b32 v[30:31], v26 offset0:224 offset1:240
	s_wait_dscnt 0x0
	s_barrier_signal -1
	v_pk_fma_f32 v[14:15], v[50:51], v[44:45], v[14:15] op_sel_hi:[1,0,1]
	v_pk_fma_f32 v[12:13], v[50:51], v[28:29], v[12:13] op_sel_hi:[1,0,1]
	v_mov_b32_e32 v28, v39
	s_barrier_wait -1
	s_delay_alu instid0(VALU_DEP_3) | instskip(NEXT) | instid1(VALU_DEP_3)
	v_pk_fma_f32 v[14:15], v[52:53], v[36:37], v[14:15] op_sel_hi:[1,0,1]
	v_pk_fma_f32 v[12:13], v[52:53], v[40:41], v[12:13] op_sel_hi:[1,0,1]
	s_delay_alu instid0(VALU_DEP_2) | instskip(NEXT) | instid1(VALU_DEP_2)
	v_pk_fma_f32 v[14:15], v[54:55], v[36:37], v[14:15] op_sel:[0,1,0]
	v_pk_fma_f32 v[12:13], v[54:55], v[40:41], v[12:13] op_sel:[0,1,0]
	s_delay_alu instid0(VALU_DEP_2) | instskip(NEXT) | instid1(VALU_DEP_2)
	v_pk_fma_f32 v[14:15], v[56:57], v[38:39], v[14:15] op_sel_hi:[1,0,1]
	v_pk_fma_f32 v[12:13], v[56:57], v[42:43], v[12:13] op_sel_hi:[1,0,1]
	s_delay_alu instid0(VALU_DEP_2) | instskip(NEXT) | instid1(VALU_DEP_2)
	v_pk_fma_f32 v[14:15], v[30:31], v[28:29], v[14:15] op_sel_hi:[1,0,1]
	v_pk_fma_f32 v[12:13], v[30:31], v[32:33], v[12:13] op_sel_hi:[1,0,1]
	s_cbranch_vccnz .LBB156_6
.LBB156_7:                              ;   in Loop: Header=BB156_4 Depth=1
	s_wait_loadcnt 0x0
	v_add_nc_u64_e32 v[18:19], s[8:9], v[18:19]
	s_and_not1_b32 vcc_lo, exec_lo, s31
	s_cbranch_vccnz .LBB156_25
; %bb.8:                                ;   in Loop: Header=BB156_4 Depth=1
	v_mul_f32_e32 v20, s2, v14
	s_mov_b32 s22, exec_lo
                                        ; implicit-def: $vgpr27
	s_delay_alu instid0(VALU_DEP_1) | instskip(NEXT) | instid1(VALU_DEP_1)
	v_and_b32_e32 v21, 0x7f800000, v20
	v_cmpx_ne_u32_e32 0x7f800000, v21
	s_xor_b32 s22, exec_lo, s22
; %bb.9:                                ;   in Loop: Header=BB156_4 Depth=1
	v_bfe_u32 v21, v20, 16, 1
	s_delay_alu instid0(VALU_DEP_1)
	v_add3_u32 v27, v20, v21, 0x7fff
                                        ; implicit-def: $vgpr20
; %bb.10:                               ;   in Loop: Header=BB156_4 Depth=1
	s_and_not1_saveexec_b32 s22, s22
; %bb.11:                               ;   in Loop: Header=BB156_4 Depth=1
	v_and_b32_e32 v21, 0xffff, v20
	v_or_b32_e32 v22, 0x10000, v20
	s_delay_alu instid0(VALU_DEP_2) | instskip(NEXT) | instid1(VALU_DEP_2)
	v_cmp_eq_u32_e32 vcc_lo, 0, v21
	v_cndmask_b32_e32 v27, v22, v20, vcc_lo
; %bb.12:                               ;   in Loop: Header=BB156_4 Depth=1
	s_or_b32 exec_lo, exec_lo, s22
	v_mul_f32_e32 v28, s2, v15
	v_lshl_add_u64 v[20:21], v[0:1], 1, v[18:19]
	s_delay_alu instid0(VALU_DEP_2) | instskip(NEXT) | instid1(VALU_DEP_2)
	v_and_b32_e32 v29, 0x7f800000, v28
	v_lshl_add_u64 v[22:23], v[6:7], 1, v[20:21]
	s_delay_alu instid0(VALU_DEP_2) | instskip(SKIP_3) | instid1(SALU_CYCLE_1)
	v_cmp_ne_u32_e32 vcc_lo, 0x7f800000, v29
	flat_store_d16_hi_b16 v[22:23], v27
                                        ; implicit-def: $vgpr29
	s_wait_xcnt 0x0
	s_and_saveexec_b32 s22, vcc_lo
	s_xor_b32 s22, exec_lo, s22
; %bb.13:                               ;   in Loop: Header=BB156_4 Depth=1
	v_bfe_u32 v27, v28, 16, 1
	s_delay_alu instid0(VALU_DEP_1)
	v_add3_u32 v29, v28, v27, 0x7fff
                                        ; implicit-def: $vgpr28
; %bb.14:                               ;   in Loop: Header=BB156_4 Depth=1
	s_and_not1_saveexec_b32 s22, s22
; %bb.15:                               ;   in Loop: Header=BB156_4 Depth=1
	v_and_b32_e32 v27, 0xffff, v28
	v_or_b32_e32 v29, 0x10000, v28
	s_delay_alu instid0(VALU_DEP_2) | instskip(NEXT) | instid1(VALU_DEP_2)
	v_cmp_eq_u32_e32 vcc_lo, 0, v27
	v_cndmask_b32_e32 v29, v29, v28, vcc_lo
; %bb.16:                               ;   in Loop: Header=BB156_4 Depth=1
	s_or_b32 exec_lo, exec_lo, s22
	v_mul_f32_e32 v27, s2, v12
	s_mov_b32 s22, exec_lo
	flat_store_d16_hi_b16 v[22:23], v29 offset:32
                                        ; implicit-def: $vgpr22
	v_and_b32_e32 v28, 0x7f800000, v27
	s_wait_xcnt 0x0
	s_delay_alu instid0(VALU_DEP_1)
	v_cmpx_ne_u32_e32 0x7f800000, v28
	s_xor_b32 s22, exec_lo, s22
; %bb.17:                               ;   in Loop: Header=BB156_4 Depth=1
	v_bfe_u32 v22, v27, 16, 1
	s_delay_alu instid0(VALU_DEP_1)
	v_add3_u32 v22, v27, v22, 0x7fff
                                        ; implicit-def: $vgpr27
; %bb.18:                               ;   in Loop: Header=BB156_4 Depth=1
	s_and_not1_saveexec_b32 s22, s22
; %bb.19:                               ;   in Loop: Header=BB156_4 Depth=1
	v_and_b32_e32 v22, 0xffff, v27
	v_or_b32_e32 v23, 0x10000, v27
	s_delay_alu instid0(VALU_DEP_2) | instskip(NEXT) | instid1(VALU_DEP_2)
	v_cmp_eq_u32_e32 vcc_lo, 0, v22
	v_cndmask_b32_e32 v22, v23, v27, vcc_lo
; %bb.20:                               ;   in Loop: Header=BB156_4 Depth=1
	s_or_b32 exec_lo, exec_lo, s22
	v_mul_f32_e32 v23, s2, v13
	v_lshl_add_u64 v[20:21], s[20:21], 1, v[20:21]
	s_mov_b32 s22, exec_lo
	s_delay_alu instid0(VALU_DEP_2) | instskip(NEXT) | instid1(VALU_DEP_2)
	v_and_b32_e32 v27, 0x7f800000, v23
	v_lshl_add_u64 v[20:21], v[6:7], 1, v[20:21]
	flat_store_d16_hi_b16 v[20:21], v22
                                        ; implicit-def: $vgpr22
	s_wait_xcnt 0x0
	v_cmpx_ne_u32_e32 0x7f800000, v27
	s_xor_b32 s22, exec_lo, s22
; %bb.21:                               ;   in Loop: Header=BB156_4 Depth=1
	v_bfe_u32 v22, v23, 16, 1
	s_delay_alu instid0(VALU_DEP_1)
	v_add3_u32 v22, v23, v22, 0x7fff
                                        ; implicit-def: $vgpr23
; %bb.22:                               ;   in Loop: Header=BB156_4 Depth=1
	s_and_not1_saveexec_b32 s22, s22
; %bb.23:                               ;   in Loop: Header=BB156_4 Depth=1
	v_and_b32_e32 v22, 0xffff, v23
	v_or_b32_e32 v27, 0x10000, v23
	s_delay_alu instid0(VALU_DEP_2) | instskip(NEXT) | instid1(VALU_DEP_2)
	v_cmp_eq_u32_e32 vcc_lo, 0, v22
	v_cndmask_b32_e32 v22, v27, v23, vcc_lo
; %bb.24:                               ;   in Loop: Header=BB156_4 Depth=1
	s_or_b32 exec_lo, exec_lo, s22
	flat_store_d16_hi_b16 v[20:21], v22 offset:32
	s_branch .LBB156_3
.LBB156_25:                             ;   in Loop: Header=BB156_4 Depth=1
	s_cbranch_execz .LBB156_3
; %bb.26:                               ;   in Loop: Header=BB156_4 Depth=1
	v_add_nc_u64_e32 v[16:17], s[16:17], v[16:17]
	s_delay_alu instid0(VALU_DEP_1) | instskip(SKIP_1) | instid1(VALU_DEP_1)
	v_lshl_add_u64 v[16:17], v[4:5], 1, v[16:17]
	s_wait_xcnt 0x0
	v_lshl_add_u64 v[20:21], v[6:7], 1, v[16:17]
	flat_load_u16 v22, v[20:21]
	s_wait_loadcnt_dscnt 0x0
	v_lshlrev_b32_e32 v22, 16, v22
	s_delay_alu instid0(VALU_DEP_1) | instskip(NEXT) | instid1(VALU_DEP_1)
	v_mul_f32_e32 v22, s30, v22
	v_and_b32_e32 v23, 0x7f800000, v22
	s_delay_alu instid0(VALU_DEP_1) | instskip(SKIP_2) | instid1(SALU_CYCLE_1)
	v_cmp_ne_u32_e32 vcc_lo, 0x7f800000, v23
                                        ; implicit-def: $vgpr23
	s_wait_xcnt 0x0
	s_and_saveexec_b32 s22, vcc_lo
	s_xor_b32 s22, exec_lo, s22
; %bb.27:                               ;   in Loop: Header=BB156_4 Depth=1
	v_bfe_u32 v23, v22, 16, 1
	s_delay_alu instid0(VALU_DEP_1)
	v_add3_u32 v23, v22, v23, 0x7fff
                                        ; implicit-def: $vgpr22
; %bb.28:                               ;   in Loop: Header=BB156_4 Depth=1
	s_and_not1_saveexec_b32 s22, s22
; %bb.29:                               ;   in Loop: Header=BB156_4 Depth=1
	v_and_b32_e32 v23, 0xffff, v22
	v_or_b32_e32 v27, 0x10000, v22
	s_delay_alu instid0(VALU_DEP_2) | instskip(NEXT) | instid1(VALU_DEP_2)
	v_cmp_eq_u32_e32 vcc_lo, 0, v23
	v_cndmask_b32_e32 v23, v27, v22, vcc_lo
; %bb.30:                               ;   in Loop: Header=BB156_4 Depth=1
	s_or_b32 exec_lo, exec_lo, s22
	s_delay_alu instid0(VALU_DEP_1) | instskip(SKIP_1) | instid1(VALU_DEP_1)
	v_fma_mix_f32_bf16 v14, s2, v14, v23 op_sel:[0,0,1] op_sel_hi:[0,0,1]
	s_mov_b32 s22, exec_lo
                                        ; implicit-def: $vgpr27
	v_and_b32_e32 v22, 0x7f800000, v14
	s_delay_alu instid0(VALU_DEP_1)
	v_cmpx_ne_u32_e32 0x7f800000, v22
	s_xor_b32 s22, exec_lo, s22
; %bb.31:                               ;   in Loop: Header=BB156_4 Depth=1
	v_bfe_u32 v22, v14, 16, 1
	s_delay_alu instid0(VALU_DEP_1)
	v_add3_u32 v27, v14, v22, 0x7fff
                                        ; implicit-def: $vgpr14
; %bb.32:                               ;   in Loop: Header=BB156_4 Depth=1
	s_and_not1_saveexec_b32 s22, s22
; %bb.33:                               ;   in Loop: Header=BB156_4 Depth=1
	v_and_b32_e32 v22, 0xffff, v14
	v_or_b32_e32 v23, 0x10000, v14
	s_delay_alu instid0(VALU_DEP_2) | instskip(NEXT) | instid1(VALU_DEP_2)
	v_cmp_eq_u32_e32 vcc_lo, 0, v22
	v_cndmask_b32_e32 v27, v23, v14, vcc_lo
; %bb.34:                               ;   in Loop: Header=BB156_4 Depth=1
	s_or_b32 exec_lo, exec_lo, s22
	v_lshl_add_u64 v[18:19], v[0:1], 1, v[18:19]
	s_delay_alu instid0(VALU_DEP_1) | instskip(SKIP_4) | instid1(VALU_DEP_1)
	v_lshl_add_u64 v[22:23], v[6:7], 1, v[18:19]
	flat_store_d16_hi_b16 v[22:23], v27
	flat_load_u16 v14, v[20:21] offset:32
	s_wait_loadcnt_dscnt 0x0
	v_lshlrev_b32_e32 v14, 16, v14
	v_mul_f32_e32 v14, s30, v14
	s_wait_xcnt 0x0
	s_delay_alu instid0(VALU_DEP_1) | instskip(NEXT) | instid1(VALU_DEP_1)
	v_and_b32_e32 v20, 0x7f800000, v14
	v_cmp_ne_u32_e32 vcc_lo, 0x7f800000, v20
                                        ; implicit-def: $vgpr20
	s_and_saveexec_b32 s22, vcc_lo
	s_delay_alu instid0(SALU_CYCLE_1)
	s_xor_b32 s22, exec_lo, s22
; %bb.35:                               ;   in Loop: Header=BB156_4 Depth=1
	v_bfe_u32 v20, v14, 16, 1
	s_delay_alu instid0(VALU_DEP_1)
	v_add3_u32 v20, v14, v20, 0x7fff
                                        ; implicit-def: $vgpr14
; %bb.36:                               ;   in Loop: Header=BB156_4 Depth=1
	s_and_not1_saveexec_b32 s22, s22
; %bb.37:                               ;   in Loop: Header=BB156_4 Depth=1
	v_and_b32_e32 v20, 0xffff, v14
	v_or_b32_e32 v21, 0x10000, v14
	s_delay_alu instid0(VALU_DEP_2) | instskip(NEXT) | instid1(VALU_DEP_2)
	v_cmp_eq_u32_e32 vcc_lo, 0, v20
	v_cndmask_b32_e32 v20, v21, v14, vcc_lo
; %bb.38:                               ;   in Loop: Header=BB156_4 Depth=1
	s_or_b32 exec_lo, exec_lo, s22
	s_delay_alu instid0(VALU_DEP_1) | instskip(SKIP_1) | instid1(VALU_DEP_1)
	v_fma_mix_f32_bf16 v14, s2, v15, v20 op_sel:[0,0,1] op_sel_hi:[0,0,1]
	s_mov_b32 s22, exec_lo
                                        ; implicit-def: $vgpr20
	v_and_b32_e32 v15, 0x7f800000, v14
	s_delay_alu instid0(VALU_DEP_1)
	v_cmpx_ne_u32_e32 0x7f800000, v15
	s_xor_b32 s22, exec_lo, s22
; %bb.39:                               ;   in Loop: Header=BB156_4 Depth=1
	v_bfe_u32 v15, v14, 16, 1
	s_delay_alu instid0(VALU_DEP_1)
	v_add3_u32 v20, v14, v15, 0x7fff
                                        ; implicit-def: $vgpr14
; %bb.40:                               ;   in Loop: Header=BB156_4 Depth=1
	s_and_not1_saveexec_b32 s22, s22
; %bb.41:                               ;   in Loop: Header=BB156_4 Depth=1
	v_and_b32_e32 v15, 0xffff, v14
	v_or_b32_e32 v20, 0x10000, v14
	s_delay_alu instid0(VALU_DEP_2) | instskip(NEXT) | instid1(VALU_DEP_2)
	v_cmp_eq_u32_e32 vcc_lo, 0, v15
	v_cndmask_b32_e32 v20, v20, v14, vcc_lo
; %bb.42:                               ;   in Loop: Header=BB156_4 Depth=1
	s_or_b32 exec_lo, exec_lo, s22
	v_lshl_add_u64 v[14:15], s[14:15], 1, v[16:17]
	flat_store_d16_hi_b16 v[22:23], v20 offset:32
	v_lshl_add_u64 v[14:15], v[6:7], 1, v[14:15]
	flat_load_u16 v16, v[14:15]
	s_wait_loadcnt_dscnt 0x0
	v_lshlrev_b32_e32 v16, 16, v16
	s_delay_alu instid0(VALU_DEP_1) | instskip(NEXT) | instid1(VALU_DEP_1)
	v_mul_f32_e32 v16, s30, v16
	v_and_b32_e32 v17, 0x7f800000, v16
	s_delay_alu instid0(VALU_DEP_1) | instskip(SKIP_2) | instid1(SALU_CYCLE_1)
	v_cmp_ne_u32_e32 vcc_lo, 0x7f800000, v17
                                        ; implicit-def: $vgpr17
	s_wait_xcnt 0x0
	s_and_saveexec_b32 s22, vcc_lo
	s_xor_b32 s22, exec_lo, s22
; %bb.43:                               ;   in Loop: Header=BB156_4 Depth=1
	v_bfe_u32 v17, v16, 16, 1
	s_delay_alu instid0(VALU_DEP_1)
	v_add3_u32 v17, v16, v17, 0x7fff
                                        ; implicit-def: $vgpr16
; %bb.44:                               ;   in Loop: Header=BB156_4 Depth=1
	s_and_not1_saveexec_b32 s22, s22
; %bb.45:                               ;   in Loop: Header=BB156_4 Depth=1
	v_and_b32_e32 v17, 0xffff, v16
	v_or_b32_e32 v20, 0x10000, v16
	s_delay_alu instid0(VALU_DEP_2) | instskip(NEXT) | instid1(VALU_DEP_2)
	v_cmp_eq_u32_e32 vcc_lo, 0, v17
	v_cndmask_b32_e32 v17, v20, v16, vcc_lo
; %bb.46:                               ;   in Loop: Header=BB156_4 Depth=1
	s_or_b32 exec_lo, exec_lo, s22
	s_delay_alu instid0(VALU_DEP_1) | instskip(SKIP_1) | instid1(VALU_DEP_1)
	v_fma_mix_f32_bf16 v12, s2, v12, v17 op_sel:[0,0,1] op_sel_hi:[0,0,1]
	s_mov_b32 s22, exec_lo
                                        ; implicit-def: $vgpr20
	v_and_b32_e32 v16, 0x7f800000, v12
	s_delay_alu instid0(VALU_DEP_1)
	v_cmpx_ne_u32_e32 0x7f800000, v16
	s_xor_b32 s22, exec_lo, s22
; %bb.47:                               ;   in Loop: Header=BB156_4 Depth=1
	v_bfe_u32 v16, v12, 16, 1
	s_delay_alu instid0(VALU_DEP_1)
	v_add3_u32 v20, v12, v16, 0x7fff
                                        ; implicit-def: $vgpr12
; %bb.48:                               ;   in Loop: Header=BB156_4 Depth=1
	s_and_not1_saveexec_b32 s22, s22
; %bb.49:                               ;   in Loop: Header=BB156_4 Depth=1
	v_and_b32_e32 v16, 0xffff, v12
	v_or_b32_e32 v17, 0x10000, v12
	s_delay_alu instid0(VALU_DEP_2) | instskip(NEXT) | instid1(VALU_DEP_2)
	v_cmp_eq_u32_e32 vcc_lo, 0, v16
	v_cndmask_b32_e32 v20, v17, v12, vcc_lo
; %bb.50:                               ;   in Loop: Header=BB156_4 Depth=1
	s_or_b32 exec_lo, exec_lo, s22
	v_lshl_add_u64 v[16:17], s[20:21], 1, v[18:19]
	s_delay_alu instid0(VALU_DEP_1) | instskip(SKIP_4) | instid1(VALU_DEP_1)
	v_lshl_add_u64 v[16:17], v[6:7], 1, v[16:17]
	flat_store_d16_hi_b16 v[16:17], v20
	flat_load_u16 v12, v[14:15] offset:32
	s_wait_loadcnt_dscnt 0x0
	v_lshlrev_b32_e32 v12, 16, v12
	v_mul_f32_e32 v12, s30, v12
	s_wait_xcnt 0x0
	s_delay_alu instid0(VALU_DEP_1) | instskip(NEXT) | instid1(VALU_DEP_1)
	v_and_b32_e32 v14, 0x7f800000, v12
	v_cmp_ne_u32_e32 vcc_lo, 0x7f800000, v14
                                        ; implicit-def: $vgpr14
	s_and_saveexec_b32 s22, vcc_lo
	s_delay_alu instid0(SALU_CYCLE_1)
	s_xor_b32 s22, exec_lo, s22
; %bb.51:                               ;   in Loop: Header=BB156_4 Depth=1
	v_bfe_u32 v14, v12, 16, 1
	s_delay_alu instid0(VALU_DEP_1)
	v_add3_u32 v14, v12, v14, 0x7fff
                                        ; implicit-def: $vgpr12
; %bb.52:                               ;   in Loop: Header=BB156_4 Depth=1
	s_and_not1_saveexec_b32 s22, s22
; %bb.53:                               ;   in Loop: Header=BB156_4 Depth=1
	v_and_b32_e32 v14, 0xffff, v12
	v_or_b32_e32 v15, 0x10000, v12
	s_delay_alu instid0(VALU_DEP_2) | instskip(NEXT) | instid1(VALU_DEP_2)
	v_cmp_eq_u32_e32 vcc_lo, 0, v14
	v_cndmask_b32_e32 v14, v15, v12, vcc_lo
; %bb.54:                               ;   in Loop: Header=BB156_4 Depth=1
	s_or_b32 exec_lo, exec_lo, s22
	s_delay_alu instid0(VALU_DEP_1) | instskip(NEXT) | instid1(VALU_DEP_1)
	v_fma_mix_f32_bf16 v12, s2, v13, v14 op_sel:[0,0,1] op_sel_hi:[0,0,1]
	v_and_b32_e32 v13, 0x7f800000, v12
	s_delay_alu instid0(VALU_DEP_1) | instskip(SKIP_1) | instid1(SALU_CYCLE_1)
	v_cmp_ne_u32_e32 vcc_lo, 0x7f800000, v13
                                        ; implicit-def: $vgpr13
	s_and_saveexec_b32 s22, vcc_lo
	s_xor_b32 s22, exec_lo, s22
; %bb.55:                               ;   in Loop: Header=BB156_4 Depth=1
	v_bfe_u32 v13, v12, 16, 1
	s_delay_alu instid0(VALU_DEP_1)
	v_add3_u32 v13, v12, v13, 0x7fff
                                        ; implicit-def: $vgpr12
; %bb.56:                               ;   in Loop: Header=BB156_4 Depth=1
	s_and_not1_saveexec_b32 s22, s22
	s_cbranch_execz .LBB156_2
; %bb.57:                               ;   in Loop: Header=BB156_4 Depth=1
	v_and_b32_e32 v13, 0xffff, v12
	v_or_b32_e32 v14, 0x10000, v12
	s_delay_alu instid0(VALU_DEP_2) | instskip(NEXT) | instid1(VALU_DEP_2)
	v_cmp_eq_u32_e32 vcc_lo, 0, v13
	v_cndmask_b32_e32 v13, v14, v12, vcc_lo
	s_branch .LBB156_2
.LBB156_58:
	s_endpgm
	.section	.rodata,"a",@progbits
	.p2align	6, 0x0
	.amdhsa_kernel _ZN12_GLOBAL__N_127rocblas_gemm_batched_kernelIfLi16ELi16ELi32ELi32ELi8ELi32ELi8ELi8ELi32ELc78ELc67EKPK16rocblas_bfloat16S4_KPS1_EEvlllT_PT11_llS9_llS7_PT12_llPT13_lli
		.amdhsa_group_segment_fixed_size 2048
		.amdhsa_private_segment_fixed_size 0
		.amdhsa_kernarg_size 140
		.amdhsa_user_sgpr_count 2
		.amdhsa_user_sgpr_dispatch_ptr 0
		.amdhsa_user_sgpr_queue_ptr 0
		.amdhsa_user_sgpr_kernarg_segment_ptr 1
		.amdhsa_user_sgpr_dispatch_id 0
		.amdhsa_user_sgpr_kernarg_preload_length 0
		.amdhsa_user_sgpr_kernarg_preload_offset 0
		.amdhsa_user_sgpr_private_segment_size 0
		.amdhsa_wavefront_size32 1
		.amdhsa_uses_dynamic_stack 0
		.amdhsa_enable_private_segment 0
		.amdhsa_system_sgpr_workgroup_id_x 1
		.amdhsa_system_sgpr_workgroup_id_y 1
		.amdhsa_system_sgpr_workgroup_id_z 1
		.amdhsa_system_sgpr_workgroup_info 0
		.amdhsa_system_vgpr_workitem_id 1
		.amdhsa_next_free_vgpr 58
		.amdhsa_next_free_sgpr 38
		.amdhsa_named_barrier_count 0
		.amdhsa_reserve_vcc 1
		.amdhsa_float_round_mode_32 0
		.amdhsa_float_round_mode_16_64 0
		.amdhsa_float_denorm_mode_32 3
		.amdhsa_float_denorm_mode_16_64 3
		.amdhsa_fp16_overflow 0
		.amdhsa_memory_ordered 1
		.amdhsa_forward_progress 1
		.amdhsa_inst_pref_size 20
		.amdhsa_round_robin_scheduling 0
		.amdhsa_exception_fp_ieee_invalid_op 0
		.amdhsa_exception_fp_denorm_src 0
		.amdhsa_exception_fp_ieee_div_zero 0
		.amdhsa_exception_fp_ieee_overflow 0
		.amdhsa_exception_fp_ieee_underflow 0
		.amdhsa_exception_fp_ieee_inexact 0
		.amdhsa_exception_int_div_zero 0
	.end_amdhsa_kernel
	.section	.text._ZN12_GLOBAL__N_127rocblas_gemm_batched_kernelIfLi16ELi16ELi32ELi32ELi8ELi32ELi8ELi8ELi32ELc78ELc67EKPK16rocblas_bfloat16S4_KPS1_EEvlllT_PT11_llS9_llS7_PT12_llPT13_lli,"axG",@progbits,_ZN12_GLOBAL__N_127rocblas_gemm_batched_kernelIfLi16ELi16ELi32ELi32ELi8ELi32ELi8ELi8ELi32ELc78ELc67EKPK16rocblas_bfloat16S4_KPS1_EEvlllT_PT11_llS9_llS7_PT12_llPT13_lli,comdat
.Lfunc_end156:
	.size	_ZN12_GLOBAL__N_127rocblas_gemm_batched_kernelIfLi16ELi16ELi32ELi32ELi8ELi32ELi8ELi8ELi32ELc78ELc67EKPK16rocblas_bfloat16S4_KPS1_EEvlllT_PT11_llS9_llS7_PT12_llPT13_lli, .Lfunc_end156-_ZN12_GLOBAL__N_127rocblas_gemm_batched_kernelIfLi16ELi16ELi32ELi32ELi8ELi32ELi8ELi8ELi32ELc78ELc67EKPK16rocblas_bfloat16S4_KPS1_EEvlllT_PT11_llS9_llS7_PT12_llPT13_lli
                                        ; -- End function
	.set _ZN12_GLOBAL__N_127rocblas_gemm_batched_kernelIfLi16ELi16ELi32ELi32ELi8ELi32ELi8ELi8ELi32ELc78ELc67EKPK16rocblas_bfloat16S4_KPS1_EEvlllT_PT11_llS9_llS7_PT12_llPT13_lli.num_vgpr, 58
	.set _ZN12_GLOBAL__N_127rocblas_gemm_batched_kernelIfLi16ELi16ELi32ELi32ELi8ELi32ELi8ELi8ELi32ELc78ELc67EKPK16rocblas_bfloat16S4_KPS1_EEvlllT_PT11_llS9_llS7_PT12_llPT13_lli.num_agpr, 0
	.set _ZN12_GLOBAL__N_127rocblas_gemm_batched_kernelIfLi16ELi16ELi32ELi32ELi8ELi32ELi8ELi8ELi32ELc78ELc67EKPK16rocblas_bfloat16S4_KPS1_EEvlllT_PT11_llS9_llS7_PT12_llPT13_lli.numbered_sgpr, 38
	.set _ZN12_GLOBAL__N_127rocblas_gemm_batched_kernelIfLi16ELi16ELi32ELi32ELi8ELi32ELi8ELi8ELi32ELc78ELc67EKPK16rocblas_bfloat16S4_KPS1_EEvlllT_PT11_llS9_llS7_PT12_llPT13_lli.num_named_barrier, 0
	.set _ZN12_GLOBAL__N_127rocblas_gemm_batched_kernelIfLi16ELi16ELi32ELi32ELi8ELi32ELi8ELi8ELi32ELc78ELc67EKPK16rocblas_bfloat16S4_KPS1_EEvlllT_PT11_llS9_llS7_PT12_llPT13_lli.private_seg_size, 0
	.set _ZN12_GLOBAL__N_127rocblas_gemm_batched_kernelIfLi16ELi16ELi32ELi32ELi8ELi32ELi8ELi8ELi32ELc78ELc67EKPK16rocblas_bfloat16S4_KPS1_EEvlllT_PT11_llS9_llS7_PT12_llPT13_lli.uses_vcc, 1
	.set _ZN12_GLOBAL__N_127rocblas_gemm_batched_kernelIfLi16ELi16ELi32ELi32ELi8ELi32ELi8ELi8ELi32ELc78ELc67EKPK16rocblas_bfloat16S4_KPS1_EEvlllT_PT11_llS9_llS7_PT12_llPT13_lli.uses_flat_scratch, 0
	.set _ZN12_GLOBAL__N_127rocblas_gemm_batched_kernelIfLi16ELi16ELi32ELi32ELi8ELi32ELi8ELi8ELi32ELc78ELc67EKPK16rocblas_bfloat16S4_KPS1_EEvlllT_PT11_llS9_llS7_PT12_llPT13_lli.has_dyn_sized_stack, 0
	.set _ZN12_GLOBAL__N_127rocblas_gemm_batched_kernelIfLi16ELi16ELi32ELi32ELi8ELi32ELi8ELi8ELi32ELc78ELc67EKPK16rocblas_bfloat16S4_KPS1_EEvlllT_PT11_llS9_llS7_PT12_llPT13_lli.has_recursion, 0
	.set _ZN12_GLOBAL__N_127rocblas_gemm_batched_kernelIfLi16ELi16ELi32ELi32ELi8ELi32ELi8ELi8ELi32ELc78ELc67EKPK16rocblas_bfloat16S4_KPS1_EEvlllT_PT11_llS9_llS7_PT12_llPT13_lli.has_indirect_call, 0
	.section	.AMDGPU.csdata,"",@progbits
; Kernel info:
; codeLenInByte = 2544
; TotalNumSgprs: 40
; NumVgprs: 58
; ScratchSize: 0
; MemoryBound: 0
; FloatMode: 240
; IeeeMode: 1
; LDSByteSize: 2048 bytes/workgroup (compile time only)
; SGPRBlocks: 0
; VGPRBlocks: 3
; NumSGPRsForWavesPerEU: 40
; NumVGPRsForWavesPerEU: 58
; NamedBarCnt: 0
; Occupancy: 16
; WaveLimiterHint : 1
; COMPUTE_PGM_RSRC2:SCRATCH_EN: 0
; COMPUTE_PGM_RSRC2:USER_SGPR: 2
; COMPUTE_PGM_RSRC2:TRAP_HANDLER: 0
; COMPUTE_PGM_RSRC2:TGID_X_EN: 1
; COMPUTE_PGM_RSRC2:TGID_Y_EN: 1
; COMPUTE_PGM_RSRC2:TGID_Z_EN: 1
; COMPUTE_PGM_RSRC2:TIDIG_COMP_CNT: 1
	.section	.text._ZN12_GLOBAL__N_127rocblas_gemm_batched_kernelIfLi16ELi16ELi32ELi32ELi8ELi32ELi8ELi8ELi32ELc84ELc67EKPK16rocblas_bfloat16S4_KPS1_EEvlllT_PT11_llS9_llS7_PT12_llPT13_lli,"axG",@progbits,_ZN12_GLOBAL__N_127rocblas_gemm_batched_kernelIfLi16ELi16ELi32ELi32ELi8ELi32ELi8ELi8ELi32ELc84ELc67EKPK16rocblas_bfloat16S4_KPS1_EEvlllT_PT11_llS9_llS7_PT12_llPT13_lli,comdat
	.globl	_ZN12_GLOBAL__N_127rocblas_gemm_batched_kernelIfLi16ELi16ELi32ELi32ELi8ELi32ELi8ELi8ELi32ELc84ELc67EKPK16rocblas_bfloat16S4_KPS1_EEvlllT_PT11_llS9_llS7_PT12_llPT13_lli ; -- Begin function _ZN12_GLOBAL__N_127rocblas_gemm_batched_kernelIfLi16ELi16ELi32ELi32ELi8ELi32ELi8ELi8ELi32ELc84ELc67EKPK16rocblas_bfloat16S4_KPS1_EEvlllT_PT11_llS9_llS7_PT12_llPT13_lli
	.p2align	8
	.type	_ZN12_GLOBAL__N_127rocblas_gemm_batched_kernelIfLi16ELi16ELi32ELi32ELi8ELi32ELi8ELi8ELi32ELc84ELc67EKPK16rocblas_bfloat16S4_KPS1_EEvlllT_PT11_llS9_llS7_PT12_llPT13_lli,@function
_ZN12_GLOBAL__N_127rocblas_gemm_batched_kernelIfLi16ELi16ELi32ELi32ELi8ELi32ELi8ELi8ELi32ELc84ELc67EKPK16rocblas_bfloat16S4_KPS1_EEvlllT_PT11_llS9_llS7_PT12_llPT13_lli: ; @_ZN12_GLOBAL__N_127rocblas_gemm_batched_kernelIfLi16ELi16ELi32ELi32ELi8ELi32ELi8ELi8ELi32ELc84ELc67EKPK16rocblas_bfloat16S4_KPS1_EEvlllT_PT11_llS9_llS7_PT12_llPT13_lli
; %bb.0:
	s_load_b32 s3, s[0:1], 0x88
	s_bfe_u32 s2, ttmp6, 0x40014
	s_lshr_b32 s4, ttmp7, 16
	s_add_co_i32 s2, s2, 1
	s_bfe_u32 s6, ttmp6, 0x40008
	s_mul_i32 s5, s4, s2
	s_getreg_b32 s2, hwreg(HW_REG_IB_STS2, 6, 4)
	s_add_co_i32 s6, s6, s5
	s_cmp_eq_u32 s2, 0
	s_mov_b32 s29, 0
	s_cselect_b32 s28, s4, s6
	s_wait_kmcnt 0x0
	s_cmp_ge_i32 s28, s3
	s_cbranch_scc1 .LBB157_58
; %bb.1:
	v_bfe_u32 v2, v0, 10, 10
	v_and_b32_e32 v6, 0x3ff, v0
	s_bfe_u32 s31, ttmp6, 0x4000c
	s_bfe_u32 s33, ttmp6, 0x40010
	s_clause 0x2
	s_load_b256 s[4:11], s[0:1], 0x20
	s_load_b128 s[24:27], s[0:1], 0x40
	s_load_b128 s[20:23], s[0:1], 0x78
	s_add_co_i32 s31, s31, 1
	s_and_b32 s34, ttmp7, 0xffff
	s_add_co_i32 s33, s33, 1
	s_and_b32 s30, ttmp6, 15
	s_mul_i32 s31, ttmp9, s31
	s_mul_i32 s33, s34, s33
	s_bfe_u32 s35, ttmp6, 0x40004
	v_lshl_add_u32 v7, v2, 4, v6
	s_add_co_i32 s30, s30, s31
	s_add_co_i32 s35, s35, s33
	s_cmp_eq_u32 s2, 0
	s_delay_alu instid0(VALU_DEP_1)
	v_dual_mov_b32 v3, 0 :: v_dual_bitop2_b32 v14, 31, v7 bitop3:0x40
	s_cselect_b32 s30, ttmp9, s30
	s_cselect_b32 s2, s34, s35
	s_ashr_i32 s31, s30, 31
	s_load_b256 s[12:19], s[0:1], 0x58
	s_lshl_b64 s[34:35], s[30:31], 5
	v_dual_lshrrev_b32 v8, 3, v7 :: v_dual_bitop2_b32 v15, 7, v0 bitop3:0x40
	v_dual_mov_b32 v9, v3 :: v_dual_bitop2_b32 v0, s34, v14 bitop3:0x54
	v_mov_b32_e32 v1, s35
	s_load_b32 s30, s[0:1], 0x50
	v_lshl_add_u32 v27, v2, 5, 0x400
	s_wait_kmcnt 0x0
	v_mad_nc_u64_u32 v[10:11], s24, v15, v[8:9]
	v_lshlrev_b32_e32 v9, 2, v15
	v_mul_u64_e32 v[12:13], s[6:7], v[0:1]
	s_lshl_b32 s6, s2, 5
	s_mov_b32 s7, s29
	s_load_b96 s[0:2], s[0:1], 0x10
	v_add_nc_u64_e32 v[4:5], s[6:7], v[2:3]
	v_lshl_or_b32 v16, v8, 5, v9
	v_lshlrev_b32_e32 v14, 2, v14
	v_lshlrev_b32_e32 v26, 2, v6
	v_mad_u32 v11, s25, v15, v11
	v_lshrrev_b32_e32 v15, 5, v7
	v_mul_u64_e32 v[0:1], s[20:21], v[4:5]
	v_mul_u64_e32 v[4:5], s[14:15], v[4:5]
	v_mov_b32_e32 v7, v3
	v_add_nc_u32_e32 v25, 0x400, v16
	v_lshlrev_b32_e32 v2, 1, v15
	s_cmp_eq_f32 s30, 0
	v_lshl_or_b32 v24, v15, 7, v14
	v_add_nc_u64_e32 v[6:7], s[34:35], v[6:7]
	v_add_nc_u64_e32 v[8:9], s[6:7], v[10:11]
	s_cselect_b32 s31, -1, 0
	s_lshl_b64 s[6:7], s[8:9], 1
	s_lshl_b64 s[8:9], s[14:15], 4
	;; [unrolled: 1-line block ×4, first 2 shown]
	s_delay_alu instid0(VALU_DEP_1) | instskip(SKIP_2) | instid1(VALU_DEP_2)
	v_lshlrev_b64_e32 v[8:9], 1, v[8:9]
	v_lshl_add_u64 v[10:11], v[12:13], 1, s[6:7]
	s_lshl_b64 s[6:7], s[20:21], 4
	v_lshl_add_u64 v[8:9], s[26:27], 1, v[8:9]
	s_wait_kmcnt 0x0
	v_cmp_gt_i64_e64 s26, s[0:1], 0
	s_lshl_b64 s[20:21], s[22:23], 1
	v_add_nc_u64_e32 v[10:11], v[10:11], v[2:3]
	s_branch .LBB157_4
.LBB157_2:                              ;   in Loop: Header=BB157_4 Depth=1
	s_or_b32 exec_lo, exec_lo, s22
	flat_store_d16_hi_b16 v[16:17], v12 offset:32
.LBB157_3:                              ;   in Loop: Header=BB157_4 Depth=1
	s_add_co_i32 s28, s28, 0x10000
	s_delay_alu instid0(SALU_CYCLE_1)
	s_cmp_lt_i32 s28, s3
	s_cbranch_scc0 .LBB157_58
.LBB157_4:                              ; =>This Loop Header: Depth=1
                                        ;     Child Loop BB157_6 Depth 2
	s_wait_xcnt 0x0
	v_dual_mov_b32 v2, s28 :: v_dual_mov_b32 v15, 0
	v_dual_mov_b32 v14, 0 :: v_dual_mov_b32 v13, 0
	v_mov_b32_e32 v12, 0
	s_clause 0x1
	global_load_b64 v[16:17], v2, s[12:13] scale_offset
	global_load_b64 v[18:19], v2, s[18:19] scale_offset
	s_and_not1_b32 vcc_lo, exec_lo, s26
	s_cbranch_vccnz .LBB157_7
; %bb.5:                                ;   in Loop: Header=BB157_4 Depth=1
	s_lshl_b64 s[22:23], s[28:29], 3
	v_mov_b32_e32 v12, 0
	s_add_nc_u64 s[24:25], s[10:11], s[22:23]
	s_add_nc_u64 s[22:23], s[4:5], s[22:23]
	s_clause 0x1
	global_load_b64 v[14:15], v3, s[24:25]
	global_load_b64 v[22:23], v3, s[22:23]
	s_wait_xcnt 0x0
	s_mov_b64 s[22:23], 0
	v_mov_b32_e32 v13, v12
	s_wait_loadcnt 0x1
	v_add_nc_u64_e32 v[20:21], v[14:15], v[8:9]
	s_wait_loadcnt 0x0
	v_add_nc_u64_e32 v[22:23], v[22:23], v[10:11]
	v_dual_mov_b32 v14, v12 :: v_dual_mov_b32 v15, v12
.LBB157_6:                              ;   Parent Loop BB157_4 Depth=1
                                        ; =>  This Inner Loop Header: Depth=2
	flat_load_u16 v2, v[22:23]
	flat_load_u16 v28, v[20:21]
	s_add_nc_u64 s[22:23], s[22:23], 8
	s_wait_xcnt 0x0
	v_add_nc_u64_e32 v[20:21], s[14:15], v[20:21]
	v_cmp_lt_i64_e64 s24, s[22:23], s[0:1]
	v_add_nc_u64_e32 v[22:23], 16, v[22:23]
	s_and_b32 vcc_lo, exec_lo, s24
	s_wait_loadcnt_dscnt 0x0
	v_dual_lshlrev_b32 v2, 16, v2 :: v_dual_lshlrev_b32 v28, 16, v28
	ds_store_b32 v24, v2
	ds_store_b32 v25, v28
	s_wait_dscnt 0x0
	s_barrier_signal -1
	s_barrier_wait -1
	ds_load_b128 v[28:31], v27
	ds_load_2addr_b32 v[44:45], v26 offset1:16
	ds_load_b128 v[32:35], v27 offset:512
	ds_load_2addr_b32 v[46:47], v26 offset0:32 offset1:48
	ds_load_2addr_b32 v[48:49], v26 offset0:64 offset1:80
	ds_load_b128 v[36:39], v27 offset:16
	ds_load_2addr_b32 v[50:51], v26 offset0:96 offset1:112
	ds_load_2addr_b32 v[52:53], v26 offset0:128 offset1:144
	;; [unrolled: 3-line block ×3, first 2 shown]
	s_wait_dscnt 0xa
	v_mov_b32_e32 v2, v31
	s_wait_dscnt 0x9
	v_pk_fma_f32 v[14:15], v[44:45], v[28:29], v[14:15] op_sel_hi:[1,0,1]
	s_wait_dscnt 0x8
	v_pk_fma_f32 v[12:13], v[44:45], v[32:33], v[12:13] op_sel_hi:[1,0,1]
	s_wait_dscnt 0x7
	s_delay_alu instid0(VALU_DEP_2) | instskip(NEXT) | instid1(VALU_DEP_2)
	v_pk_fma_f32 v[14:15], v[46:47], v[28:29], v[14:15] op_sel:[0,1,0]
	v_pk_fma_f32 v[12:13], v[46:47], v[32:33], v[12:13] op_sel:[0,1,0]
	v_mov_b32_e32 v28, v35
	s_wait_dscnt 0x6
	s_delay_alu instid0(VALU_DEP_3) | instskip(NEXT) | instid1(VALU_DEP_3)
	v_pk_fma_f32 v[14:15], v[48:49], v[30:31], v[14:15] op_sel_hi:[1,0,1]
	v_pk_fma_f32 v[12:13], v[48:49], v[34:35], v[12:13] op_sel_hi:[1,0,1]
	ds_load_2addr_b32 v[30:31], v26 offset0:224 offset1:240
	s_wait_dscnt 0x0
	s_barrier_signal -1
	v_pk_fma_f32 v[14:15], v[50:51], v[2:3], v[14:15] op_sel_hi:[1,0,1]
	v_pk_fma_f32 v[12:13], v[50:51], v[28:29], v[12:13] op_sel_hi:[1,0,1]
	v_dual_mov_b32 v2, v39 :: v_dual_mov_b32 v28, v43
	s_barrier_wait -1
	s_delay_alu instid0(VALU_DEP_3) | instskip(NEXT) | instid1(VALU_DEP_3)
	v_pk_fma_f32 v[14:15], v[52:53], v[36:37], v[14:15] op_sel_hi:[1,0,1]
	v_pk_fma_f32 v[12:13], v[52:53], v[40:41], v[12:13] op_sel_hi:[1,0,1]
	s_delay_alu instid0(VALU_DEP_2) | instskip(NEXT) | instid1(VALU_DEP_2)
	v_pk_fma_f32 v[14:15], v[54:55], v[36:37], v[14:15] op_sel:[0,1,0]
	v_pk_fma_f32 v[12:13], v[54:55], v[40:41], v[12:13] op_sel:[0,1,0]
	s_delay_alu instid0(VALU_DEP_2) | instskip(NEXT) | instid1(VALU_DEP_2)
	v_pk_fma_f32 v[14:15], v[56:57], v[38:39], v[14:15] op_sel_hi:[1,0,1]
	v_pk_fma_f32 v[12:13], v[56:57], v[42:43], v[12:13] op_sel_hi:[1,0,1]
	s_delay_alu instid0(VALU_DEP_2) | instskip(NEXT) | instid1(VALU_DEP_2)
	v_pk_fma_f32 v[14:15], v[30:31], v[2:3], v[14:15] op_sel_hi:[1,0,1]
	v_pk_fma_f32 v[12:13], v[30:31], v[28:29], v[12:13] op_sel_hi:[1,0,1]
	s_cbranch_vccnz .LBB157_6
.LBB157_7:                              ;   in Loop: Header=BB157_4 Depth=1
	s_wait_loadcnt 0x0
	v_add_nc_u64_e32 v[18:19], s[20:21], v[18:19]
	s_and_not1_b32 vcc_lo, exec_lo, s31
	s_cbranch_vccnz .LBB157_25
; %bb.8:                                ;   in Loop: Header=BB157_4 Depth=1
	v_mul_f32_e32 v20, s2, v14
	s_wait_xcnt 0x0
	s_delay_alu instid0(VALU_DEP_1) | instskip(NEXT) | instid1(VALU_DEP_1)
	v_and_b32_e32 v2, 0x7f800000, v20
	v_cmp_ne_u32_e32 vcc_lo, 0x7f800000, v2
                                        ; implicit-def: $vgpr2
	s_and_saveexec_b32 s22, vcc_lo
	s_delay_alu instid0(SALU_CYCLE_1)
	s_xor_b32 s22, exec_lo, s22
; %bb.9:                                ;   in Loop: Header=BB157_4 Depth=1
	v_bfe_u32 v2, v20, 16, 1
	s_delay_alu instid0(VALU_DEP_1)
	v_add3_u32 v2, v20, v2, 0x7fff
                                        ; implicit-def: $vgpr20
; %bb.10:                               ;   in Loop: Header=BB157_4 Depth=1
	s_and_not1_saveexec_b32 s22, s22
; %bb.11:                               ;   in Loop: Header=BB157_4 Depth=1
	v_and_b32_e32 v2, 0xffff, v20
	v_or_b32_e32 v21, 0x10000, v20
	s_delay_alu instid0(VALU_DEP_2) | instskip(NEXT) | instid1(VALU_DEP_2)
	v_cmp_eq_u32_e32 vcc_lo, 0, v2
	v_cndmask_b32_e32 v2, v21, v20, vcc_lo
; %bb.12:                               ;   in Loop: Header=BB157_4 Depth=1
	s_or_b32 exec_lo, exec_lo, s22
	v_mul_f32_e32 v28, s2, v15
	v_lshl_add_u64 v[20:21], v[0:1], 1, v[18:19]
	s_mov_b32 s22, exec_lo
	s_delay_alu instid0(VALU_DEP_2) | instskip(NEXT) | instid1(VALU_DEP_2)
	v_and_b32_e32 v29, 0x7f800000, v28
	v_lshl_add_u64 v[22:23], v[6:7], 1, v[20:21]
	flat_store_d16_hi_b16 v[22:23], v2
                                        ; implicit-def: $vgpr2
	s_wait_xcnt 0x0
	v_cmpx_ne_u32_e32 0x7f800000, v29
	s_xor_b32 s22, exec_lo, s22
; %bb.13:                               ;   in Loop: Header=BB157_4 Depth=1
	v_bfe_u32 v2, v28, 16, 1
	s_delay_alu instid0(VALU_DEP_1)
	v_add3_u32 v2, v28, v2, 0x7fff
                                        ; implicit-def: $vgpr28
; %bb.14:                               ;   in Loop: Header=BB157_4 Depth=1
	s_and_not1_saveexec_b32 s22, s22
; %bb.15:                               ;   in Loop: Header=BB157_4 Depth=1
	v_and_b32_e32 v2, 0xffff, v28
	v_or_b32_e32 v29, 0x10000, v28
	s_delay_alu instid0(VALU_DEP_2) | instskip(NEXT) | instid1(VALU_DEP_2)
	v_cmp_eq_u32_e32 vcc_lo, 0, v2
	v_cndmask_b32_e32 v2, v29, v28, vcc_lo
; %bb.16:                               ;   in Loop: Header=BB157_4 Depth=1
	s_or_b32 exec_lo, exec_lo, s22
	v_mul_f32_e32 v28, s2, v12
	s_mov_b32 s22, exec_lo
	flat_store_d16_hi_b16 v[22:23], v2 offset:32
                                        ; implicit-def: $vgpr2
	v_and_b32_e32 v29, 0x7f800000, v28
	s_wait_xcnt 0x0
	s_delay_alu instid0(VALU_DEP_1)
	v_cmpx_ne_u32_e32 0x7f800000, v29
	s_xor_b32 s22, exec_lo, s22
; %bb.17:                               ;   in Loop: Header=BB157_4 Depth=1
	v_bfe_u32 v2, v28, 16, 1
	s_delay_alu instid0(VALU_DEP_1)
	v_add3_u32 v2, v28, v2, 0x7fff
                                        ; implicit-def: $vgpr28
; %bb.18:                               ;   in Loop: Header=BB157_4 Depth=1
	s_and_not1_saveexec_b32 s22, s22
; %bb.19:                               ;   in Loop: Header=BB157_4 Depth=1
	v_and_b32_e32 v2, 0xffff, v28
	v_or_b32_e32 v22, 0x10000, v28
	s_delay_alu instid0(VALU_DEP_2) | instskip(NEXT) | instid1(VALU_DEP_2)
	v_cmp_eq_u32_e32 vcc_lo, 0, v2
	v_cndmask_b32_e32 v2, v22, v28, vcc_lo
; %bb.20:                               ;   in Loop: Header=BB157_4 Depth=1
	s_or_b32 exec_lo, exec_lo, s22
	v_mul_f32_e32 v22, s2, v13
	v_lshl_add_u64 v[20:21], s[6:7], 1, v[20:21]
	s_mov_b32 s22, exec_lo
	s_delay_alu instid0(VALU_DEP_2) | instskip(NEXT) | instid1(VALU_DEP_2)
	v_and_b32_e32 v23, 0x7f800000, v22
	v_lshl_add_u64 v[20:21], v[6:7], 1, v[20:21]
	flat_store_d16_hi_b16 v[20:21], v2
                                        ; implicit-def: $vgpr2
	s_wait_xcnt 0x0
	v_cmpx_ne_u32_e32 0x7f800000, v23
	s_xor_b32 s22, exec_lo, s22
; %bb.21:                               ;   in Loop: Header=BB157_4 Depth=1
	v_bfe_u32 v2, v22, 16, 1
	s_delay_alu instid0(VALU_DEP_1)
	v_add3_u32 v2, v22, v2, 0x7fff
                                        ; implicit-def: $vgpr22
; %bb.22:                               ;   in Loop: Header=BB157_4 Depth=1
	s_and_not1_saveexec_b32 s22, s22
; %bb.23:                               ;   in Loop: Header=BB157_4 Depth=1
	v_and_b32_e32 v2, 0xffff, v22
	v_or_b32_e32 v23, 0x10000, v22
	s_delay_alu instid0(VALU_DEP_2) | instskip(NEXT) | instid1(VALU_DEP_2)
	v_cmp_eq_u32_e32 vcc_lo, 0, v2
	v_cndmask_b32_e32 v2, v23, v22, vcc_lo
; %bb.24:                               ;   in Loop: Header=BB157_4 Depth=1
	s_or_b32 exec_lo, exec_lo, s22
	flat_store_d16_hi_b16 v[20:21], v2 offset:32
	s_branch .LBB157_3
.LBB157_25:                             ;   in Loop: Header=BB157_4 Depth=1
	s_cbranch_execz .LBB157_3
; %bb.26:                               ;   in Loop: Header=BB157_4 Depth=1
	v_add_nc_u64_e32 v[16:17], s[16:17], v[16:17]
	s_delay_alu instid0(VALU_DEP_1) | instskip(SKIP_1) | instid1(VALU_DEP_1)
	v_lshl_add_u64 v[16:17], v[4:5], 1, v[16:17]
	s_wait_xcnt 0x0
	v_lshl_add_u64 v[20:21], v[6:7], 1, v[16:17]
	flat_load_u16 v2, v[20:21]
	s_wait_loadcnt_dscnt 0x0
	v_lshlrev_b32_e32 v2, 16, v2
	s_delay_alu instid0(VALU_DEP_1) | instskip(NEXT) | instid1(VALU_DEP_1)
	v_mul_f32_e32 v2, s30, v2
	v_and_b32_e32 v22, 0x7f800000, v2
	s_delay_alu instid0(VALU_DEP_1) | instskip(SKIP_2) | instid1(SALU_CYCLE_1)
	v_cmp_ne_u32_e32 vcc_lo, 0x7f800000, v22
                                        ; implicit-def: $vgpr22
	s_wait_xcnt 0x0
	s_and_saveexec_b32 s22, vcc_lo
	s_xor_b32 s22, exec_lo, s22
; %bb.27:                               ;   in Loop: Header=BB157_4 Depth=1
	v_bfe_u32 v22, v2, 16, 1
	s_delay_alu instid0(VALU_DEP_1)
	v_add3_u32 v22, v2, v22, 0x7fff
                                        ; implicit-def: $vgpr2
; %bb.28:                               ;   in Loop: Header=BB157_4 Depth=1
	s_and_not1_saveexec_b32 s22, s22
; %bb.29:                               ;   in Loop: Header=BB157_4 Depth=1
	v_and_b32_e32 v22, 0xffff, v2
	v_or_b32_e32 v23, 0x10000, v2
	s_delay_alu instid0(VALU_DEP_2) | instskip(NEXT) | instid1(VALU_DEP_2)
	v_cmp_eq_u32_e32 vcc_lo, 0, v22
	v_cndmask_b32_e32 v22, v23, v2, vcc_lo
; %bb.30:                               ;   in Loop: Header=BB157_4 Depth=1
	s_or_b32 exec_lo, exec_lo, s22
	s_delay_alu instid0(VALU_DEP_1) | instskip(NEXT) | instid1(VALU_DEP_1)
	v_fma_mix_f32_bf16 v2, s2, v14, v22 op_sel:[0,0,1] op_sel_hi:[0,0,1]
	v_and_b32_e32 v14, 0x7f800000, v2
	s_delay_alu instid0(VALU_DEP_1) | instskip(SKIP_1) | instid1(SALU_CYCLE_1)
	v_cmp_ne_u32_e32 vcc_lo, 0x7f800000, v14
                                        ; implicit-def: $vgpr14
	s_and_saveexec_b32 s22, vcc_lo
	s_xor_b32 s22, exec_lo, s22
; %bb.31:                               ;   in Loop: Header=BB157_4 Depth=1
	v_bfe_u32 v14, v2, 16, 1
	s_delay_alu instid0(VALU_DEP_1)
	v_add3_u32 v14, v2, v14, 0x7fff
                                        ; implicit-def: $vgpr2
; %bb.32:                               ;   in Loop: Header=BB157_4 Depth=1
	s_and_not1_saveexec_b32 s22, s22
; %bb.33:                               ;   in Loop: Header=BB157_4 Depth=1
	v_and_b32_e32 v14, 0xffff, v2
	v_or_b32_e32 v22, 0x10000, v2
	s_delay_alu instid0(VALU_DEP_2) | instskip(NEXT) | instid1(VALU_DEP_2)
	v_cmp_eq_u32_e32 vcc_lo, 0, v14
	v_cndmask_b32_e32 v14, v22, v2, vcc_lo
; %bb.34:                               ;   in Loop: Header=BB157_4 Depth=1
	s_or_b32 exec_lo, exec_lo, s22
	v_lshl_add_u64 v[18:19], v[0:1], 1, v[18:19]
	s_delay_alu instid0(VALU_DEP_1) | instskip(SKIP_4) | instid1(VALU_DEP_1)
	v_lshl_add_u64 v[22:23], v[6:7], 1, v[18:19]
	flat_store_d16_hi_b16 v[22:23], v14
	flat_load_u16 v2, v[20:21] offset:32
	s_wait_loadcnt_dscnt 0x0
	v_lshlrev_b32_e32 v2, 16, v2
	v_mul_f32_e32 v2, s30, v2
	s_wait_xcnt 0x1
	s_delay_alu instid0(VALU_DEP_1) | instskip(NEXT) | instid1(VALU_DEP_1)
	v_and_b32_e32 v14, 0x7f800000, v2
	v_cmp_ne_u32_e32 vcc_lo, 0x7f800000, v14
                                        ; implicit-def: $vgpr14
	s_wait_xcnt 0x0
	s_and_saveexec_b32 s22, vcc_lo
	s_delay_alu instid0(SALU_CYCLE_1)
	s_xor_b32 s22, exec_lo, s22
; %bb.35:                               ;   in Loop: Header=BB157_4 Depth=1
	v_bfe_u32 v14, v2, 16, 1
	s_delay_alu instid0(VALU_DEP_1)
	v_add3_u32 v14, v2, v14, 0x7fff
                                        ; implicit-def: $vgpr2
; %bb.36:                               ;   in Loop: Header=BB157_4 Depth=1
	s_and_not1_saveexec_b32 s22, s22
; %bb.37:                               ;   in Loop: Header=BB157_4 Depth=1
	v_and_b32_e32 v14, 0xffff, v2
	v_or_b32_e32 v20, 0x10000, v2
	s_delay_alu instid0(VALU_DEP_2) | instskip(NEXT) | instid1(VALU_DEP_2)
	v_cmp_eq_u32_e32 vcc_lo, 0, v14
	v_cndmask_b32_e32 v14, v20, v2, vcc_lo
; %bb.38:                               ;   in Loop: Header=BB157_4 Depth=1
	s_or_b32 exec_lo, exec_lo, s22
	s_delay_alu instid0(VALU_DEP_1) | instskip(SKIP_1) | instid1(VALU_DEP_1)
	v_fma_mix_f32_bf16 v2, s2, v15, v14 op_sel:[0,0,1] op_sel_hi:[0,0,1]
	s_mov_b32 s22, exec_lo
                                        ; implicit-def: $vgpr20
	v_and_b32_e32 v14, 0x7f800000, v2
	s_delay_alu instid0(VALU_DEP_1)
	v_cmpx_ne_u32_e32 0x7f800000, v14
	s_xor_b32 s22, exec_lo, s22
; %bb.39:                               ;   in Loop: Header=BB157_4 Depth=1
	v_bfe_u32 v14, v2, 16, 1
	s_delay_alu instid0(VALU_DEP_1)
	v_add3_u32 v20, v2, v14, 0x7fff
                                        ; implicit-def: $vgpr2
; %bb.40:                               ;   in Loop: Header=BB157_4 Depth=1
	s_and_not1_saveexec_b32 s22, s22
; %bb.41:                               ;   in Loop: Header=BB157_4 Depth=1
	v_and_b32_e32 v14, 0xffff, v2
	v_or_b32_e32 v15, 0x10000, v2
	s_delay_alu instid0(VALU_DEP_2) | instskip(NEXT) | instid1(VALU_DEP_2)
	v_cmp_eq_u32_e32 vcc_lo, 0, v14
	v_cndmask_b32_e32 v20, v15, v2, vcc_lo
; %bb.42:                               ;   in Loop: Header=BB157_4 Depth=1
	s_or_b32 exec_lo, exec_lo, s22
	v_lshl_add_u64 v[14:15], s[8:9], 1, v[16:17]
	flat_store_d16_hi_b16 v[22:23], v20 offset:32
	v_lshl_add_u64 v[14:15], v[6:7], 1, v[14:15]
	flat_load_u16 v2, v[14:15]
	s_wait_loadcnt_dscnt 0x0
	v_lshlrev_b32_e32 v2, 16, v2
	s_delay_alu instid0(VALU_DEP_1) | instskip(NEXT) | instid1(VALU_DEP_1)
	v_mul_f32_e32 v2, s30, v2
	v_and_b32_e32 v16, 0x7f800000, v2
	s_delay_alu instid0(VALU_DEP_1) | instskip(SKIP_2) | instid1(SALU_CYCLE_1)
	v_cmp_ne_u32_e32 vcc_lo, 0x7f800000, v16
                                        ; implicit-def: $vgpr16
	s_wait_xcnt 0x0
	s_and_saveexec_b32 s22, vcc_lo
	s_xor_b32 s22, exec_lo, s22
; %bb.43:                               ;   in Loop: Header=BB157_4 Depth=1
	v_bfe_u32 v16, v2, 16, 1
	s_delay_alu instid0(VALU_DEP_1)
	v_add3_u32 v16, v2, v16, 0x7fff
                                        ; implicit-def: $vgpr2
; %bb.44:                               ;   in Loop: Header=BB157_4 Depth=1
	s_and_not1_saveexec_b32 s22, s22
; %bb.45:                               ;   in Loop: Header=BB157_4 Depth=1
	v_and_b32_e32 v16, 0xffff, v2
	v_or_b32_e32 v17, 0x10000, v2
	s_delay_alu instid0(VALU_DEP_2) | instskip(NEXT) | instid1(VALU_DEP_2)
	v_cmp_eq_u32_e32 vcc_lo, 0, v16
	v_cndmask_b32_e32 v16, v17, v2, vcc_lo
; %bb.46:                               ;   in Loop: Header=BB157_4 Depth=1
	s_or_b32 exec_lo, exec_lo, s22
	s_delay_alu instid0(VALU_DEP_1) | instskip(NEXT) | instid1(VALU_DEP_1)
	v_fma_mix_f32_bf16 v2, s2, v12, v16 op_sel:[0,0,1] op_sel_hi:[0,0,1]
	v_and_b32_e32 v12, 0x7f800000, v2
	s_delay_alu instid0(VALU_DEP_1) | instskip(SKIP_1) | instid1(SALU_CYCLE_1)
	v_cmp_ne_u32_e32 vcc_lo, 0x7f800000, v12
                                        ; implicit-def: $vgpr12
	s_and_saveexec_b32 s22, vcc_lo
	s_xor_b32 s22, exec_lo, s22
; %bb.47:                               ;   in Loop: Header=BB157_4 Depth=1
	v_bfe_u32 v12, v2, 16, 1
	s_delay_alu instid0(VALU_DEP_1)
	v_add3_u32 v12, v2, v12, 0x7fff
                                        ; implicit-def: $vgpr2
; %bb.48:                               ;   in Loop: Header=BB157_4 Depth=1
	s_and_not1_saveexec_b32 s22, s22
; %bb.49:                               ;   in Loop: Header=BB157_4 Depth=1
	v_and_b32_e32 v12, 0xffff, v2
	v_or_b32_e32 v16, 0x10000, v2
	s_delay_alu instid0(VALU_DEP_2) | instskip(NEXT) | instid1(VALU_DEP_2)
	v_cmp_eq_u32_e32 vcc_lo, 0, v12
	v_cndmask_b32_e32 v12, v16, v2, vcc_lo
; %bb.50:                               ;   in Loop: Header=BB157_4 Depth=1
	s_or_b32 exec_lo, exec_lo, s22
	v_lshl_add_u64 v[16:17], s[6:7], 1, v[18:19]
	s_delay_alu instid0(VALU_DEP_1) | instskip(SKIP_4) | instid1(VALU_DEP_1)
	v_lshl_add_u64 v[16:17], v[6:7], 1, v[16:17]
	flat_store_d16_hi_b16 v[16:17], v12
	flat_load_u16 v2, v[14:15] offset:32
	s_wait_loadcnt_dscnt 0x0
	v_lshlrev_b32_e32 v2, 16, v2
	v_mul_f32_e32 v2, s30, v2
	s_wait_xcnt 0x1
	s_delay_alu instid0(VALU_DEP_1) | instskip(NEXT) | instid1(VALU_DEP_1)
	v_and_b32_e32 v12, 0x7f800000, v2
	v_cmp_ne_u32_e32 vcc_lo, 0x7f800000, v12
                                        ; implicit-def: $vgpr12
	s_wait_xcnt 0x0
	s_and_saveexec_b32 s22, vcc_lo
	s_delay_alu instid0(SALU_CYCLE_1)
	s_xor_b32 s22, exec_lo, s22
; %bb.51:                               ;   in Loop: Header=BB157_4 Depth=1
	v_bfe_u32 v12, v2, 16, 1
	s_delay_alu instid0(VALU_DEP_1)
	v_add3_u32 v12, v2, v12, 0x7fff
                                        ; implicit-def: $vgpr2
; %bb.52:                               ;   in Loop: Header=BB157_4 Depth=1
	s_and_not1_saveexec_b32 s22, s22
; %bb.53:                               ;   in Loop: Header=BB157_4 Depth=1
	v_and_b32_e32 v12, 0xffff, v2
	v_or_b32_e32 v14, 0x10000, v2
	s_delay_alu instid0(VALU_DEP_2) | instskip(NEXT) | instid1(VALU_DEP_2)
	v_cmp_eq_u32_e32 vcc_lo, 0, v12
	v_cndmask_b32_e32 v12, v14, v2, vcc_lo
; %bb.54:                               ;   in Loop: Header=BB157_4 Depth=1
	s_or_b32 exec_lo, exec_lo, s22
	s_delay_alu instid0(VALU_DEP_1) | instskip(NEXT) | instid1(VALU_DEP_1)
	v_fma_mix_f32_bf16 v2, s2, v13, v12 op_sel:[0,0,1] op_sel_hi:[0,0,1]
	v_and_b32_e32 v12, 0x7f800000, v2
	s_delay_alu instid0(VALU_DEP_1) | instskip(SKIP_1) | instid1(SALU_CYCLE_1)
	v_cmp_ne_u32_e32 vcc_lo, 0x7f800000, v12
                                        ; implicit-def: $vgpr12
	s_and_saveexec_b32 s22, vcc_lo
	s_xor_b32 s22, exec_lo, s22
; %bb.55:                               ;   in Loop: Header=BB157_4 Depth=1
	v_bfe_u32 v12, v2, 16, 1
	s_delay_alu instid0(VALU_DEP_1)
	v_add3_u32 v12, v2, v12, 0x7fff
                                        ; implicit-def: $vgpr2
; %bb.56:                               ;   in Loop: Header=BB157_4 Depth=1
	s_and_not1_saveexec_b32 s22, s22
	s_cbranch_execz .LBB157_2
; %bb.57:                               ;   in Loop: Header=BB157_4 Depth=1
	v_and_b32_e32 v12, 0xffff, v2
	v_or_b32_e32 v13, 0x10000, v2
	s_delay_alu instid0(VALU_DEP_2) | instskip(NEXT) | instid1(VALU_DEP_2)
	v_cmp_eq_u32_e32 vcc_lo, 0, v12
	v_cndmask_b32_e32 v12, v13, v2, vcc_lo
	s_branch .LBB157_2
.LBB157_58:
	s_endpgm
	.section	.rodata,"a",@progbits
	.p2align	6, 0x0
	.amdhsa_kernel _ZN12_GLOBAL__N_127rocblas_gemm_batched_kernelIfLi16ELi16ELi32ELi32ELi8ELi32ELi8ELi8ELi32ELc84ELc67EKPK16rocblas_bfloat16S4_KPS1_EEvlllT_PT11_llS9_llS7_PT12_llPT13_lli
		.amdhsa_group_segment_fixed_size 2048
		.amdhsa_private_segment_fixed_size 0
		.amdhsa_kernarg_size 140
		.amdhsa_user_sgpr_count 2
		.amdhsa_user_sgpr_dispatch_ptr 0
		.amdhsa_user_sgpr_queue_ptr 0
		.amdhsa_user_sgpr_kernarg_segment_ptr 1
		.amdhsa_user_sgpr_dispatch_id 0
		.amdhsa_user_sgpr_kernarg_preload_length 0
		.amdhsa_user_sgpr_kernarg_preload_offset 0
		.amdhsa_user_sgpr_private_segment_size 0
		.amdhsa_wavefront_size32 1
		.amdhsa_uses_dynamic_stack 0
		.amdhsa_enable_private_segment 0
		.amdhsa_system_sgpr_workgroup_id_x 1
		.amdhsa_system_sgpr_workgroup_id_y 1
		.amdhsa_system_sgpr_workgroup_id_z 1
		.amdhsa_system_sgpr_workgroup_info 0
		.amdhsa_system_vgpr_workitem_id 1
		.amdhsa_next_free_vgpr 58
		.amdhsa_next_free_sgpr 36
		.amdhsa_named_barrier_count 0
		.amdhsa_reserve_vcc 1
		.amdhsa_float_round_mode_32 0
		.amdhsa_float_round_mode_16_64 0
		.amdhsa_float_denorm_mode_32 3
		.amdhsa_float_denorm_mode_16_64 3
		.amdhsa_fp16_overflow 0
		.amdhsa_memory_ordered 1
		.amdhsa_forward_progress 1
		.amdhsa_inst_pref_size 20
		.amdhsa_round_robin_scheduling 0
		.amdhsa_exception_fp_ieee_invalid_op 0
		.amdhsa_exception_fp_denorm_src 0
		.amdhsa_exception_fp_ieee_div_zero 0
		.amdhsa_exception_fp_ieee_overflow 0
		.amdhsa_exception_fp_ieee_underflow 0
		.amdhsa_exception_fp_ieee_inexact 0
		.amdhsa_exception_int_div_zero 0
	.end_amdhsa_kernel
	.section	.text._ZN12_GLOBAL__N_127rocblas_gemm_batched_kernelIfLi16ELi16ELi32ELi32ELi8ELi32ELi8ELi8ELi32ELc84ELc67EKPK16rocblas_bfloat16S4_KPS1_EEvlllT_PT11_llS9_llS7_PT12_llPT13_lli,"axG",@progbits,_ZN12_GLOBAL__N_127rocblas_gemm_batched_kernelIfLi16ELi16ELi32ELi32ELi8ELi32ELi8ELi8ELi32ELc84ELc67EKPK16rocblas_bfloat16S4_KPS1_EEvlllT_PT11_llS9_llS7_PT12_llPT13_lli,comdat
.Lfunc_end157:
	.size	_ZN12_GLOBAL__N_127rocblas_gemm_batched_kernelIfLi16ELi16ELi32ELi32ELi8ELi32ELi8ELi8ELi32ELc84ELc67EKPK16rocblas_bfloat16S4_KPS1_EEvlllT_PT11_llS9_llS7_PT12_llPT13_lli, .Lfunc_end157-_ZN12_GLOBAL__N_127rocblas_gemm_batched_kernelIfLi16ELi16ELi32ELi32ELi8ELi32ELi8ELi8ELi32ELc84ELc67EKPK16rocblas_bfloat16S4_KPS1_EEvlllT_PT11_llS9_llS7_PT12_llPT13_lli
                                        ; -- End function
	.set _ZN12_GLOBAL__N_127rocblas_gemm_batched_kernelIfLi16ELi16ELi32ELi32ELi8ELi32ELi8ELi8ELi32ELc84ELc67EKPK16rocblas_bfloat16S4_KPS1_EEvlllT_PT11_llS9_llS7_PT12_llPT13_lli.num_vgpr, 58
	.set _ZN12_GLOBAL__N_127rocblas_gemm_batched_kernelIfLi16ELi16ELi32ELi32ELi8ELi32ELi8ELi8ELi32ELc84ELc67EKPK16rocblas_bfloat16S4_KPS1_EEvlllT_PT11_llS9_llS7_PT12_llPT13_lli.num_agpr, 0
	.set _ZN12_GLOBAL__N_127rocblas_gemm_batched_kernelIfLi16ELi16ELi32ELi32ELi8ELi32ELi8ELi8ELi32ELc84ELc67EKPK16rocblas_bfloat16S4_KPS1_EEvlllT_PT11_llS9_llS7_PT12_llPT13_lli.numbered_sgpr, 36
	.set _ZN12_GLOBAL__N_127rocblas_gemm_batched_kernelIfLi16ELi16ELi32ELi32ELi8ELi32ELi8ELi8ELi32ELc84ELc67EKPK16rocblas_bfloat16S4_KPS1_EEvlllT_PT11_llS9_llS7_PT12_llPT13_lli.num_named_barrier, 0
	.set _ZN12_GLOBAL__N_127rocblas_gemm_batched_kernelIfLi16ELi16ELi32ELi32ELi8ELi32ELi8ELi8ELi32ELc84ELc67EKPK16rocblas_bfloat16S4_KPS1_EEvlllT_PT11_llS9_llS7_PT12_llPT13_lli.private_seg_size, 0
	.set _ZN12_GLOBAL__N_127rocblas_gemm_batched_kernelIfLi16ELi16ELi32ELi32ELi8ELi32ELi8ELi8ELi32ELc84ELc67EKPK16rocblas_bfloat16S4_KPS1_EEvlllT_PT11_llS9_llS7_PT12_llPT13_lli.uses_vcc, 1
	.set _ZN12_GLOBAL__N_127rocblas_gemm_batched_kernelIfLi16ELi16ELi32ELi32ELi8ELi32ELi8ELi8ELi32ELc84ELc67EKPK16rocblas_bfloat16S4_KPS1_EEvlllT_PT11_llS9_llS7_PT12_llPT13_lli.uses_flat_scratch, 0
	.set _ZN12_GLOBAL__N_127rocblas_gemm_batched_kernelIfLi16ELi16ELi32ELi32ELi8ELi32ELi8ELi8ELi32ELc84ELc67EKPK16rocblas_bfloat16S4_KPS1_EEvlllT_PT11_llS9_llS7_PT12_llPT13_lli.has_dyn_sized_stack, 0
	.set _ZN12_GLOBAL__N_127rocblas_gemm_batched_kernelIfLi16ELi16ELi32ELi32ELi8ELi32ELi8ELi8ELi32ELc84ELc67EKPK16rocblas_bfloat16S4_KPS1_EEvlllT_PT11_llS9_llS7_PT12_llPT13_lli.has_recursion, 0
	.set _ZN12_GLOBAL__N_127rocblas_gemm_batched_kernelIfLi16ELi16ELi32ELi32ELi8ELi32ELi8ELi8ELi32ELc84ELc67EKPK16rocblas_bfloat16S4_KPS1_EEvlllT_PT11_llS9_llS7_PT12_llPT13_lli.has_indirect_call, 0
	.section	.AMDGPU.csdata,"",@progbits
; Kernel info:
; codeLenInByte = 2540
; TotalNumSgprs: 38
; NumVgprs: 58
; ScratchSize: 0
; MemoryBound: 0
; FloatMode: 240
; IeeeMode: 1
; LDSByteSize: 2048 bytes/workgroup (compile time only)
; SGPRBlocks: 0
; VGPRBlocks: 3
; NumSGPRsForWavesPerEU: 38
; NumVGPRsForWavesPerEU: 58
; NamedBarCnt: 0
; Occupancy: 16
; WaveLimiterHint : 1
; COMPUTE_PGM_RSRC2:SCRATCH_EN: 0
; COMPUTE_PGM_RSRC2:USER_SGPR: 2
; COMPUTE_PGM_RSRC2:TRAP_HANDLER: 0
; COMPUTE_PGM_RSRC2:TGID_X_EN: 1
; COMPUTE_PGM_RSRC2:TGID_Y_EN: 1
; COMPUTE_PGM_RSRC2:TGID_Z_EN: 1
; COMPUTE_PGM_RSRC2:TIDIG_COMP_CNT: 1
	.section	.text._ZN12_GLOBAL__N_135rocblas_gemm_batched_general_kernelIfLi16ELi16ELi32ELi32ELi8ELi32ELi8ELi8ELi32ELc78ELc78EKPK16rocblas_bfloat16S4_KPS1_EEvlllT_PT11_llS9_llS7_PT12_llPT13_lli,"axG",@progbits,_ZN12_GLOBAL__N_135rocblas_gemm_batched_general_kernelIfLi16ELi16ELi32ELi32ELi8ELi32ELi8ELi8ELi32ELc78ELc78EKPK16rocblas_bfloat16S4_KPS1_EEvlllT_PT11_llS9_llS7_PT12_llPT13_lli,comdat
	.globl	_ZN12_GLOBAL__N_135rocblas_gemm_batched_general_kernelIfLi16ELi16ELi32ELi32ELi8ELi32ELi8ELi8ELi32ELc78ELc78EKPK16rocblas_bfloat16S4_KPS1_EEvlllT_PT11_llS9_llS7_PT12_llPT13_lli ; -- Begin function _ZN12_GLOBAL__N_135rocblas_gemm_batched_general_kernelIfLi16ELi16ELi32ELi32ELi8ELi32ELi8ELi8ELi32ELc78ELc78EKPK16rocblas_bfloat16S4_KPS1_EEvlllT_PT11_llS9_llS7_PT12_llPT13_lli
	.p2align	8
	.type	_ZN12_GLOBAL__N_135rocblas_gemm_batched_general_kernelIfLi16ELi16ELi32ELi32ELi8ELi32ELi8ELi8ELi32ELc78ELc78EKPK16rocblas_bfloat16S4_KPS1_EEvlllT_PT11_llS9_llS7_PT12_llPT13_lli,@function
_ZN12_GLOBAL__N_135rocblas_gemm_batched_general_kernelIfLi16ELi16ELi32ELi32ELi8ELi32ELi8ELi8ELi32ELc78ELc78EKPK16rocblas_bfloat16S4_KPS1_EEvlllT_PT11_llS9_llS7_PT12_llPT13_lli: ; @_ZN12_GLOBAL__N_135rocblas_gemm_batched_general_kernelIfLi16ELi16ELi32ELi32ELi8ELi32ELi8ELi8ELi32ELc78ELc78EKPK16rocblas_bfloat16S4_KPS1_EEvlllT_PT11_llS9_llS7_PT12_llPT13_lli
; %bb.0:
	s_load_b32 s33, s[0:1], 0x88
	s_bfe_u32 s2, ttmp6, 0x40014
	s_lshr_b32 s3, ttmp7, 16
	s_add_co_i32 s2, s2, 1
	s_bfe_u32 s5, ttmp6, 0x40008
	s_mul_i32 s4, s3, s2
	s_getreg_b32 s2, hwreg(HW_REG_IB_STS2, 6, 4)
	s_add_co_i32 s5, s5, s4
	s_cmp_eq_u32 s2, 0
	s_mov_b32 s35, 0
	s_cselect_b32 s34, s3, s5
	s_wait_kmcnt 0x0
	s_cmp_ge_i32 s34, s33
	s_cbranch_scc1 .LBB158_74
; %bb.1:
	v_bfe_u32 v10, v0, 10, 10
	v_and_b32_e32 v12, 0x3ff, v0
	s_clause 0x1
	s_load_b256 s[8:15], s[0:1], 0x20
	s_load_b128 s[4:7], s[0:1], 0x40
	s_bfe_u32 s16, ttmp6, 0x4000c
	s_bfe_u32 s17, ttmp6, 0x40010
	s_add_co_i32 s16, s16, 1
	s_and_b32 s18, ttmp7, 0xffff
	s_add_co_i32 s17, s17, 1
	v_lshl_add_u32 v1, v10, 4, v12
	v_mov_b32_e32 v3, 0
	s_and_b32 s3, ttmp6, 15
	s_mul_i32 s16, ttmp9, s16
	s_mul_i32 s17, s18, s17
	s_bfe_u32 s19, ttmp6, 0x40004
	s_add_co_i32 s3, s3, s16
	s_add_co_i32 s19, s19, s17
	s_cmp_eq_u32 s2, 0
	v_dual_mov_b32 v7, v3 :: v_dual_lshrrev_b32 v6, 3, v1
	v_mov_b32_e32 v11, v3
	s_cselect_b32 s2, s18, s19
	s_cselect_b32 s42, ttmp9, s3
	s_lshl_b32 s2, s2, 5
	s_mov_b32 s3, s35
	s_clause 0x4
	s_load_b128 s[28:31], s[0:1], 0x0
	s_load_b96 s[36:38], s[0:1], 0x10
	s_load_b32 s39, s[0:1], 0x50
	s_load_b128 s[24:27], s[0:1], 0x78
	s_load_b256 s[16:23], s[0:1], 0x58
	v_add_nc_u64_e32 v[8:9], s[2:3], v[6:7]
	v_dual_lshrrev_b32 v2, 5, v1 :: v_dual_bitop2_b32 v22, 31, v1 bitop3:0x40
	v_dual_mov_b32 v13, v3 :: v_dual_bitop2_b32 v0, 7, v0 bitop3:0x40
	s_ashr_i32 s43, s42, 31
	s_wait_kmcnt 0x0
	s_delay_alu instid0(VALU_DEP_2) | instskip(NEXT) | instid1(VALU_DEP_4)
	v_mul_u64_e32 v[16:17], s[10:11], v[2:3]
	v_mul_u64_e32 v[14:15], s[4:5], v[8:9]
	s_lshl_b64 s[4:5], s[42:43], 5
	v_add_nc_u64_e32 v[18:19], s[2:3], v[10:11]
	v_dual_mov_b32 v5, s5 :: v_dual_bitop2_b32 v4, s4, v22 bitop3:0x54
	v_dual_mov_b32 v1, v3 :: v_dual_lshlrev_b32 v7, 2, v22
	v_lshlrev_b32_e32 v11, 2, v0
	v_cmp_gt_i64_e64 s1, s[30:31], v[8:9]
	s_delay_alu instid0(VALU_DEP_4)
	v_cmp_gt_i64_e64 s0, s[28:29], v[4:5]
	s_cmp_eq_f32 s39, 0
	v_add_nc_u64_e32 v[4:5], s[4:5], v[12:13]
	v_lshl_or_b32 v26, v2, 7, v7
	v_mul_u64_e32 v[8:9], s[18:19], v[18:19]
	s_cselect_b32 s40, -1, 0
	s_lshl_b64 s[6:7], s[6:7], 1
	v_lshlrev_b32_e32 v28, 2, v12
	s_lshl_b64 s[12:13], s[12:13], 1
	v_add_nc_u64_e32 v[20:21], 16, v[4:5]
	v_lshl_add_u32 v29, v10, 5, 0x400
	v_cmp_gt_i64_e64 s2, s[30:31], v[18:19]
	v_cmp_gt_i64_e64 s3, s[28:29], v[4:5]
	s_lshl_b64 s[10:11], s[10:11], 4
	s_lshl_b64 s[20:21], s[20:21], 1
	v_cmp_gt_i64_e64 s4, s[28:29], v[20:21]
	v_cmp_gt_i64_e64 s28, s[36:37], 0
	v_lshl_add_u64 v[12:13], v[14:15], 1, s[6:7]
	v_lshlrev_b32_e32 v14, 1, v0
	v_lshl_or_b32 v11, v6, 5, v11
	v_mul_u64_e32 v[6:7], s[24:25], v[18:19]
	s_lshl_b64 s[6:7], s[42:43], 6
	v_mov_b32_e32 v15, v3
	s_add_nc_u64 s[6:7], s[12:13], s[6:7]
	v_add_nc_u32_e32 v27, 0x400, v11
	v_add_nc_u64_e32 v[10:11], 16, v[18:19]
	v_lshl_add_u64 v[16:17], v[16:17], 1, s[6:7]
	v_dual_mov_b32 v19, v3 :: v_dual_lshlrev_b32 v18, 1, v22
	s_lshl_b64 s[6:7], s[24:25], 4
	s_lshl_b64 s[12:13], s[18:19], 4
	;; [unrolled: 1-line block ×3, first 2 shown]
	s_delay_alu instid0(VALU_DEP_3)
	v_cmp_gt_i64_e64 s5, s[30:31], v[10:11]
	v_add_nc_u64_e32 v[10:11], v[12:13], v[14:15]
	v_add_nc_u64_e32 v[12:13], v[16:17], v[18:19]
	s_branch .LBB158_5
.LBB158_2:                              ;   in Loop: Header=BB158_5 Depth=1
	s_or_b32 exec_lo, exec_lo, s25
	flat_store_d16_hi_b16 v[16:17], v15 offset:32
.LBB158_3:                              ;   in Loop: Header=BB158_5 Depth=1
	s_wait_xcnt 0x0
	s_or_b32 exec_lo, exec_lo, s24
.LBB158_4:                              ;   in Loop: Header=BB158_5 Depth=1
	s_add_co_i32 s34, s34, 0x10000
	s_delay_alu instid0(SALU_CYCLE_1)
	s_cmp_lt_i32 s34, s33
	s_cbranch_scc0 .LBB158_74
.LBB158_5:                              ; =>This Loop Header: Depth=1
                                        ;     Child Loop BB158_8 Depth 2
	v_dual_mov_b32 v14, s34 :: v_dual_mov_b32 v17, 0
	v_dual_mov_b32 v16, 0 :: v_dual_mov_b32 v15, 0
	s_and_not1_b32 vcc_lo, exec_lo, s28
	s_clause 0x1
	global_load_b64 v[18:19], v14, s[16:17] scale_offset
	global_load_b64 v[20:21], v14, s[22:23] scale_offset
	s_wait_xcnt 0x0
	v_mov_b32_e32 v14, 0
	s_cbranch_vccnz .LBB158_12
; %bb.6:                                ;   in Loop: Header=BB158_5 Depth=1
	s_lshl_b64 s[24:25], s[34:35], 3
	v_mov_b32_e32 v16, 0
	s_add_nc_u64 s[26:27], s[14:15], s[24:25]
	s_add_nc_u64 s[24:25], s[8:9], s[24:25]
	s_clause 0x1
	global_load_b64 v[14:15], v3, s[26:27]
	global_load_b64 v[24:25], v3, s[24:25]
	s_wait_xcnt 0x0
	s_mov_b64 s[24:25], 0
	v_mov_b32_e32 v17, v16
	s_wait_loadcnt 0x1
	v_add_nc_u64_e32 v[22:23], v[14:15], v[10:11]
	s_wait_loadcnt 0x0
	v_add_nc_u64_e32 v[24:25], v[24:25], v[12:13]
	v_dual_mov_b32 v14, v16 :: v_dual_mov_b32 v15, v16
	s_branch .LBB158_8
.LBB158_7:                              ;   in Loop: Header=BB158_8 Depth=2
	s_wait_xcnt 0x0
	s_or_b32 exec_lo, exec_lo, s26
	ds_store_b32 v27, v31
	s_wait_dscnt 0x0
	s_barrier_signal -1
	s_barrier_wait -1
	ds_load_b128 v[30:33], v29
	ds_load_2addr_b32 v[46:47], v28 offset1:16
	ds_load_b128 v[34:37], v29 offset:512
	ds_load_2addr_b32 v[48:49], v28 offset0:32 offset1:48
	ds_load_2addr_b32 v[50:51], v28 offset0:64 offset1:80
	;; [unrolled: 1-line block ×3, first 2 shown]
	ds_load_b128 v[38:41], v29 offset:16
	ds_load_2addr_b32 v[54:55], v28 offset0:128 offset1:144
	ds_load_b128 v[42:45], v29 offset:528
	s_add_nc_u64 s[24:25], s[24:25], 8
	v_add_nc_u64_e32 v[22:23], 16, v[22:23]
	v_cmp_lt_i64_e64 s26, s[24:25], s[36:37]
	v_add_nc_u64_e32 v[24:25], s[10:11], v[24:25]
	s_and_b32 vcc_lo, exec_lo, s26
	s_wait_dscnt 0x7
	v_pk_fma_f32 v[16:17], v[46:47], v[30:31], v[16:17] op_sel_hi:[1,0,1]
	s_wait_dscnt 0x6
	v_pk_fma_f32 v[14:15], v[46:47], v[34:35], v[14:15] op_sel_hi:[1,0,1]
	ds_load_2addr_b32 v[46:47], v28 offset0:160 offset1:176
	s_wait_dscnt 0x6
	v_pk_fma_f32 v[16:17], v[48:49], v[30:31], v[16:17] op_sel:[0,1,0]
	v_pk_fma_f32 v[14:15], v[48:49], v[34:35], v[14:15] op_sel:[0,1,0]
	ds_load_2addr_b32 v[30:31], v28 offset0:192 offset1:208
	v_dual_mov_b32 v34, v33 :: v_dual_mov_b32 v48, v37
	s_wait_dscnt 0x6
	v_pk_fma_f32 v[16:17], v[50:51], v[32:33], v[16:17] op_sel_hi:[1,0,1]
	v_pk_fma_f32 v[14:15], v[50:51], v[36:37], v[14:15] op_sel_hi:[1,0,1]
	ds_load_2addr_b32 v[32:33], v28 offset0:224 offset1:240
	s_wait_dscnt 0x3
	v_mov_b32_e32 v36, v45
	s_wait_dscnt 0x0
	v_pk_fma_f32 v[16:17], v[52:53], v[34:35], v[16:17] op_sel_hi:[1,0,1]
	v_pk_fma_f32 v[14:15], v[52:53], v[48:49], v[14:15] op_sel_hi:[1,0,1]
	v_mov_b32_e32 v34, v41
	s_barrier_signal -1
	s_barrier_wait -1
	v_pk_fma_f32 v[16:17], v[54:55], v[38:39], v[16:17] op_sel_hi:[1,0,1]
	v_pk_fma_f32 v[14:15], v[54:55], v[42:43], v[14:15] op_sel_hi:[1,0,1]
	s_delay_alu instid0(VALU_DEP_2) | instskip(NEXT) | instid1(VALU_DEP_2)
	v_pk_fma_f32 v[16:17], v[46:47], v[38:39], v[16:17] op_sel:[0,1,0]
	v_pk_fma_f32 v[14:15], v[46:47], v[42:43], v[14:15] op_sel:[0,1,0]
	s_delay_alu instid0(VALU_DEP_2) | instskip(NEXT) | instid1(VALU_DEP_2)
	v_pk_fma_f32 v[16:17], v[30:31], v[40:41], v[16:17] op_sel_hi:[1,0,1]
	v_pk_fma_f32 v[14:15], v[30:31], v[44:45], v[14:15] op_sel_hi:[1,0,1]
	s_delay_alu instid0(VALU_DEP_2) | instskip(NEXT) | instid1(VALU_DEP_2)
	v_pk_fma_f32 v[16:17], v[32:33], v[34:35], v[16:17] op_sel_hi:[1,0,1]
	v_pk_fma_f32 v[14:15], v[32:33], v[36:37], v[14:15] op_sel_hi:[1,0,1]
	s_cbranch_vccz .LBB158_12
.LBB158_8:                              ;   Parent Loop BB158_5 Depth=1
                                        ; =>  This Inner Loop Header: Depth=2
	v_add_nc_u64_e32 v[30:31], s[24:25], v[2:3]
	s_delay_alu instid0(VALU_DEP_1) | instskip(SKIP_2) | instid1(SALU_CYCLE_1)
	v_cmp_gt_i64_e32 vcc_lo, s[36:37], v[30:31]
	v_mov_b32_e32 v30, 0
	s_and_b32 s27, s0, vcc_lo
	s_and_saveexec_b32 s26, s27
	s_cbranch_execz .LBB158_10
; %bb.9:                                ;   in Loop: Header=BB158_8 Depth=2
	flat_load_u16 v30, v[24:25]
	s_wait_loadcnt_dscnt 0x0
	v_lshlrev_b32_e32 v30, 16, v30
.LBB158_10:                             ;   in Loop: Header=BB158_8 Depth=2
	s_wait_xcnt 0x0
	s_or_b32 exec_lo, exec_lo, s26
	v_add_nc_u64_e32 v[32:33], s[24:25], v[0:1]
	v_mov_b32_e32 v31, 0
	ds_store_b32 v26, v30
	v_cmp_gt_i64_e32 vcc_lo, s[36:37], v[32:33]
	s_and_b32 s27, vcc_lo, s1
	s_delay_alu instid0(SALU_CYCLE_1)
	s_and_saveexec_b32 s26, s27
	s_cbranch_execz .LBB158_7
; %bb.11:                               ;   in Loop: Header=BB158_8 Depth=2
	flat_load_u16 v30, v[22:23]
	s_wait_loadcnt_dscnt 0x0
	v_lshlrev_b32_e32 v31, 16, v30
	s_branch .LBB158_7
.LBB158_12:                             ;   in Loop: Header=BB158_5 Depth=1
	s_wait_loadcnt 0x0
	v_add_nc_u64_e32 v[20:21], s[18:19], v[20:21]
	s_and_not1_b32 vcc_lo, exec_lo, s40
	s_cbranch_vccnz .LBB158_17
; %bb.13:                               ;   in Loop: Header=BB158_5 Depth=1
	s_and_saveexec_b32 s24, s2
	s_cbranch_execz .LBB158_32
; %bb.14:                               ;   in Loop: Header=BB158_5 Depth=1
	s_delay_alu instid0(VALU_DEP_1)
	v_lshl_add_u64 v[22:23], v[6:7], 1, v[20:21]
	s_and_saveexec_b32 s25, s3
	s_cbranch_execnz .LBB158_18
; %bb.15:                               ;   in Loop: Header=BB158_5 Depth=1
	s_or_b32 exec_lo, exec_lo, s25
	s_and_saveexec_b32 s25, s4
	s_cbranch_execnz .LBB158_23
.LBB158_16:                             ;   in Loop: Header=BB158_5 Depth=1
	s_or_b32 exec_lo, exec_lo, s25
	s_delay_alu instid0(SALU_CYCLE_1)
	s_and_b32 exec_lo, exec_lo, s5
	s_cbranch_execnz .LBB158_28
	s_branch .LBB158_32
.LBB158_17:                             ;   in Loop: Header=BB158_5 Depth=1
	s_branch .LBB158_33
.LBB158_18:                             ;   in Loop: Header=BB158_5 Depth=1
	v_mul_f32_e32 v24, s38, v16
	s_delay_alu instid0(VALU_DEP_1) | instskip(NEXT) | instid1(VALU_DEP_1)
	v_and_b32_e32 v25, 0x7f800000, v24
	v_cmp_ne_u32_e32 vcc_lo, 0x7f800000, v25
                                        ; implicit-def: $vgpr25
	s_and_saveexec_b32 s26, vcc_lo
	s_delay_alu instid0(SALU_CYCLE_1)
	s_xor_b32 s26, exec_lo, s26
; %bb.19:                               ;   in Loop: Header=BB158_5 Depth=1
	v_bfe_u32 v25, v24, 16, 1
	s_delay_alu instid0(VALU_DEP_1)
	v_add3_u32 v25, v24, v25, 0x7fff
                                        ; implicit-def: $vgpr24
; %bb.20:                               ;   in Loop: Header=BB158_5 Depth=1
	s_and_not1_saveexec_b32 s26, s26
; %bb.21:                               ;   in Loop: Header=BB158_5 Depth=1
	v_and_b32_e32 v25, 0xffff, v24
	v_or_b32_e32 v30, 0x10000, v24
	s_delay_alu instid0(VALU_DEP_2) | instskip(NEXT) | instid1(VALU_DEP_2)
	v_cmp_eq_u32_e32 vcc_lo, 0, v25
	v_cndmask_b32_e32 v25, v30, v24, vcc_lo
; %bb.22:                               ;   in Loop: Header=BB158_5 Depth=1
	s_or_b32 exec_lo, exec_lo, s26
	v_lshl_add_u64 v[30:31], v[4:5], 1, v[22:23]
	flat_store_d16_hi_b16 v[30:31], v25
	s_wait_xcnt 0x0
	s_or_b32 exec_lo, exec_lo, s25
	s_and_saveexec_b32 s25, s4
	s_cbranch_execz .LBB158_16
.LBB158_23:                             ;   in Loop: Header=BB158_5 Depth=1
	v_mul_f32_e32 v24, s38, v17
	s_delay_alu instid0(VALU_DEP_1) | instskip(NEXT) | instid1(VALU_DEP_1)
	v_and_b32_e32 v25, 0x7f800000, v24
	v_cmp_ne_u32_e32 vcc_lo, 0x7f800000, v25
                                        ; implicit-def: $vgpr25
	s_and_saveexec_b32 s26, vcc_lo
	s_delay_alu instid0(SALU_CYCLE_1)
	s_xor_b32 s26, exec_lo, s26
; %bb.24:                               ;   in Loop: Header=BB158_5 Depth=1
	v_bfe_u32 v25, v24, 16, 1
	s_delay_alu instid0(VALU_DEP_1)
	v_add3_u32 v25, v24, v25, 0x7fff
                                        ; implicit-def: $vgpr24
; %bb.25:                               ;   in Loop: Header=BB158_5 Depth=1
	s_and_not1_saveexec_b32 s26, s26
; %bb.26:                               ;   in Loop: Header=BB158_5 Depth=1
	v_and_b32_e32 v25, 0xffff, v24
	v_or_b32_e32 v30, 0x10000, v24
	s_delay_alu instid0(VALU_DEP_2) | instskip(NEXT) | instid1(VALU_DEP_2)
	v_cmp_eq_u32_e32 vcc_lo, 0, v25
	v_cndmask_b32_e32 v25, v30, v24, vcc_lo
; %bb.27:                               ;   in Loop: Header=BB158_5 Depth=1
	s_or_b32 exec_lo, exec_lo, s26
	v_lshl_add_u64 v[30:31], v[4:5], 1, v[22:23]
	flat_store_d16_hi_b16 v[30:31], v25 offset:32
	s_wait_xcnt 0x0
	s_or_b32 exec_lo, exec_lo, s25
	s_delay_alu instid0(SALU_CYCLE_1)
	s_and_b32 exec_lo, exec_lo, s5
	s_cbranch_execz .LBB158_32
.LBB158_28:                             ;   in Loop: Header=BB158_5 Depth=1
	v_lshl_add_u64 v[22:23], s[6:7], 1, v[22:23]
	s_delay_alu instid0(VALU_DEP_1)
	v_lshl_add_u64 v[22:23], v[4:5], 1, v[22:23]
	s_and_saveexec_b32 s25, s3
	s_cbranch_execz .LBB158_30
; %bb.29:                               ;   in Loop: Header=BB158_5 Depth=1
	v_mul_f32_e32 v24, s38, v14
	s_delay_alu instid0(VALU_DEP_1) | instskip(SKIP_3) | instid1(VALU_DEP_4)
	v_and_b32_e32 v30, 0xffff, v24
	v_bfe_u32 v25, v24, 16, 1
	v_or_b32_e32 v31, 0x10000, v24
	v_and_b32_e32 v32, 0x7f800000, v24
	v_cmp_eq_u32_e32 vcc_lo, 0, v30
	s_delay_alu instid0(VALU_DEP_4) | instskip(NEXT) | instid1(VALU_DEP_4)
	v_add3_u32 v25, v24, v25, 0x7fff
	v_cndmask_b32_e32 v24, v31, v24, vcc_lo
	s_delay_alu instid0(VALU_DEP_4) | instskip(NEXT) | instid1(VALU_DEP_2)
	v_cmp_eq_u32_e32 vcc_lo, 0x7f800000, v32
	v_cndmask_b32_e32 v24, v25, v24, vcc_lo
	flat_store_d16_hi_b16 v[22:23], v24
.LBB158_30:                             ;   in Loop: Header=BB158_5 Depth=1
	s_wait_xcnt 0x0
	s_or_b32 exec_lo, exec_lo, s25
	s_delay_alu instid0(SALU_CYCLE_1)
	s_and_b32 exec_lo, exec_lo, s4
	s_cbranch_execz .LBB158_32
; %bb.31:                               ;   in Loop: Header=BB158_5 Depth=1
	v_mul_f32_e32 v24, s38, v15
	s_delay_alu instid0(VALU_DEP_1) | instskip(SKIP_3) | instid1(VALU_DEP_4)
	v_and_b32_e32 v30, 0xffff, v24
	v_bfe_u32 v25, v24, 16, 1
	v_or_b32_e32 v31, 0x10000, v24
	v_and_b32_e32 v32, 0x7f800000, v24
	v_cmp_eq_u32_e32 vcc_lo, 0, v30
	s_delay_alu instid0(VALU_DEP_4) | instskip(NEXT) | instid1(VALU_DEP_4)
	v_add3_u32 v25, v24, v25, 0x7fff
	v_cndmask_b32_e32 v24, v31, v24, vcc_lo
	s_delay_alu instid0(VALU_DEP_4) | instskip(NEXT) | instid1(VALU_DEP_2)
	v_cmp_eq_u32_e32 vcc_lo, 0x7f800000, v32
	v_cndmask_b32_e32 v24, v25, v24, vcc_lo
	flat_store_d16_hi_b16 v[22:23], v24 offset:32
.LBB158_32:                             ;   in Loop: Header=BB158_5 Depth=1
	s_wait_xcnt 0x0
	s_or_b32 exec_lo, exec_lo, s24
	s_cbranch_execnz .LBB158_4
.LBB158_33:                             ;   in Loop: Header=BB158_5 Depth=1
	s_and_saveexec_b32 s24, s2
	s_cbranch_execz .LBB158_3
; %bb.34:                               ;   in Loop: Header=BB158_5 Depth=1
	v_add_nc_u64_e32 v[18:19], s[20:21], v[18:19]
	v_lshl_add_u64 v[20:21], v[6:7], 1, v[20:21]
	s_delay_alu instid0(VALU_DEP_2) | instskip(NEXT) | instid1(VALU_DEP_1)
	v_lshl_add_u64 v[18:19], v[8:9], 1, v[18:19]
	v_lshl_add_u64 v[22:23], v[4:5], 1, v[18:19]
	s_and_saveexec_b32 s25, s3
	s_cbranch_execnz .LBB158_37
; %bb.35:                               ;   in Loop: Header=BB158_5 Depth=1
	s_or_b32 exec_lo, exec_lo, s25
	s_and_saveexec_b32 s25, s4
	s_cbranch_execnz .LBB158_46
.LBB158_36:                             ;   in Loop: Header=BB158_5 Depth=1
	s_or_b32 exec_lo, exec_lo, s25
	s_delay_alu instid0(SALU_CYCLE_1)
	s_and_b32 exec_lo, exec_lo, s5
	s_cbranch_execz .LBB158_3
	s_branch .LBB158_55
.LBB158_37:                             ;   in Loop: Header=BB158_5 Depth=1
	flat_load_u16 v24, v[22:23]
	s_wait_loadcnt_dscnt 0x0
	v_lshlrev_b32_e32 v24, 16, v24
	s_delay_alu instid0(VALU_DEP_1) | instskip(NEXT) | instid1(VALU_DEP_1)
	v_mul_f32_e32 v24, s39, v24
	v_and_b32_e32 v25, 0x7f800000, v24
	s_delay_alu instid0(VALU_DEP_1) | instskip(SKIP_2) | instid1(SALU_CYCLE_1)
	v_cmp_ne_u32_e32 vcc_lo, 0x7f800000, v25
                                        ; implicit-def: $vgpr25
	s_wait_xcnt 0x0
	s_and_saveexec_b32 s26, vcc_lo
	s_xor_b32 s26, exec_lo, s26
; %bb.38:                               ;   in Loop: Header=BB158_5 Depth=1
	v_bfe_u32 v25, v24, 16, 1
	s_delay_alu instid0(VALU_DEP_1)
	v_add3_u32 v25, v24, v25, 0x7fff
                                        ; implicit-def: $vgpr24
; %bb.39:                               ;   in Loop: Header=BB158_5 Depth=1
	s_and_not1_saveexec_b32 s26, s26
; %bb.40:                               ;   in Loop: Header=BB158_5 Depth=1
	v_and_b32_e32 v25, 0xffff, v24
	v_or_b32_e32 v30, 0x10000, v24
	s_delay_alu instid0(VALU_DEP_2) | instskip(NEXT) | instid1(VALU_DEP_2)
	v_cmp_eq_u32_e32 vcc_lo, 0, v25
	v_cndmask_b32_e32 v25, v30, v24, vcc_lo
; %bb.41:                               ;   in Loop: Header=BB158_5 Depth=1
	s_or_b32 exec_lo, exec_lo, s26
	s_delay_alu instid0(VALU_DEP_1) | instskip(NEXT) | instid1(VALU_DEP_1)
	v_fma_mix_f32_bf16 v16, s38, v16, v25 op_sel:[0,0,1] op_sel_hi:[0,0,1]
	v_and_b32_e32 v24, 0x7f800000, v16
	s_delay_alu instid0(VALU_DEP_1) | instskip(SKIP_1) | instid1(SALU_CYCLE_1)
	v_cmp_ne_u32_e32 vcc_lo, 0x7f800000, v24
                                        ; implicit-def: $vgpr24
	s_and_saveexec_b32 s26, vcc_lo
	s_xor_b32 s26, exec_lo, s26
; %bb.42:                               ;   in Loop: Header=BB158_5 Depth=1
	v_bfe_u32 v24, v16, 16, 1
	s_delay_alu instid0(VALU_DEP_1)
	v_add3_u32 v24, v16, v24, 0x7fff
                                        ; implicit-def: $vgpr16
; %bb.43:                               ;   in Loop: Header=BB158_5 Depth=1
	s_and_not1_saveexec_b32 s26, s26
; %bb.44:                               ;   in Loop: Header=BB158_5 Depth=1
	v_and_b32_e32 v24, 0xffff, v16
	v_or_b32_e32 v25, 0x10000, v16
	s_delay_alu instid0(VALU_DEP_2) | instskip(NEXT) | instid1(VALU_DEP_2)
	v_cmp_eq_u32_e32 vcc_lo, 0, v24
	v_cndmask_b32_e32 v24, v25, v16, vcc_lo
; %bb.45:                               ;   in Loop: Header=BB158_5 Depth=1
	s_or_b32 exec_lo, exec_lo, s26
	v_lshl_add_u64 v[30:31], v[4:5], 1, v[20:21]
	flat_store_d16_hi_b16 v[30:31], v24
	s_wait_xcnt 0x0
	s_or_b32 exec_lo, exec_lo, s25
	s_and_saveexec_b32 s25, s4
	s_cbranch_execz .LBB158_36
.LBB158_46:                             ;   in Loop: Header=BB158_5 Depth=1
	flat_load_u16 v16, v[22:23] offset:32
	s_wait_loadcnt_dscnt 0x0
	v_lshlrev_b32_e32 v16, 16, v16
	s_delay_alu instid0(VALU_DEP_1) | instskip(SKIP_1) | instid1(VALU_DEP_1)
	v_mul_f32_e32 v16, s39, v16
	s_wait_xcnt 0x0
	v_and_b32_e32 v22, 0x7f800000, v16
	s_delay_alu instid0(VALU_DEP_1) | instskip(SKIP_1) | instid1(SALU_CYCLE_1)
	v_cmp_ne_u32_e32 vcc_lo, 0x7f800000, v22
                                        ; implicit-def: $vgpr22
	s_and_saveexec_b32 s26, vcc_lo
	s_xor_b32 s26, exec_lo, s26
; %bb.47:                               ;   in Loop: Header=BB158_5 Depth=1
	v_bfe_u32 v22, v16, 16, 1
	s_delay_alu instid0(VALU_DEP_1)
	v_add3_u32 v22, v16, v22, 0x7fff
                                        ; implicit-def: $vgpr16
; %bb.48:                               ;   in Loop: Header=BB158_5 Depth=1
	s_and_not1_saveexec_b32 s26, s26
; %bb.49:                               ;   in Loop: Header=BB158_5 Depth=1
	v_and_b32_e32 v22, 0xffff, v16
	v_or_b32_e32 v23, 0x10000, v16
	s_delay_alu instid0(VALU_DEP_2) | instskip(NEXT) | instid1(VALU_DEP_2)
	v_cmp_eq_u32_e32 vcc_lo, 0, v22
	v_cndmask_b32_e32 v22, v23, v16, vcc_lo
; %bb.50:                               ;   in Loop: Header=BB158_5 Depth=1
	s_or_b32 exec_lo, exec_lo, s26
	s_delay_alu instid0(VALU_DEP_1) | instskip(NEXT) | instid1(VALU_DEP_1)
	v_fma_mix_f32_bf16 v16, s38, v17, v22 op_sel:[0,0,1] op_sel_hi:[0,0,1]
	v_and_b32_e32 v17, 0x7f800000, v16
	s_delay_alu instid0(VALU_DEP_1) | instskip(SKIP_1) | instid1(SALU_CYCLE_1)
	v_cmp_ne_u32_e32 vcc_lo, 0x7f800000, v17
                                        ; implicit-def: $vgpr17
	s_and_saveexec_b32 s26, vcc_lo
	s_xor_b32 s26, exec_lo, s26
; %bb.51:                               ;   in Loop: Header=BB158_5 Depth=1
	v_bfe_u32 v17, v16, 16, 1
	s_delay_alu instid0(VALU_DEP_1)
	v_add3_u32 v17, v16, v17, 0x7fff
                                        ; implicit-def: $vgpr16
; %bb.52:                               ;   in Loop: Header=BB158_5 Depth=1
	s_and_not1_saveexec_b32 s26, s26
; %bb.53:                               ;   in Loop: Header=BB158_5 Depth=1
	v_and_b32_e32 v17, 0xffff, v16
	v_or_b32_e32 v22, 0x10000, v16
	s_delay_alu instid0(VALU_DEP_2) | instskip(NEXT) | instid1(VALU_DEP_2)
	v_cmp_eq_u32_e32 vcc_lo, 0, v17
	v_cndmask_b32_e32 v17, v22, v16, vcc_lo
; %bb.54:                               ;   in Loop: Header=BB158_5 Depth=1
	s_or_b32 exec_lo, exec_lo, s26
	v_lshl_add_u64 v[22:23], v[4:5], 1, v[20:21]
	flat_store_d16_hi_b16 v[22:23], v17 offset:32
	s_wait_xcnt 0x0
	s_or_b32 exec_lo, exec_lo, s25
	s_delay_alu instid0(SALU_CYCLE_1)
	s_and_b32 exec_lo, exec_lo, s5
	s_cbranch_execz .LBB158_3
.LBB158_55:                             ;   in Loop: Header=BB158_5 Depth=1
	v_lshlrev_b64_e32 v[16:17], 1, v[4:5]
	v_lshl_add_u64 v[18:19], s[12:13], 1, v[18:19]
	v_lshl_add_u64 v[20:21], s[6:7], 1, v[20:21]
	s_delay_alu instid0(VALU_DEP_2) | instskip(NEXT) | instid1(VALU_DEP_2)
	v_add_nc_u64_e32 v[18:19], v[18:19], v[16:17]
	v_add_nc_u64_e32 v[16:17], v[20:21], v[16:17]
	s_and_saveexec_b32 s25, s3
	s_cbranch_execz .LBB158_65
; %bb.56:                               ;   in Loop: Header=BB158_5 Depth=1
	flat_load_u16 v20, v[18:19]
	s_wait_loadcnt_dscnt 0x0
	v_lshlrev_b32_e32 v20, 16, v20
	s_delay_alu instid0(VALU_DEP_1) | instskip(NEXT) | instid1(VALU_DEP_1)
	v_mul_f32_e32 v20, s39, v20
	v_and_b32_e32 v21, 0x7f800000, v20
	s_delay_alu instid0(VALU_DEP_1) | instskip(SKIP_2) | instid1(SALU_CYCLE_1)
	v_cmp_ne_u32_e32 vcc_lo, 0x7f800000, v21
                                        ; implicit-def: $vgpr21
	s_wait_xcnt 0x0
	s_and_saveexec_b32 s26, vcc_lo
	s_xor_b32 s26, exec_lo, s26
; %bb.57:                               ;   in Loop: Header=BB158_5 Depth=1
	v_bfe_u32 v21, v20, 16, 1
	s_delay_alu instid0(VALU_DEP_1)
	v_add3_u32 v21, v20, v21, 0x7fff
                                        ; implicit-def: $vgpr20
; %bb.58:                               ;   in Loop: Header=BB158_5 Depth=1
	s_and_not1_saveexec_b32 s26, s26
; %bb.59:                               ;   in Loop: Header=BB158_5 Depth=1
	v_and_b32_e32 v21, 0xffff, v20
	v_or_b32_e32 v22, 0x10000, v20
	s_delay_alu instid0(VALU_DEP_2) | instskip(NEXT) | instid1(VALU_DEP_2)
	v_cmp_eq_u32_e32 vcc_lo, 0, v21
	v_cndmask_b32_e32 v21, v22, v20, vcc_lo
; %bb.60:                               ;   in Loop: Header=BB158_5 Depth=1
	s_or_b32 exec_lo, exec_lo, s26
	s_delay_alu instid0(VALU_DEP_1) | instskip(NEXT) | instid1(VALU_DEP_1)
	v_fma_mix_f32_bf16 v14, s38, v14, v21 op_sel:[0,0,1] op_sel_hi:[0,0,1]
	v_and_b32_e32 v20, 0x7f800000, v14
	s_delay_alu instid0(VALU_DEP_1) | instskip(SKIP_1) | instid1(SALU_CYCLE_1)
	v_cmp_ne_u32_e32 vcc_lo, 0x7f800000, v20
                                        ; implicit-def: $vgpr20
	s_and_saveexec_b32 s26, vcc_lo
	s_xor_b32 s26, exec_lo, s26
; %bb.61:                               ;   in Loop: Header=BB158_5 Depth=1
	v_bfe_u32 v20, v14, 16, 1
	s_delay_alu instid0(VALU_DEP_1)
	v_add3_u32 v20, v14, v20, 0x7fff
                                        ; implicit-def: $vgpr14
; %bb.62:                               ;   in Loop: Header=BB158_5 Depth=1
	s_and_not1_saveexec_b32 s26, s26
; %bb.63:                               ;   in Loop: Header=BB158_5 Depth=1
	v_and_b32_e32 v20, 0xffff, v14
	v_or_b32_e32 v21, 0x10000, v14
	s_delay_alu instid0(VALU_DEP_2) | instskip(NEXT) | instid1(VALU_DEP_2)
	v_cmp_eq_u32_e32 vcc_lo, 0, v20
	v_cndmask_b32_e32 v20, v21, v14, vcc_lo
; %bb.64:                               ;   in Loop: Header=BB158_5 Depth=1
	s_or_b32 exec_lo, exec_lo, s26
	flat_store_d16_hi_b16 v[16:17], v20
.LBB158_65:                             ;   in Loop: Header=BB158_5 Depth=1
	s_wait_xcnt 0x0
	s_or_b32 exec_lo, exec_lo, s25
	s_delay_alu instid0(SALU_CYCLE_1)
	s_and_b32 exec_lo, exec_lo, s4
	s_cbranch_execz .LBB158_3
; %bb.66:                               ;   in Loop: Header=BB158_5 Depth=1
	flat_load_u16 v14, v[18:19] offset:32
	s_wait_loadcnt_dscnt 0x0
	v_lshlrev_b32_e32 v14, 16, v14
	s_delay_alu instid0(VALU_DEP_1) | instskip(SKIP_1) | instid1(VALU_DEP_1)
	v_mul_f32_e32 v14, s39, v14
	s_wait_xcnt 0x0
	v_and_b32_e32 v18, 0x7f800000, v14
	s_delay_alu instid0(VALU_DEP_1) | instskip(SKIP_1) | instid1(SALU_CYCLE_1)
	v_cmp_ne_u32_e32 vcc_lo, 0x7f800000, v18
                                        ; implicit-def: $vgpr18
	s_and_saveexec_b32 s25, vcc_lo
	s_xor_b32 s25, exec_lo, s25
; %bb.67:                               ;   in Loop: Header=BB158_5 Depth=1
	v_bfe_u32 v18, v14, 16, 1
	s_delay_alu instid0(VALU_DEP_1)
	v_add3_u32 v18, v14, v18, 0x7fff
                                        ; implicit-def: $vgpr14
; %bb.68:                               ;   in Loop: Header=BB158_5 Depth=1
	s_and_not1_saveexec_b32 s25, s25
; %bb.69:                               ;   in Loop: Header=BB158_5 Depth=1
	v_and_b32_e32 v18, 0xffff, v14
	v_or_b32_e32 v19, 0x10000, v14
	s_delay_alu instid0(VALU_DEP_2) | instskip(NEXT) | instid1(VALU_DEP_2)
	v_cmp_eq_u32_e32 vcc_lo, 0, v18
	v_cndmask_b32_e32 v18, v19, v14, vcc_lo
; %bb.70:                               ;   in Loop: Header=BB158_5 Depth=1
	s_or_b32 exec_lo, exec_lo, s25
	s_delay_alu instid0(VALU_DEP_1) | instskip(NEXT) | instid1(VALU_DEP_1)
	v_fma_mix_f32_bf16 v14, s38, v15, v18 op_sel:[0,0,1] op_sel_hi:[0,0,1]
	v_and_b32_e32 v15, 0x7f800000, v14
	s_delay_alu instid0(VALU_DEP_1) | instskip(SKIP_1) | instid1(SALU_CYCLE_1)
	v_cmp_ne_u32_e32 vcc_lo, 0x7f800000, v15
                                        ; implicit-def: $vgpr15
	s_and_saveexec_b32 s25, vcc_lo
	s_xor_b32 s25, exec_lo, s25
; %bb.71:                               ;   in Loop: Header=BB158_5 Depth=1
	v_bfe_u32 v15, v14, 16, 1
	s_delay_alu instid0(VALU_DEP_1)
	v_add3_u32 v15, v14, v15, 0x7fff
                                        ; implicit-def: $vgpr14
; %bb.72:                               ;   in Loop: Header=BB158_5 Depth=1
	s_and_not1_saveexec_b32 s25, s25
	s_cbranch_execz .LBB158_2
; %bb.73:                               ;   in Loop: Header=BB158_5 Depth=1
	v_and_b32_e32 v15, 0xffff, v14
	v_or_b32_e32 v18, 0x10000, v14
	s_delay_alu instid0(VALU_DEP_2) | instskip(NEXT) | instid1(VALU_DEP_2)
	v_cmp_eq_u32_e32 vcc_lo, 0, v15
	v_cndmask_b32_e32 v15, v18, v14, vcc_lo
	s_branch .LBB158_2
.LBB158_74:
	s_endpgm
	.section	.rodata,"a",@progbits
	.p2align	6, 0x0
	.amdhsa_kernel _ZN12_GLOBAL__N_135rocblas_gemm_batched_general_kernelIfLi16ELi16ELi32ELi32ELi8ELi32ELi8ELi8ELi32ELc78ELc78EKPK16rocblas_bfloat16S4_KPS1_EEvlllT_PT11_llS9_llS7_PT12_llPT13_lli
		.amdhsa_group_segment_fixed_size 2048
		.amdhsa_private_segment_fixed_size 0
		.amdhsa_kernarg_size 140
		.amdhsa_user_sgpr_count 2
		.amdhsa_user_sgpr_dispatch_ptr 0
		.amdhsa_user_sgpr_queue_ptr 0
		.amdhsa_user_sgpr_kernarg_segment_ptr 1
		.amdhsa_user_sgpr_dispatch_id 0
		.amdhsa_user_sgpr_kernarg_preload_length 0
		.amdhsa_user_sgpr_kernarg_preload_offset 0
		.amdhsa_user_sgpr_private_segment_size 0
		.amdhsa_wavefront_size32 1
		.amdhsa_uses_dynamic_stack 0
		.amdhsa_enable_private_segment 0
		.amdhsa_system_sgpr_workgroup_id_x 1
		.amdhsa_system_sgpr_workgroup_id_y 1
		.amdhsa_system_sgpr_workgroup_id_z 1
		.amdhsa_system_sgpr_workgroup_info 0
		.amdhsa_system_vgpr_workitem_id 1
		.amdhsa_next_free_vgpr 56
		.amdhsa_next_free_sgpr 44
		.amdhsa_named_barrier_count 0
		.amdhsa_reserve_vcc 1
		.amdhsa_float_round_mode_32 0
		.amdhsa_float_round_mode_16_64 0
		.amdhsa_float_denorm_mode_32 3
		.amdhsa_float_denorm_mode_16_64 3
		.amdhsa_fp16_overflow 0
		.amdhsa_memory_ordered 1
		.amdhsa_forward_progress 1
		.amdhsa_inst_pref_size 23
		.amdhsa_round_robin_scheduling 0
		.amdhsa_exception_fp_ieee_invalid_op 0
		.amdhsa_exception_fp_denorm_src 0
		.amdhsa_exception_fp_ieee_div_zero 0
		.amdhsa_exception_fp_ieee_overflow 0
		.amdhsa_exception_fp_ieee_underflow 0
		.amdhsa_exception_fp_ieee_inexact 0
		.amdhsa_exception_int_div_zero 0
	.end_amdhsa_kernel
	.section	.text._ZN12_GLOBAL__N_135rocblas_gemm_batched_general_kernelIfLi16ELi16ELi32ELi32ELi8ELi32ELi8ELi8ELi32ELc78ELc78EKPK16rocblas_bfloat16S4_KPS1_EEvlllT_PT11_llS9_llS7_PT12_llPT13_lli,"axG",@progbits,_ZN12_GLOBAL__N_135rocblas_gemm_batched_general_kernelIfLi16ELi16ELi32ELi32ELi8ELi32ELi8ELi8ELi32ELc78ELc78EKPK16rocblas_bfloat16S4_KPS1_EEvlllT_PT11_llS9_llS7_PT12_llPT13_lli,comdat
.Lfunc_end158:
	.size	_ZN12_GLOBAL__N_135rocblas_gemm_batched_general_kernelIfLi16ELi16ELi32ELi32ELi8ELi32ELi8ELi8ELi32ELc78ELc78EKPK16rocblas_bfloat16S4_KPS1_EEvlllT_PT11_llS9_llS7_PT12_llPT13_lli, .Lfunc_end158-_ZN12_GLOBAL__N_135rocblas_gemm_batched_general_kernelIfLi16ELi16ELi32ELi32ELi8ELi32ELi8ELi8ELi32ELc78ELc78EKPK16rocblas_bfloat16S4_KPS1_EEvlllT_PT11_llS9_llS7_PT12_llPT13_lli
                                        ; -- End function
	.set _ZN12_GLOBAL__N_135rocblas_gemm_batched_general_kernelIfLi16ELi16ELi32ELi32ELi8ELi32ELi8ELi8ELi32ELc78ELc78EKPK16rocblas_bfloat16S4_KPS1_EEvlllT_PT11_llS9_llS7_PT12_llPT13_lli.num_vgpr, 56
	.set _ZN12_GLOBAL__N_135rocblas_gemm_batched_general_kernelIfLi16ELi16ELi32ELi32ELi8ELi32ELi8ELi8ELi32ELc78ELc78EKPK16rocblas_bfloat16S4_KPS1_EEvlllT_PT11_llS9_llS7_PT12_llPT13_lli.num_agpr, 0
	.set _ZN12_GLOBAL__N_135rocblas_gemm_batched_general_kernelIfLi16ELi16ELi32ELi32ELi8ELi32ELi8ELi8ELi32ELc78ELc78EKPK16rocblas_bfloat16S4_KPS1_EEvlllT_PT11_llS9_llS7_PT12_llPT13_lli.numbered_sgpr, 44
	.set _ZN12_GLOBAL__N_135rocblas_gemm_batched_general_kernelIfLi16ELi16ELi32ELi32ELi8ELi32ELi8ELi8ELi32ELc78ELc78EKPK16rocblas_bfloat16S4_KPS1_EEvlllT_PT11_llS9_llS7_PT12_llPT13_lli.num_named_barrier, 0
	.set _ZN12_GLOBAL__N_135rocblas_gemm_batched_general_kernelIfLi16ELi16ELi32ELi32ELi8ELi32ELi8ELi8ELi32ELc78ELc78EKPK16rocblas_bfloat16S4_KPS1_EEvlllT_PT11_llS9_llS7_PT12_llPT13_lli.private_seg_size, 0
	.set _ZN12_GLOBAL__N_135rocblas_gemm_batched_general_kernelIfLi16ELi16ELi32ELi32ELi8ELi32ELi8ELi8ELi32ELc78ELc78EKPK16rocblas_bfloat16S4_KPS1_EEvlllT_PT11_llS9_llS7_PT12_llPT13_lli.uses_vcc, 1
	.set _ZN12_GLOBAL__N_135rocblas_gemm_batched_general_kernelIfLi16ELi16ELi32ELi32ELi8ELi32ELi8ELi8ELi32ELc78ELc78EKPK16rocblas_bfloat16S4_KPS1_EEvlllT_PT11_llS9_llS7_PT12_llPT13_lli.uses_flat_scratch, 0
	.set _ZN12_GLOBAL__N_135rocblas_gemm_batched_general_kernelIfLi16ELi16ELi32ELi32ELi8ELi32ELi8ELi8ELi32ELc78ELc78EKPK16rocblas_bfloat16S4_KPS1_EEvlllT_PT11_llS9_llS7_PT12_llPT13_lli.has_dyn_sized_stack, 0
	.set _ZN12_GLOBAL__N_135rocblas_gemm_batched_general_kernelIfLi16ELi16ELi32ELi32ELi8ELi32ELi8ELi8ELi32ELc78ELc78EKPK16rocblas_bfloat16S4_KPS1_EEvlllT_PT11_llS9_llS7_PT12_llPT13_lli.has_recursion, 0
	.set _ZN12_GLOBAL__N_135rocblas_gemm_batched_general_kernelIfLi16ELi16ELi32ELi32ELi8ELi32ELi8ELi8ELi32ELc78ELc78EKPK16rocblas_bfloat16S4_KPS1_EEvlllT_PT11_llS9_llS7_PT12_llPT13_lli.has_indirect_call, 0
	.section	.AMDGPU.csdata,"",@progbits
; Kernel info:
; codeLenInByte = 2904
; TotalNumSgprs: 46
; NumVgprs: 56
; ScratchSize: 0
; MemoryBound: 0
; FloatMode: 240
; IeeeMode: 1
; LDSByteSize: 2048 bytes/workgroup (compile time only)
; SGPRBlocks: 0
; VGPRBlocks: 3
; NumSGPRsForWavesPerEU: 46
; NumVGPRsForWavesPerEU: 56
; NamedBarCnt: 0
; Occupancy: 16
; WaveLimiterHint : 1
; COMPUTE_PGM_RSRC2:SCRATCH_EN: 0
; COMPUTE_PGM_RSRC2:USER_SGPR: 2
; COMPUTE_PGM_RSRC2:TRAP_HANDLER: 0
; COMPUTE_PGM_RSRC2:TGID_X_EN: 1
; COMPUTE_PGM_RSRC2:TGID_Y_EN: 1
; COMPUTE_PGM_RSRC2:TGID_Z_EN: 1
; COMPUTE_PGM_RSRC2:TIDIG_COMP_CNT: 1
	.section	.text._ZN12_GLOBAL__N_135rocblas_gemm_batched_general_kernelIfLi16ELi16ELi32ELi32ELi8ELi32ELi8ELi8ELi32ELc84ELc78EKPK16rocblas_bfloat16S4_KPS1_EEvlllT_PT11_llS9_llS7_PT12_llPT13_lli,"axG",@progbits,_ZN12_GLOBAL__N_135rocblas_gemm_batched_general_kernelIfLi16ELi16ELi32ELi32ELi8ELi32ELi8ELi8ELi32ELc84ELc78EKPK16rocblas_bfloat16S4_KPS1_EEvlllT_PT11_llS9_llS7_PT12_llPT13_lli,comdat
	.globl	_ZN12_GLOBAL__N_135rocblas_gemm_batched_general_kernelIfLi16ELi16ELi32ELi32ELi8ELi32ELi8ELi8ELi32ELc84ELc78EKPK16rocblas_bfloat16S4_KPS1_EEvlllT_PT11_llS9_llS7_PT12_llPT13_lli ; -- Begin function _ZN12_GLOBAL__N_135rocblas_gemm_batched_general_kernelIfLi16ELi16ELi32ELi32ELi8ELi32ELi8ELi8ELi32ELc84ELc78EKPK16rocblas_bfloat16S4_KPS1_EEvlllT_PT11_llS9_llS7_PT12_llPT13_lli
	.p2align	8
	.type	_ZN12_GLOBAL__N_135rocblas_gemm_batched_general_kernelIfLi16ELi16ELi32ELi32ELi8ELi32ELi8ELi8ELi32ELc84ELc78EKPK16rocblas_bfloat16S4_KPS1_EEvlllT_PT11_llS9_llS7_PT12_llPT13_lli,@function
_ZN12_GLOBAL__N_135rocblas_gemm_batched_general_kernelIfLi16ELi16ELi32ELi32ELi8ELi32ELi8ELi8ELi32ELc84ELc78EKPK16rocblas_bfloat16S4_KPS1_EEvlllT_PT11_llS9_llS7_PT12_llPT13_lli: ; @_ZN12_GLOBAL__N_135rocblas_gemm_batched_general_kernelIfLi16ELi16ELi32ELi32ELi8ELi32ELi8ELi8ELi32ELc84ELc78EKPK16rocblas_bfloat16S4_KPS1_EEvlllT_PT11_llS9_llS7_PT12_llPT13_lli
; %bb.0:
	s_load_b32 s33, s[0:1], 0x88
	s_bfe_u32 s2, ttmp6, 0x40014
	s_lshr_b32 s3, ttmp7, 16
	s_add_co_i32 s2, s2, 1
	s_bfe_u32 s5, ttmp6, 0x40008
	s_mul_i32 s4, s3, s2
	s_getreg_b32 s2, hwreg(HW_REG_IB_STS2, 6, 4)
	s_add_co_i32 s5, s5, s4
	s_cmp_eq_u32 s2, 0
	s_mov_b32 s35, 0
	s_cselect_b32 s34, s3, s5
	s_wait_kmcnt 0x0
	s_cmp_ge_i32 s34, s33
	s_cbranch_scc1 .LBB159_74
; %bb.1:
	v_bfe_u32 v10, v0, 10, 10
	v_and_b32_e32 v12, 0x3ff, v0
	s_bfe_u32 s16, ttmp6, 0x4000c
	s_bfe_u32 s17, ttmp6, 0x40010
	s_clause 0x3
	s_load_b128 s[4:7], s[0:1], 0x0
	s_load_b256 s[8:15], s[0:1], 0x20
	s_load_b128 s[24:27], s[0:1], 0x40
	s_load_b32 s39, s[0:1], 0x50
	s_add_co_i32 s16, s16, 1
	s_and_b32 s18, ttmp7, 0xffff
	s_add_co_i32 s17, s17, 1
	v_lshl_add_u32 v3, v10, 4, v12
	v_mov_b32_e32 v1, 0
	s_and_b32 s3, ttmp6, 15
	s_mul_i32 s16, ttmp9, s16
	s_mul_i32 s17, s18, s17
	s_bfe_u32 s19, ttmp6, 0x40004
	s_add_co_i32 s3, s3, s16
	s_add_co_i32 s19, s19, s17
	s_cmp_eq_u32 s2, 0
	v_dual_mov_b32 v5, v1 :: v_dual_lshrrev_b32 v4, 3, v3
	v_and_b32_e32 v20, 31, v3
	s_cselect_b32 s16, s18, s19
	s_cselect_b32 s2, ttmp9, s3
	s_lshl_b32 s40, s16, 5
	s_mov_b32 s41, s35
	s_ashr_i32 s3, s2, 31
	v_add_nc_u64_e32 v[8:9], s[40:41], v[4:5]
	s_clause 0x1
	s_load_b128 s[28:31], s[0:1], 0x78
	s_load_b256 s[16:23], s[0:1], 0x58
	s_lshl_b64 s[2:3], s[2:3], 5
	v_dual_mov_b32 v11, v1 :: v_dual_bitop2_b32 v2, 7, v0 bitop3:0x40
	v_dual_mov_b32 v7, s3 :: v_dual_bitop2_b32 v6, s2, v20 bitop3:0x54
	s_wait_kmcnt 0x0
	v_mul_u64_e32 v[14:15], s[24:25], v[8:9]
	s_delay_alu instid0(VALU_DEP_3)
	v_add_nc_u64_e32 v[18:19], s[40:41], v[10:11]
	v_dual_mov_b32 v13, v1 :: v_dual_lshlrev_b32 v5, 2, v2
	v_mul_u64_e32 v[16:17], s[10:11], v[6:7]
	s_load_b96 s[36:38], s[0:1], 0x10
	v_lshlrev_b32_e32 v11, 2, v20
	s_wait_xcnt 0x0
	v_cmp_gt_i64_e64 s0, s[4:5], v[6:7]
	v_lshl_or_b32 v20, v4, 5, v5
	v_cmp_gt_i64_e64 s1, s[6:7], v[8:9]
	v_add_nc_u64_e32 v[8:9], s[2:3], v[12:13]
	s_cmp_eq_f32 s39, 0
	v_dual_mov_b32 v3, v1 :: v_dual_lshrrev_b32 v0, 5, v3
	v_mul_u64_e32 v[4:5], s[28:29], v[18:19]
	v_mul_u64_e32 v[6:7], s[18:19], v[18:19]
	s_cselect_b32 s24, -1, 0
	s_lshl_b64 s[10:11], s[26:27], 1
	v_lshlrev_b32_e32 v28, 2, v12
	v_lshl_add_u32 v29, v10, 5, 0x400
	v_cmp_gt_i64_e64 s2, s[6:7], v[18:19]
	v_add_nc_u64_e32 v[12:13], 16, v[18:19]
	v_lshlrev_b32_e32 v18, 1, v2
	v_lshl_or_b32 v26, v0, 7, v11
	v_add_nc_u64_e32 v[10:11], 16, v[8:9]
	v_add_nc_u32_e32 v27, 0x400, v20
	v_dual_mov_b32 v19, v1 :: v_dual_lshlrev_b32 v20, 1, v0
	v_mov_b32_e32 v21, v1
	v_cmp_gt_i64_e64 s3, s[4:5], v[8:9]
	s_wait_kmcnt 0x0
	v_cmp_gt_i64_e64 s25, s[36:37], 0
	v_cmp_gt_i64_e64 s4, s[4:5], v[10:11]
	v_lshl_add_u64 v[14:15], v[14:15], 1, s[10:11]
	s_lshl_b64 s[10:11], s[12:13], 1
	v_cmp_gt_i64_e64 s5, s[6:7], v[12:13]
	s_lshl_b64 s[6:7], s[28:29], 4
	v_lshl_add_u64 v[16:17], v[16:17], 1, s[10:11]
	v_add_nc_u64_e32 v[10:11], v[14:15], v[18:19]
	s_lshl_b64 s[10:11], s[18:19], 4
	s_lshl_b64 s[12:13], s[30:31], 1
	;; [unrolled: 1-line block ×3, first 2 shown]
	v_add_nc_u64_e32 v[12:13], v[16:17], v[20:21]
	s_branch .LBB159_5
.LBB159_2:                              ;   in Loop: Header=BB159_5 Depth=1
	s_or_b32 exec_lo, exec_lo, s21
	flat_store_d16_hi_b16 v[16:17], v15 offset:32
.LBB159_3:                              ;   in Loop: Header=BB159_5 Depth=1
	s_wait_xcnt 0x0
	s_or_b32 exec_lo, exec_lo, s20
.LBB159_4:                              ;   in Loop: Header=BB159_5 Depth=1
	s_add_co_i32 s34, s34, 0x10000
	s_delay_alu instid0(SALU_CYCLE_1)
	s_cmp_lt_i32 s34, s33
	s_cbranch_scc0 .LBB159_74
.LBB159_5:                              ; =>This Loop Header: Depth=1
                                        ;     Child Loop BB159_8 Depth 2
	v_dual_mov_b32 v14, s34 :: v_dual_mov_b32 v17, 0
	v_dual_mov_b32 v16, 0 :: v_dual_mov_b32 v15, 0
	s_and_not1_b32 vcc_lo, exec_lo, s25
	s_clause 0x1
	global_load_b64 v[18:19], v14, s[16:17] scale_offset
	global_load_b64 v[20:21], v14, s[22:23] scale_offset
	s_wait_xcnt 0x0
	v_mov_b32_e32 v14, 0
	s_cbranch_vccnz .LBB159_12
; %bb.6:                                ;   in Loop: Header=BB159_5 Depth=1
	s_lshl_b64 s[20:21], s[34:35], 3
	v_mov_b32_e32 v16, 0
	s_add_nc_u64 s[26:27], s[14:15], s[20:21]
	s_add_nc_u64 s[20:21], s[8:9], s[20:21]
	s_clause 0x1
	global_load_b64 v[14:15], v1, s[26:27]
	global_load_b64 v[24:25], v1, s[20:21]
	s_wait_xcnt 0x0
	s_mov_b64 s[20:21], 0
	v_mov_b32_e32 v17, v16
	s_wait_loadcnt 0x1
	v_add_nc_u64_e32 v[22:23], v[14:15], v[10:11]
	s_wait_loadcnt 0x0
	v_add_nc_u64_e32 v[24:25], v[24:25], v[12:13]
	v_dual_mov_b32 v14, v16 :: v_dual_mov_b32 v15, v16
	s_branch .LBB159_8
.LBB159_7:                              ;   in Loop: Header=BB159_8 Depth=2
	s_wait_xcnt 0x0
	s_or_b32 exec_lo, exec_lo, s26
	ds_store_b32 v27, v31
	s_wait_dscnt 0x0
	s_barrier_signal -1
	s_barrier_wait -1
	ds_load_b128 v[30:33], v29
	ds_load_2addr_b32 v[46:47], v28 offset1:16
	ds_load_b128 v[34:37], v29 offset:512
	ds_load_2addr_b32 v[48:49], v28 offset0:32 offset1:48
	ds_load_2addr_b32 v[50:51], v28 offset0:64 offset1:80
	;; [unrolled: 1-line block ×3, first 2 shown]
	ds_load_b128 v[38:41], v29 offset:16
	ds_load_2addr_b32 v[54:55], v28 offset0:128 offset1:144
	ds_load_b128 v[42:45], v29 offset:528
	s_add_nc_u64 s[20:21], s[20:21], 8
	v_add_nc_u64_e32 v[22:23], 16, v[22:23]
	v_cmp_lt_i64_e64 s26, s[20:21], s[36:37]
	v_add_nc_u64_e32 v[24:25], 16, v[24:25]
	s_and_b32 vcc_lo, exec_lo, s26
	s_wait_dscnt 0x7
	v_pk_fma_f32 v[16:17], v[46:47], v[30:31], v[16:17] op_sel_hi:[1,0,1]
	s_wait_dscnt 0x6
	v_pk_fma_f32 v[14:15], v[46:47], v[34:35], v[14:15] op_sel_hi:[1,0,1]
	ds_load_2addr_b32 v[46:47], v28 offset0:160 offset1:176
	s_wait_dscnt 0x6
	v_pk_fma_f32 v[16:17], v[48:49], v[30:31], v[16:17] op_sel:[0,1,0]
	v_pk_fma_f32 v[14:15], v[48:49], v[34:35], v[14:15] op_sel:[0,1,0]
	ds_load_2addr_b32 v[30:31], v28 offset0:192 offset1:208
	v_dual_mov_b32 v34, v33 :: v_dual_mov_b32 v48, v37
	s_wait_dscnt 0x6
	v_pk_fma_f32 v[16:17], v[50:51], v[32:33], v[16:17] op_sel_hi:[1,0,1]
	v_pk_fma_f32 v[14:15], v[50:51], v[36:37], v[14:15] op_sel_hi:[1,0,1]
	ds_load_2addr_b32 v[32:33], v28 offset0:224 offset1:240
	s_wait_dscnt 0x3
	v_mov_b32_e32 v36, v45
	s_wait_dscnt 0x0
	v_pk_fma_f32 v[16:17], v[52:53], v[34:35], v[16:17] op_sel_hi:[1,0,1]
	v_pk_fma_f32 v[14:15], v[52:53], v[48:49], v[14:15] op_sel_hi:[1,0,1]
	v_mov_b32_e32 v34, v41
	s_barrier_signal -1
	s_barrier_wait -1
	v_pk_fma_f32 v[16:17], v[54:55], v[38:39], v[16:17] op_sel_hi:[1,0,1]
	v_pk_fma_f32 v[14:15], v[54:55], v[42:43], v[14:15] op_sel_hi:[1,0,1]
	s_delay_alu instid0(VALU_DEP_2) | instskip(NEXT) | instid1(VALU_DEP_2)
	v_pk_fma_f32 v[16:17], v[46:47], v[38:39], v[16:17] op_sel:[0,1,0]
	v_pk_fma_f32 v[14:15], v[46:47], v[42:43], v[14:15] op_sel:[0,1,0]
	s_delay_alu instid0(VALU_DEP_2) | instskip(NEXT) | instid1(VALU_DEP_2)
	v_pk_fma_f32 v[16:17], v[30:31], v[40:41], v[16:17] op_sel_hi:[1,0,1]
	v_pk_fma_f32 v[14:15], v[30:31], v[44:45], v[14:15] op_sel_hi:[1,0,1]
	s_delay_alu instid0(VALU_DEP_2) | instskip(NEXT) | instid1(VALU_DEP_2)
	v_pk_fma_f32 v[16:17], v[32:33], v[34:35], v[16:17] op_sel_hi:[1,0,1]
	v_pk_fma_f32 v[14:15], v[32:33], v[36:37], v[14:15] op_sel_hi:[1,0,1]
	s_cbranch_vccz .LBB159_12
.LBB159_8:                              ;   Parent Loop BB159_5 Depth=1
                                        ; =>  This Inner Loop Header: Depth=2
	v_add_nc_u64_e32 v[30:31], s[20:21], v[0:1]
	s_delay_alu instid0(VALU_DEP_1) | instskip(SKIP_2) | instid1(SALU_CYCLE_1)
	v_cmp_gt_i64_e32 vcc_lo, s[36:37], v[30:31]
	v_mov_b32_e32 v30, 0
	s_and_b32 s27, s0, vcc_lo
	s_and_saveexec_b32 s26, s27
	s_cbranch_execz .LBB159_10
; %bb.9:                                ;   in Loop: Header=BB159_8 Depth=2
	flat_load_u16 v30, v[24:25]
	s_wait_loadcnt_dscnt 0x0
	v_lshlrev_b32_e32 v30, 16, v30
.LBB159_10:                             ;   in Loop: Header=BB159_8 Depth=2
	s_wait_xcnt 0x0
	s_or_b32 exec_lo, exec_lo, s26
	v_add_nc_u64_e32 v[32:33], s[20:21], v[2:3]
	v_mov_b32_e32 v31, 0
	ds_store_b32 v26, v30
	v_cmp_gt_i64_e32 vcc_lo, s[36:37], v[32:33]
	s_and_b32 s27, vcc_lo, s1
	s_delay_alu instid0(SALU_CYCLE_1)
	s_and_saveexec_b32 s26, s27
	s_cbranch_execz .LBB159_7
; %bb.11:                               ;   in Loop: Header=BB159_8 Depth=2
	flat_load_u16 v30, v[22:23]
	s_wait_loadcnt_dscnt 0x0
	v_lshlrev_b32_e32 v31, 16, v30
	s_branch .LBB159_7
.LBB159_12:                             ;   in Loop: Header=BB159_5 Depth=1
	s_wait_loadcnt 0x0
	v_add_nc_u64_e32 v[20:21], s[12:13], v[20:21]
	s_and_not1_b32 vcc_lo, exec_lo, s24
	s_cbranch_vccnz .LBB159_17
; %bb.13:                               ;   in Loop: Header=BB159_5 Depth=1
	s_and_saveexec_b32 s20, s2
	s_cbranch_execz .LBB159_32
; %bb.14:                               ;   in Loop: Header=BB159_5 Depth=1
	s_delay_alu instid0(VALU_DEP_1)
	v_lshl_add_u64 v[22:23], v[4:5], 1, v[20:21]
	s_and_saveexec_b32 s21, s3
	s_cbranch_execnz .LBB159_18
; %bb.15:                               ;   in Loop: Header=BB159_5 Depth=1
	s_or_b32 exec_lo, exec_lo, s21
	s_and_saveexec_b32 s21, s4
	s_cbranch_execnz .LBB159_23
.LBB159_16:                             ;   in Loop: Header=BB159_5 Depth=1
	s_or_b32 exec_lo, exec_lo, s21
	s_delay_alu instid0(SALU_CYCLE_1)
	s_and_b32 exec_lo, exec_lo, s5
	s_cbranch_execnz .LBB159_28
	s_branch .LBB159_32
.LBB159_17:                             ;   in Loop: Header=BB159_5 Depth=1
	s_branch .LBB159_33
.LBB159_18:                             ;   in Loop: Header=BB159_5 Depth=1
	v_mul_f32_e32 v24, s38, v16
	s_delay_alu instid0(VALU_DEP_1) | instskip(NEXT) | instid1(VALU_DEP_1)
	v_and_b32_e32 v25, 0x7f800000, v24
	v_cmp_ne_u32_e32 vcc_lo, 0x7f800000, v25
                                        ; implicit-def: $vgpr25
	s_and_saveexec_b32 s26, vcc_lo
	s_delay_alu instid0(SALU_CYCLE_1)
	s_xor_b32 s26, exec_lo, s26
; %bb.19:                               ;   in Loop: Header=BB159_5 Depth=1
	v_bfe_u32 v25, v24, 16, 1
	s_delay_alu instid0(VALU_DEP_1)
	v_add3_u32 v25, v24, v25, 0x7fff
                                        ; implicit-def: $vgpr24
; %bb.20:                               ;   in Loop: Header=BB159_5 Depth=1
	s_and_not1_saveexec_b32 s26, s26
; %bb.21:                               ;   in Loop: Header=BB159_5 Depth=1
	v_and_b32_e32 v25, 0xffff, v24
	v_or_b32_e32 v30, 0x10000, v24
	s_delay_alu instid0(VALU_DEP_2) | instskip(NEXT) | instid1(VALU_DEP_2)
	v_cmp_eq_u32_e32 vcc_lo, 0, v25
	v_cndmask_b32_e32 v25, v30, v24, vcc_lo
; %bb.22:                               ;   in Loop: Header=BB159_5 Depth=1
	s_or_b32 exec_lo, exec_lo, s26
	v_lshl_add_u64 v[30:31], v[8:9], 1, v[22:23]
	flat_store_d16_hi_b16 v[30:31], v25
	s_wait_xcnt 0x0
	s_or_b32 exec_lo, exec_lo, s21
	s_and_saveexec_b32 s21, s4
	s_cbranch_execz .LBB159_16
.LBB159_23:                             ;   in Loop: Header=BB159_5 Depth=1
	v_mul_f32_e32 v24, s38, v17
	s_delay_alu instid0(VALU_DEP_1) | instskip(NEXT) | instid1(VALU_DEP_1)
	v_and_b32_e32 v25, 0x7f800000, v24
	v_cmp_ne_u32_e32 vcc_lo, 0x7f800000, v25
                                        ; implicit-def: $vgpr25
	s_and_saveexec_b32 s26, vcc_lo
	s_delay_alu instid0(SALU_CYCLE_1)
	s_xor_b32 s26, exec_lo, s26
; %bb.24:                               ;   in Loop: Header=BB159_5 Depth=1
	v_bfe_u32 v25, v24, 16, 1
	s_delay_alu instid0(VALU_DEP_1)
	v_add3_u32 v25, v24, v25, 0x7fff
                                        ; implicit-def: $vgpr24
; %bb.25:                               ;   in Loop: Header=BB159_5 Depth=1
	s_and_not1_saveexec_b32 s26, s26
; %bb.26:                               ;   in Loop: Header=BB159_5 Depth=1
	v_and_b32_e32 v25, 0xffff, v24
	v_or_b32_e32 v30, 0x10000, v24
	s_delay_alu instid0(VALU_DEP_2) | instskip(NEXT) | instid1(VALU_DEP_2)
	v_cmp_eq_u32_e32 vcc_lo, 0, v25
	v_cndmask_b32_e32 v25, v30, v24, vcc_lo
; %bb.27:                               ;   in Loop: Header=BB159_5 Depth=1
	s_or_b32 exec_lo, exec_lo, s26
	v_lshl_add_u64 v[30:31], v[8:9], 1, v[22:23]
	flat_store_d16_hi_b16 v[30:31], v25 offset:32
	s_wait_xcnt 0x0
	s_or_b32 exec_lo, exec_lo, s21
	s_delay_alu instid0(SALU_CYCLE_1)
	s_and_b32 exec_lo, exec_lo, s5
	s_cbranch_execz .LBB159_32
.LBB159_28:                             ;   in Loop: Header=BB159_5 Depth=1
	v_lshl_add_u64 v[22:23], s[6:7], 1, v[22:23]
	s_delay_alu instid0(VALU_DEP_1)
	v_lshl_add_u64 v[22:23], v[8:9], 1, v[22:23]
	s_and_saveexec_b32 s21, s3
	s_cbranch_execz .LBB159_30
; %bb.29:                               ;   in Loop: Header=BB159_5 Depth=1
	v_mul_f32_e32 v24, s38, v14
	s_delay_alu instid0(VALU_DEP_1) | instskip(SKIP_3) | instid1(VALU_DEP_4)
	v_and_b32_e32 v30, 0xffff, v24
	v_bfe_u32 v25, v24, 16, 1
	v_or_b32_e32 v31, 0x10000, v24
	v_and_b32_e32 v32, 0x7f800000, v24
	v_cmp_eq_u32_e32 vcc_lo, 0, v30
	s_delay_alu instid0(VALU_DEP_4) | instskip(NEXT) | instid1(VALU_DEP_4)
	v_add3_u32 v25, v24, v25, 0x7fff
	v_cndmask_b32_e32 v24, v31, v24, vcc_lo
	s_delay_alu instid0(VALU_DEP_4) | instskip(NEXT) | instid1(VALU_DEP_2)
	v_cmp_eq_u32_e32 vcc_lo, 0x7f800000, v32
	v_cndmask_b32_e32 v24, v25, v24, vcc_lo
	flat_store_d16_hi_b16 v[22:23], v24
.LBB159_30:                             ;   in Loop: Header=BB159_5 Depth=1
	s_wait_xcnt 0x0
	s_or_b32 exec_lo, exec_lo, s21
	s_delay_alu instid0(SALU_CYCLE_1)
	s_and_b32 exec_lo, exec_lo, s4
	s_cbranch_execz .LBB159_32
; %bb.31:                               ;   in Loop: Header=BB159_5 Depth=1
	v_mul_f32_e32 v24, s38, v15
	s_delay_alu instid0(VALU_DEP_1) | instskip(SKIP_3) | instid1(VALU_DEP_4)
	v_and_b32_e32 v30, 0xffff, v24
	v_bfe_u32 v25, v24, 16, 1
	v_or_b32_e32 v31, 0x10000, v24
	v_and_b32_e32 v32, 0x7f800000, v24
	v_cmp_eq_u32_e32 vcc_lo, 0, v30
	s_delay_alu instid0(VALU_DEP_4) | instskip(NEXT) | instid1(VALU_DEP_4)
	v_add3_u32 v25, v24, v25, 0x7fff
	v_cndmask_b32_e32 v24, v31, v24, vcc_lo
	s_delay_alu instid0(VALU_DEP_4) | instskip(NEXT) | instid1(VALU_DEP_2)
	v_cmp_eq_u32_e32 vcc_lo, 0x7f800000, v32
	v_cndmask_b32_e32 v24, v25, v24, vcc_lo
	flat_store_d16_hi_b16 v[22:23], v24 offset:32
.LBB159_32:                             ;   in Loop: Header=BB159_5 Depth=1
	s_wait_xcnt 0x0
	s_or_b32 exec_lo, exec_lo, s20
	s_cbranch_execnz .LBB159_4
.LBB159_33:                             ;   in Loop: Header=BB159_5 Depth=1
	s_and_saveexec_b32 s20, s2
	s_cbranch_execz .LBB159_3
; %bb.34:                               ;   in Loop: Header=BB159_5 Depth=1
	v_add_nc_u64_e32 v[18:19], s[18:19], v[18:19]
	v_lshl_add_u64 v[20:21], v[4:5], 1, v[20:21]
	s_delay_alu instid0(VALU_DEP_2) | instskip(NEXT) | instid1(VALU_DEP_1)
	v_lshl_add_u64 v[18:19], v[6:7], 1, v[18:19]
	v_lshl_add_u64 v[22:23], v[8:9], 1, v[18:19]
	s_and_saveexec_b32 s21, s3
	s_cbranch_execnz .LBB159_37
; %bb.35:                               ;   in Loop: Header=BB159_5 Depth=1
	s_or_b32 exec_lo, exec_lo, s21
	s_and_saveexec_b32 s21, s4
	s_cbranch_execnz .LBB159_46
.LBB159_36:                             ;   in Loop: Header=BB159_5 Depth=1
	s_or_b32 exec_lo, exec_lo, s21
	s_delay_alu instid0(SALU_CYCLE_1)
	s_and_b32 exec_lo, exec_lo, s5
	s_cbranch_execz .LBB159_3
	s_branch .LBB159_55
.LBB159_37:                             ;   in Loop: Header=BB159_5 Depth=1
	flat_load_u16 v24, v[22:23]
	s_wait_loadcnt_dscnt 0x0
	v_lshlrev_b32_e32 v24, 16, v24
	s_delay_alu instid0(VALU_DEP_1) | instskip(NEXT) | instid1(VALU_DEP_1)
	v_mul_f32_e32 v24, s39, v24
	v_and_b32_e32 v25, 0x7f800000, v24
	s_delay_alu instid0(VALU_DEP_1) | instskip(SKIP_2) | instid1(SALU_CYCLE_1)
	v_cmp_ne_u32_e32 vcc_lo, 0x7f800000, v25
                                        ; implicit-def: $vgpr25
	s_wait_xcnt 0x0
	s_and_saveexec_b32 s26, vcc_lo
	s_xor_b32 s26, exec_lo, s26
; %bb.38:                               ;   in Loop: Header=BB159_5 Depth=1
	v_bfe_u32 v25, v24, 16, 1
	s_delay_alu instid0(VALU_DEP_1)
	v_add3_u32 v25, v24, v25, 0x7fff
                                        ; implicit-def: $vgpr24
; %bb.39:                               ;   in Loop: Header=BB159_5 Depth=1
	s_and_not1_saveexec_b32 s26, s26
; %bb.40:                               ;   in Loop: Header=BB159_5 Depth=1
	v_and_b32_e32 v25, 0xffff, v24
	v_or_b32_e32 v30, 0x10000, v24
	s_delay_alu instid0(VALU_DEP_2) | instskip(NEXT) | instid1(VALU_DEP_2)
	v_cmp_eq_u32_e32 vcc_lo, 0, v25
	v_cndmask_b32_e32 v25, v30, v24, vcc_lo
; %bb.41:                               ;   in Loop: Header=BB159_5 Depth=1
	s_or_b32 exec_lo, exec_lo, s26
	s_delay_alu instid0(VALU_DEP_1) | instskip(NEXT) | instid1(VALU_DEP_1)
	v_fma_mix_f32_bf16 v16, s38, v16, v25 op_sel:[0,0,1] op_sel_hi:[0,0,1]
	v_and_b32_e32 v24, 0x7f800000, v16
	s_delay_alu instid0(VALU_DEP_1) | instskip(SKIP_1) | instid1(SALU_CYCLE_1)
	v_cmp_ne_u32_e32 vcc_lo, 0x7f800000, v24
                                        ; implicit-def: $vgpr24
	s_and_saveexec_b32 s26, vcc_lo
	s_xor_b32 s26, exec_lo, s26
; %bb.42:                               ;   in Loop: Header=BB159_5 Depth=1
	v_bfe_u32 v24, v16, 16, 1
	s_delay_alu instid0(VALU_DEP_1)
	v_add3_u32 v24, v16, v24, 0x7fff
                                        ; implicit-def: $vgpr16
; %bb.43:                               ;   in Loop: Header=BB159_5 Depth=1
	s_and_not1_saveexec_b32 s26, s26
; %bb.44:                               ;   in Loop: Header=BB159_5 Depth=1
	v_and_b32_e32 v24, 0xffff, v16
	v_or_b32_e32 v25, 0x10000, v16
	s_delay_alu instid0(VALU_DEP_2) | instskip(NEXT) | instid1(VALU_DEP_2)
	v_cmp_eq_u32_e32 vcc_lo, 0, v24
	v_cndmask_b32_e32 v24, v25, v16, vcc_lo
; %bb.45:                               ;   in Loop: Header=BB159_5 Depth=1
	s_or_b32 exec_lo, exec_lo, s26
	v_lshl_add_u64 v[30:31], v[8:9], 1, v[20:21]
	flat_store_d16_hi_b16 v[30:31], v24
	s_wait_xcnt 0x0
	s_or_b32 exec_lo, exec_lo, s21
	s_and_saveexec_b32 s21, s4
	s_cbranch_execz .LBB159_36
.LBB159_46:                             ;   in Loop: Header=BB159_5 Depth=1
	flat_load_u16 v16, v[22:23] offset:32
	s_wait_loadcnt_dscnt 0x0
	v_lshlrev_b32_e32 v16, 16, v16
	s_delay_alu instid0(VALU_DEP_1) | instskip(SKIP_1) | instid1(VALU_DEP_1)
	v_mul_f32_e32 v16, s39, v16
	s_wait_xcnt 0x0
	v_and_b32_e32 v22, 0x7f800000, v16
	s_delay_alu instid0(VALU_DEP_1) | instskip(SKIP_1) | instid1(SALU_CYCLE_1)
	v_cmp_ne_u32_e32 vcc_lo, 0x7f800000, v22
                                        ; implicit-def: $vgpr22
	s_and_saveexec_b32 s26, vcc_lo
	s_xor_b32 s26, exec_lo, s26
; %bb.47:                               ;   in Loop: Header=BB159_5 Depth=1
	v_bfe_u32 v22, v16, 16, 1
	s_delay_alu instid0(VALU_DEP_1)
	v_add3_u32 v22, v16, v22, 0x7fff
                                        ; implicit-def: $vgpr16
; %bb.48:                               ;   in Loop: Header=BB159_5 Depth=1
	s_and_not1_saveexec_b32 s26, s26
; %bb.49:                               ;   in Loop: Header=BB159_5 Depth=1
	v_and_b32_e32 v22, 0xffff, v16
	v_or_b32_e32 v23, 0x10000, v16
	s_delay_alu instid0(VALU_DEP_2) | instskip(NEXT) | instid1(VALU_DEP_2)
	v_cmp_eq_u32_e32 vcc_lo, 0, v22
	v_cndmask_b32_e32 v22, v23, v16, vcc_lo
; %bb.50:                               ;   in Loop: Header=BB159_5 Depth=1
	s_or_b32 exec_lo, exec_lo, s26
	s_delay_alu instid0(VALU_DEP_1) | instskip(NEXT) | instid1(VALU_DEP_1)
	v_fma_mix_f32_bf16 v16, s38, v17, v22 op_sel:[0,0,1] op_sel_hi:[0,0,1]
	v_and_b32_e32 v17, 0x7f800000, v16
	s_delay_alu instid0(VALU_DEP_1) | instskip(SKIP_1) | instid1(SALU_CYCLE_1)
	v_cmp_ne_u32_e32 vcc_lo, 0x7f800000, v17
                                        ; implicit-def: $vgpr17
	s_and_saveexec_b32 s26, vcc_lo
	s_xor_b32 s26, exec_lo, s26
; %bb.51:                               ;   in Loop: Header=BB159_5 Depth=1
	v_bfe_u32 v17, v16, 16, 1
	s_delay_alu instid0(VALU_DEP_1)
	v_add3_u32 v17, v16, v17, 0x7fff
                                        ; implicit-def: $vgpr16
; %bb.52:                               ;   in Loop: Header=BB159_5 Depth=1
	s_and_not1_saveexec_b32 s26, s26
; %bb.53:                               ;   in Loop: Header=BB159_5 Depth=1
	v_and_b32_e32 v17, 0xffff, v16
	v_or_b32_e32 v22, 0x10000, v16
	s_delay_alu instid0(VALU_DEP_2) | instskip(NEXT) | instid1(VALU_DEP_2)
	v_cmp_eq_u32_e32 vcc_lo, 0, v17
	v_cndmask_b32_e32 v17, v22, v16, vcc_lo
; %bb.54:                               ;   in Loop: Header=BB159_5 Depth=1
	s_or_b32 exec_lo, exec_lo, s26
	v_lshl_add_u64 v[22:23], v[8:9], 1, v[20:21]
	flat_store_d16_hi_b16 v[22:23], v17 offset:32
	s_wait_xcnt 0x0
	s_or_b32 exec_lo, exec_lo, s21
	s_delay_alu instid0(SALU_CYCLE_1)
	s_and_b32 exec_lo, exec_lo, s5
	s_cbranch_execz .LBB159_3
.LBB159_55:                             ;   in Loop: Header=BB159_5 Depth=1
	v_lshlrev_b64_e32 v[16:17], 1, v[8:9]
	v_lshl_add_u64 v[18:19], s[10:11], 1, v[18:19]
	v_lshl_add_u64 v[20:21], s[6:7], 1, v[20:21]
	s_delay_alu instid0(VALU_DEP_2) | instskip(NEXT) | instid1(VALU_DEP_2)
	v_add_nc_u64_e32 v[18:19], v[18:19], v[16:17]
	v_add_nc_u64_e32 v[16:17], v[20:21], v[16:17]
	s_and_saveexec_b32 s21, s3
	s_cbranch_execz .LBB159_65
; %bb.56:                               ;   in Loop: Header=BB159_5 Depth=1
	flat_load_u16 v20, v[18:19]
	s_wait_loadcnt_dscnt 0x0
	v_lshlrev_b32_e32 v20, 16, v20
	s_delay_alu instid0(VALU_DEP_1) | instskip(NEXT) | instid1(VALU_DEP_1)
	v_mul_f32_e32 v20, s39, v20
	v_and_b32_e32 v21, 0x7f800000, v20
	s_delay_alu instid0(VALU_DEP_1) | instskip(SKIP_2) | instid1(SALU_CYCLE_1)
	v_cmp_ne_u32_e32 vcc_lo, 0x7f800000, v21
                                        ; implicit-def: $vgpr21
	s_wait_xcnt 0x0
	s_and_saveexec_b32 s26, vcc_lo
	s_xor_b32 s26, exec_lo, s26
; %bb.57:                               ;   in Loop: Header=BB159_5 Depth=1
	v_bfe_u32 v21, v20, 16, 1
	s_delay_alu instid0(VALU_DEP_1)
	v_add3_u32 v21, v20, v21, 0x7fff
                                        ; implicit-def: $vgpr20
; %bb.58:                               ;   in Loop: Header=BB159_5 Depth=1
	s_and_not1_saveexec_b32 s26, s26
; %bb.59:                               ;   in Loop: Header=BB159_5 Depth=1
	v_and_b32_e32 v21, 0xffff, v20
	v_or_b32_e32 v22, 0x10000, v20
	s_delay_alu instid0(VALU_DEP_2) | instskip(NEXT) | instid1(VALU_DEP_2)
	v_cmp_eq_u32_e32 vcc_lo, 0, v21
	v_cndmask_b32_e32 v21, v22, v20, vcc_lo
; %bb.60:                               ;   in Loop: Header=BB159_5 Depth=1
	s_or_b32 exec_lo, exec_lo, s26
	s_delay_alu instid0(VALU_DEP_1) | instskip(NEXT) | instid1(VALU_DEP_1)
	v_fma_mix_f32_bf16 v14, s38, v14, v21 op_sel:[0,0,1] op_sel_hi:[0,0,1]
	v_and_b32_e32 v20, 0x7f800000, v14
	s_delay_alu instid0(VALU_DEP_1) | instskip(SKIP_1) | instid1(SALU_CYCLE_1)
	v_cmp_ne_u32_e32 vcc_lo, 0x7f800000, v20
                                        ; implicit-def: $vgpr20
	s_and_saveexec_b32 s26, vcc_lo
	s_xor_b32 s26, exec_lo, s26
; %bb.61:                               ;   in Loop: Header=BB159_5 Depth=1
	v_bfe_u32 v20, v14, 16, 1
	s_delay_alu instid0(VALU_DEP_1)
	v_add3_u32 v20, v14, v20, 0x7fff
                                        ; implicit-def: $vgpr14
; %bb.62:                               ;   in Loop: Header=BB159_5 Depth=1
	s_and_not1_saveexec_b32 s26, s26
; %bb.63:                               ;   in Loop: Header=BB159_5 Depth=1
	v_and_b32_e32 v20, 0xffff, v14
	v_or_b32_e32 v21, 0x10000, v14
	s_delay_alu instid0(VALU_DEP_2) | instskip(NEXT) | instid1(VALU_DEP_2)
	v_cmp_eq_u32_e32 vcc_lo, 0, v20
	v_cndmask_b32_e32 v20, v21, v14, vcc_lo
; %bb.64:                               ;   in Loop: Header=BB159_5 Depth=1
	s_or_b32 exec_lo, exec_lo, s26
	flat_store_d16_hi_b16 v[16:17], v20
.LBB159_65:                             ;   in Loop: Header=BB159_5 Depth=1
	s_wait_xcnt 0x0
	s_or_b32 exec_lo, exec_lo, s21
	s_delay_alu instid0(SALU_CYCLE_1)
	s_and_b32 exec_lo, exec_lo, s4
	s_cbranch_execz .LBB159_3
; %bb.66:                               ;   in Loop: Header=BB159_5 Depth=1
	flat_load_u16 v14, v[18:19] offset:32
	s_wait_loadcnt_dscnt 0x0
	v_lshlrev_b32_e32 v14, 16, v14
	s_delay_alu instid0(VALU_DEP_1) | instskip(SKIP_1) | instid1(VALU_DEP_1)
	v_mul_f32_e32 v14, s39, v14
	s_wait_xcnt 0x0
	v_and_b32_e32 v18, 0x7f800000, v14
	s_delay_alu instid0(VALU_DEP_1) | instskip(SKIP_1) | instid1(SALU_CYCLE_1)
	v_cmp_ne_u32_e32 vcc_lo, 0x7f800000, v18
                                        ; implicit-def: $vgpr18
	s_and_saveexec_b32 s21, vcc_lo
	s_xor_b32 s21, exec_lo, s21
; %bb.67:                               ;   in Loop: Header=BB159_5 Depth=1
	v_bfe_u32 v18, v14, 16, 1
	s_delay_alu instid0(VALU_DEP_1)
	v_add3_u32 v18, v14, v18, 0x7fff
                                        ; implicit-def: $vgpr14
; %bb.68:                               ;   in Loop: Header=BB159_5 Depth=1
	s_and_not1_saveexec_b32 s21, s21
; %bb.69:                               ;   in Loop: Header=BB159_5 Depth=1
	v_and_b32_e32 v18, 0xffff, v14
	v_or_b32_e32 v19, 0x10000, v14
	s_delay_alu instid0(VALU_DEP_2) | instskip(NEXT) | instid1(VALU_DEP_2)
	v_cmp_eq_u32_e32 vcc_lo, 0, v18
	v_cndmask_b32_e32 v18, v19, v14, vcc_lo
; %bb.70:                               ;   in Loop: Header=BB159_5 Depth=1
	s_or_b32 exec_lo, exec_lo, s21
	s_delay_alu instid0(VALU_DEP_1) | instskip(NEXT) | instid1(VALU_DEP_1)
	v_fma_mix_f32_bf16 v14, s38, v15, v18 op_sel:[0,0,1] op_sel_hi:[0,0,1]
	v_and_b32_e32 v15, 0x7f800000, v14
	s_delay_alu instid0(VALU_DEP_1) | instskip(SKIP_1) | instid1(SALU_CYCLE_1)
	v_cmp_ne_u32_e32 vcc_lo, 0x7f800000, v15
                                        ; implicit-def: $vgpr15
	s_and_saveexec_b32 s21, vcc_lo
	s_xor_b32 s21, exec_lo, s21
; %bb.71:                               ;   in Loop: Header=BB159_5 Depth=1
	v_bfe_u32 v15, v14, 16, 1
	s_delay_alu instid0(VALU_DEP_1)
	v_add3_u32 v15, v14, v15, 0x7fff
                                        ; implicit-def: $vgpr14
; %bb.72:                               ;   in Loop: Header=BB159_5 Depth=1
	s_and_not1_saveexec_b32 s21, s21
	s_cbranch_execz .LBB159_2
; %bb.73:                               ;   in Loop: Header=BB159_5 Depth=1
	v_and_b32_e32 v15, 0xffff, v14
	v_or_b32_e32 v18, 0x10000, v14
	s_delay_alu instid0(VALU_DEP_2) | instskip(NEXT) | instid1(VALU_DEP_2)
	v_cmp_eq_u32_e32 vcc_lo, 0, v15
	v_cndmask_b32_e32 v15, v18, v14, vcc_lo
	s_branch .LBB159_2
.LBB159_74:
	s_endpgm
	.section	.rodata,"a",@progbits
	.p2align	6, 0x0
	.amdhsa_kernel _ZN12_GLOBAL__N_135rocblas_gemm_batched_general_kernelIfLi16ELi16ELi32ELi32ELi8ELi32ELi8ELi8ELi32ELc84ELc78EKPK16rocblas_bfloat16S4_KPS1_EEvlllT_PT11_llS9_llS7_PT12_llPT13_lli
		.amdhsa_group_segment_fixed_size 2048
		.amdhsa_private_segment_fixed_size 0
		.amdhsa_kernarg_size 140
		.amdhsa_user_sgpr_count 2
		.amdhsa_user_sgpr_dispatch_ptr 0
		.amdhsa_user_sgpr_queue_ptr 0
		.amdhsa_user_sgpr_kernarg_segment_ptr 1
		.amdhsa_user_sgpr_dispatch_id 0
		.amdhsa_user_sgpr_kernarg_preload_length 0
		.amdhsa_user_sgpr_kernarg_preload_offset 0
		.amdhsa_user_sgpr_private_segment_size 0
		.amdhsa_wavefront_size32 1
		.amdhsa_uses_dynamic_stack 0
		.amdhsa_enable_private_segment 0
		.amdhsa_system_sgpr_workgroup_id_x 1
		.amdhsa_system_sgpr_workgroup_id_y 1
		.amdhsa_system_sgpr_workgroup_id_z 1
		.amdhsa_system_sgpr_workgroup_info 0
		.amdhsa_system_vgpr_workitem_id 1
		.amdhsa_next_free_vgpr 56
		.amdhsa_next_free_sgpr 42
		.amdhsa_named_barrier_count 0
		.amdhsa_reserve_vcc 1
		.amdhsa_float_round_mode_32 0
		.amdhsa_float_round_mode_16_64 0
		.amdhsa_float_denorm_mode_32 3
		.amdhsa_float_denorm_mode_16_64 3
		.amdhsa_fp16_overflow 0
		.amdhsa_memory_ordered 1
		.amdhsa_forward_progress 1
		.amdhsa_inst_pref_size 23
		.amdhsa_round_robin_scheduling 0
		.amdhsa_exception_fp_ieee_invalid_op 0
		.amdhsa_exception_fp_denorm_src 0
		.amdhsa_exception_fp_ieee_div_zero 0
		.amdhsa_exception_fp_ieee_overflow 0
		.amdhsa_exception_fp_ieee_underflow 0
		.amdhsa_exception_fp_ieee_inexact 0
		.amdhsa_exception_int_div_zero 0
	.end_amdhsa_kernel
	.section	.text._ZN12_GLOBAL__N_135rocblas_gemm_batched_general_kernelIfLi16ELi16ELi32ELi32ELi8ELi32ELi8ELi8ELi32ELc84ELc78EKPK16rocblas_bfloat16S4_KPS1_EEvlllT_PT11_llS9_llS7_PT12_llPT13_lli,"axG",@progbits,_ZN12_GLOBAL__N_135rocblas_gemm_batched_general_kernelIfLi16ELi16ELi32ELi32ELi8ELi32ELi8ELi8ELi32ELc84ELc78EKPK16rocblas_bfloat16S4_KPS1_EEvlllT_PT11_llS9_llS7_PT12_llPT13_lli,comdat
.Lfunc_end159:
	.size	_ZN12_GLOBAL__N_135rocblas_gemm_batched_general_kernelIfLi16ELi16ELi32ELi32ELi8ELi32ELi8ELi8ELi32ELc84ELc78EKPK16rocblas_bfloat16S4_KPS1_EEvlllT_PT11_llS9_llS7_PT12_llPT13_lli, .Lfunc_end159-_ZN12_GLOBAL__N_135rocblas_gemm_batched_general_kernelIfLi16ELi16ELi32ELi32ELi8ELi32ELi8ELi8ELi32ELc84ELc78EKPK16rocblas_bfloat16S4_KPS1_EEvlllT_PT11_llS9_llS7_PT12_llPT13_lli
                                        ; -- End function
	.set _ZN12_GLOBAL__N_135rocblas_gemm_batched_general_kernelIfLi16ELi16ELi32ELi32ELi8ELi32ELi8ELi8ELi32ELc84ELc78EKPK16rocblas_bfloat16S4_KPS1_EEvlllT_PT11_llS9_llS7_PT12_llPT13_lli.num_vgpr, 56
	.set _ZN12_GLOBAL__N_135rocblas_gemm_batched_general_kernelIfLi16ELi16ELi32ELi32ELi8ELi32ELi8ELi8ELi32ELc84ELc78EKPK16rocblas_bfloat16S4_KPS1_EEvlllT_PT11_llS9_llS7_PT12_llPT13_lli.num_agpr, 0
	.set _ZN12_GLOBAL__N_135rocblas_gemm_batched_general_kernelIfLi16ELi16ELi32ELi32ELi8ELi32ELi8ELi8ELi32ELc84ELc78EKPK16rocblas_bfloat16S4_KPS1_EEvlllT_PT11_llS9_llS7_PT12_llPT13_lli.numbered_sgpr, 42
	.set _ZN12_GLOBAL__N_135rocblas_gemm_batched_general_kernelIfLi16ELi16ELi32ELi32ELi8ELi32ELi8ELi8ELi32ELc84ELc78EKPK16rocblas_bfloat16S4_KPS1_EEvlllT_PT11_llS9_llS7_PT12_llPT13_lli.num_named_barrier, 0
	.set _ZN12_GLOBAL__N_135rocblas_gemm_batched_general_kernelIfLi16ELi16ELi32ELi32ELi8ELi32ELi8ELi8ELi32ELc84ELc78EKPK16rocblas_bfloat16S4_KPS1_EEvlllT_PT11_llS9_llS7_PT12_llPT13_lli.private_seg_size, 0
	.set _ZN12_GLOBAL__N_135rocblas_gemm_batched_general_kernelIfLi16ELi16ELi32ELi32ELi8ELi32ELi8ELi8ELi32ELc84ELc78EKPK16rocblas_bfloat16S4_KPS1_EEvlllT_PT11_llS9_llS7_PT12_llPT13_lli.uses_vcc, 1
	.set _ZN12_GLOBAL__N_135rocblas_gemm_batched_general_kernelIfLi16ELi16ELi32ELi32ELi8ELi32ELi8ELi8ELi32ELc84ELc78EKPK16rocblas_bfloat16S4_KPS1_EEvlllT_PT11_llS9_llS7_PT12_llPT13_lli.uses_flat_scratch, 0
	.set _ZN12_GLOBAL__N_135rocblas_gemm_batched_general_kernelIfLi16ELi16ELi32ELi32ELi8ELi32ELi8ELi8ELi32ELc84ELc78EKPK16rocblas_bfloat16S4_KPS1_EEvlllT_PT11_llS9_llS7_PT12_llPT13_lli.has_dyn_sized_stack, 0
	.set _ZN12_GLOBAL__N_135rocblas_gemm_batched_general_kernelIfLi16ELi16ELi32ELi32ELi8ELi32ELi8ELi8ELi32ELc84ELc78EKPK16rocblas_bfloat16S4_KPS1_EEvlllT_PT11_llS9_llS7_PT12_llPT13_lli.has_recursion, 0
	.set _ZN12_GLOBAL__N_135rocblas_gemm_batched_general_kernelIfLi16ELi16ELi32ELi32ELi8ELi32ELi8ELi8ELi32ELc84ELc78EKPK16rocblas_bfloat16S4_KPS1_EEvlllT_PT11_llS9_llS7_PT12_llPT13_lli.has_indirect_call, 0
	.section	.AMDGPU.csdata,"",@progbits
; Kernel info:
; codeLenInByte = 2888
; TotalNumSgprs: 44
; NumVgprs: 56
; ScratchSize: 0
; MemoryBound: 0
; FloatMode: 240
; IeeeMode: 1
; LDSByteSize: 2048 bytes/workgroup (compile time only)
; SGPRBlocks: 0
; VGPRBlocks: 3
; NumSGPRsForWavesPerEU: 44
; NumVGPRsForWavesPerEU: 56
; NamedBarCnt: 0
; Occupancy: 16
; WaveLimiterHint : 1
; COMPUTE_PGM_RSRC2:SCRATCH_EN: 0
; COMPUTE_PGM_RSRC2:USER_SGPR: 2
; COMPUTE_PGM_RSRC2:TRAP_HANDLER: 0
; COMPUTE_PGM_RSRC2:TGID_X_EN: 1
; COMPUTE_PGM_RSRC2:TGID_Y_EN: 1
; COMPUTE_PGM_RSRC2:TGID_Z_EN: 1
; COMPUTE_PGM_RSRC2:TIDIG_COMP_CNT: 1
	.section	.text._ZN12_GLOBAL__N_135rocblas_gemm_batched_general_kernelIfLi16ELi16ELi32ELi32ELi8ELi32ELi8ELi8ELi32ELc78ELc84EKPK16rocblas_bfloat16S4_KPS1_EEvlllT_PT11_llS9_llS7_PT12_llPT13_lli,"axG",@progbits,_ZN12_GLOBAL__N_135rocblas_gemm_batched_general_kernelIfLi16ELi16ELi32ELi32ELi8ELi32ELi8ELi8ELi32ELc78ELc84EKPK16rocblas_bfloat16S4_KPS1_EEvlllT_PT11_llS9_llS7_PT12_llPT13_lli,comdat
	.globl	_ZN12_GLOBAL__N_135rocblas_gemm_batched_general_kernelIfLi16ELi16ELi32ELi32ELi8ELi32ELi8ELi8ELi32ELc78ELc84EKPK16rocblas_bfloat16S4_KPS1_EEvlllT_PT11_llS9_llS7_PT12_llPT13_lli ; -- Begin function _ZN12_GLOBAL__N_135rocblas_gemm_batched_general_kernelIfLi16ELi16ELi32ELi32ELi8ELi32ELi8ELi8ELi32ELc78ELc84EKPK16rocblas_bfloat16S4_KPS1_EEvlllT_PT11_llS9_llS7_PT12_llPT13_lli
	.p2align	8
	.type	_ZN12_GLOBAL__N_135rocblas_gemm_batched_general_kernelIfLi16ELi16ELi32ELi32ELi8ELi32ELi8ELi8ELi32ELc78ELc84EKPK16rocblas_bfloat16S4_KPS1_EEvlllT_PT11_llS9_llS7_PT12_llPT13_lli,@function
_ZN12_GLOBAL__N_135rocblas_gemm_batched_general_kernelIfLi16ELi16ELi32ELi32ELi8ELi32ELi8ELi8ELi32ELc78ELc84EKPK16rocblas_bfloat16S4_KPS1_EEvlllT_PT11_llS9_llS7_PT12_llPT13_lli: ; @_ZN12_GLOBAL__N_135rocblas_gemm_batched_general_kernelIfLi16ELi16ELi32ELi32ELi8ELi32ELi8ELi8ELi32ELc78ELc84EKPK16rocblas_bfloat16S4_KPS1_EEvlllT_PT11_llS9_llS7_PT12_llPT13_lli
; %bb.0:
	s_load_b32 s33, s[0:1], 0x88
	s_bfe_u32 s2, ttmp6, 0x40014
	s_lshr_b32 s3, ttmp7, 16
	s_add_co_i32 s2, s2, 1
	s_bfe_u32 s5, ttmp6, 0x40008
	s_mul_i32 s4, s3, s2
	s_getreg_b32 s2, hwreg(HW_REG_IB_STS2, 6, 4)
	s_add_co_i32 s5, s5, s4
	s_cmp_eq_u32 s2, 0
	s_mov_b32 s35, 0
	s_cselect_b32 s34, s3, s5
	s_wait_kmcnt 0x0
	s_cmp_ge_i32 s34, s33
	s_cbranch_scc1 .LBB160_74
; %bb.1:
	s_clause 0x6
	s_load_b128 s[4:7], s[0:1], 0x0
	s_load_b96 s[36:38], s[0:1], 0x10
	s_load_b256 s[8:15], s[0:1], 0x20
	s_load_b128 s[28:31], s[0:1], 0x40
	s_load_b32 s39, s[0:1], 0x50
	s_load_b128 s[24:27], s[0:1], 0x78
	s_load_b256 s[16:23], s[0:1], 0x58
	v_bfe_u32 v6, v0, 10, 10
	v_and_b32_e32 v8, 0x3ff, v0
	s_wait_xcnt 0x0
	s_bfe_u32 s0, ttmp6, 0x4000c
	s_bfe_u32 s3, ttmp6, 0x40010
	s_add_co_i32 s0, s0, 1
	s_and_b32 s40, ttmp7, 0xffff
	v_lshl_add_u32 v1, v6, 4, v8
	v_mov_b32_e32 v3, 0
	s_add_co_i32 s3, s3, 1
	v_and_b32_e32 v0, 7, v0
	s_and_b32 s1, ttmp6, 15
	v_dual_lshrrev_b32 v2, 5, v1 :: v_dual_bitop2_b32 v20, 31, v1 bitop3:0x40
	v_dual_mov_b32 v1, v3 :: v_dual_lshrrev_b32 v10, 3, v1
	s_mul_i32 s0, ttmp9, s0
	s_mul_i32 s3, s40, s3
	s_bfe_u32 s41, ttmp6, 0x40004
	s_add_co_i32 s1, s1, s0
	s_add_co_i32 s41, s41, s3
	s_cmp_eq_u32 s2, 0
	s_wait_kmcnt 0x0
	v_mul_u64_e32 v[12:13], s[28:29], v[0:1]
	v_dual_mov_b32 v7, v3 :: v_dual_lshlrev_b32 v18, 2, v20
	v_mul_u64_e32 v[16:17], s[10:11], v[2:3]
	s_cselect_b32 s42, ttmp9, s1
	s_cselect_b32 s44, s40, s41
	s_ashr_i32 s43, s42, 31
	s_lshl_b32 s40, s44, 5
	s_mov_b32 s41, s35
	s_lshl_b64 s[2:3], s[42:43], 5
	v_lshl_or_b32 v26, v2, 7, v18
	v_add_nc_u64_e32 v[18:19], s[40:41], v[6:7]
	v_dual_mov_b32 v11, v3 :: v_dual_bitop2_b32 v4, s2, v20 bitop3:0x54
	v_dual_mov_b32 v5, s3 :: v_dual_mov_b32 v9, v3
	v_lshlrev_b32_e32 v28, 2, v8
	s_delay_alu instid0(VALU_DEP_3) | instskip(SKIP_1) | instid1(VALU_DEP_4)
	v_add_nc_u64_e32 v[14:15], s[40:41], v[10:11]
	v_lshlrev_b32_e32 v11, 2, v0
	v_cmp_gt_i64_e64 s0, s[4:5], v[4:5]
	v_add_nc_u64_e32 v[4:5], s[2:3], v[8:9]
	v_lshl_add_u32 v29, v6, 5, 0x400
	v_mul_u64_e32 v[6:7], s[24:25], v[18:19]
	v_mul_u64_e32 v[8:9], s[18:19], v[18:19]
	v_cmp_gt_i64_e64 s1, s[6:7], v[14:15]
	v_cmp_gt_i64_e64 s2, s[6:7], v[18:19]
	v_add_nc_u64_e32 v[18:19], 16, v[18:19]
	v_add_nc_u64_e32 v[14:15], 16, v[4:5]
	s_cmp_eq_f32 s39, 0
	v_lshl_or_b32 v11, v10, 5, v11
	v_cmp_gt_i64_e64 s3, s[4:5], v[4:5]
	s_mov_b32 s45, s35
	s_cselect_b32 s40, -1, 0
	s_lshl_b32 s44, s44, 6
	s_lshl_b64 s[30:31], s[30:31], 1
	v_cmp_gt_i64_e64 s4, s[4:5], v[14:15]
	v_cmp_gt_i64_e64 s5, s[6:7], v[18:19]
	s_lshl_b64 s[6:7], s[42:43], 6
	s_lshl_b64 s[12:13], s[12:13], 1
	s_add_nc_u64 s[30:31], s[30:31], s[44:45]
	s_add_nc_u64 s[6:7], s[12:13], s[6:7]
	v_add_nc_u32_e32 v27, 0x400, v11
	v_lshl_add_u64 v[12:13], v[12:13], 1, s[30:31]
	v_dual_mov_b32 v11, v3 :: v_dual_lshlrev_b32 v10, 1, v10
	v_lshl_add_u64 v[14:15], v[16:17], 1, s[6:7]
	v_dual_mov_b32 v17, v3 :: v_dual_lshlrev_b32 v16, 1, v20
	s_lshl_b64 s[12:13], s[18:19], 4
	s_delay_alu instid0(VALU_DEP_3)
	v_add_nc_u64_e32 v[10:11], v[12:13], v[10:11]
	s_lshl_b64 s[18:19], s[28:29], 4
	v_cmp_gt_i64_e64 s28, s[36:37], 0
	v_add_nc_u64_e32 v[12:13], v[14:15], v[16:17]
	s_lshl_b64 s[6:7], s[24:25], 4
	s_lshl_b64 s[10:11], s[10:11], 4
	;; [unrolled: 1-line block ×4, first 2 shown]
	s_branch .LBB160_5
.LBB160_2:                              ;   in Loop: Header=BB160_5 Depth=1
	s_or_b32 exec_lo, exec_lo, s27
	flat_store_d16_hi_b16 v[16:17], v15 offset:32
.LBB160_3:                              ;   in Loop: Header=BB160_5 Depth=1
	s_wait_xcnt 0x0
	s_or_b32 exec_lo, exec_lo, s26
.LBB160_4:                              ;   in Loop: Header=BB160_5 Depth=1
	s_add_co_i32 s34, s34, 0x10000
	s_delay_alu instid0(SALU_CYCLE_1)
	s_cmp_lt_i32 s34, s33
	s_cbranch_scc0 .LBB160_74
.LBB160_5:                              ; =>This Loop Header: Depth=1
                                        ;     Child Loop BB160_8 Depth 2
	v_dual_mov_b32 v14, s34 :: v_dual_mov_b32 v17, 0
	v_dual_mov_b32 v16, 0 :: v_dual_mov_b32 v15, 0
	s_and_not1_b32 vcc_lo, exec_lo, s28
	s_clause 0x1
	global_load_b64 v[18:19], v14, s[16:17] scale_offset
	global_load_b64 v[20:21], v14, s[22:23] scale_offset
	s_wait_xcnt 0x0
	v_mov_b32_e32 v14, 0
	s_cbranch_vccnz .LBB160_12
; %bb.6:                                ;   in Loop: Header=BB160_5 Depth=1
	s_lshl_b64 s[26:27], s[34:35], 3
	v_mov_b32_e32 v16, 0
	s_add_nc_u64 s[30:31], s[14:15], s[26:27]
	s_add_nc_u64 s[26:27], s[8:9], s[26:27]
	s_clause 0x1
	global_load_b64 v[14:15], v3, s[30:31]
	global_load_b64 v[24:25], v3, s[26:27]
	s_wait_xcnt 0x0
	s_mov_b64 s[26:27], 0
	v_mov_b32_e32 v17, v16
	s_wait_loadcnt 0x1
	v_add_nc_u64_e32 v[22:23], v[14:15], v[10:11]
	s_wait_loadcnt 0x0
	v_add_nc_u64_e32 v[24:25], v[24:25], v[12:13]
	v_dual_mov_b32 v14, v16 :: v_dual_mov_b32 v15, v16
	s_branch .LBB160_8
.LBB160_7:                              ;   in Loop: Header=BB160_8 Depth=2
	s_wait_xcnt 0x0
	s_or_b32 exec_lo, exec_lo, s29
	ds_store_b32 v27, v31
	s_wait_dscnt 0x0
	s_barrier_signal -1
	s_barrier_wait -1
	ds_load_b128 v[30:33], v29
	ds_load_2addr_b32 v[46:47], v28 offset1:16
	ds_load_b128 v[34:37], v29 offset:512
	ds_load_2addr_b32 v[48:49], v28 offset0:32 offset1:48
	ds_load_2addr_b32 v[50:51], v28 offset0:64 offset1:80
	;; [unrolled: 1-line block ×3, first 2 shown]
	ds_load_b128 v[38:41], v29 offset:16
	ds_load_2addr_b32 v[54:55], v28 offset0:128 offset1:144
	ds_load_b128 v[42:45], v29 offset:528
	s_add_nc_u64 s[26:27], s[26:27], 8
	v_add_nc_u64_e32 v[22:23], s[18:19], v[22:23]
	v_cmp_lt_i64_e64 s29, s[26:27], s[36:37]
	v_add_nc_u64_e32 v[24:25], s[10:11], v[24:25]
	s_and_b32 vcc_lo, exec_lo, s29
	s_wait_dscnt 0x7
	v_pk_fma_f32 v[16:17], v[46:47], v[30:31], v[16:17] op_sel_hi:[1,0,1]
	s_wait_dscnt 0x6
	v_pk_fma_f32 v[14:15], v[46:47], v[34:35], v[14:15] op_sel_hi:[1,0,1]
	ds_load_2addr_b32 v[46:47], v28 offset0:160 offset1:176
	s_wait_dscnt 0x6
	v_pk_fma_f32 v[16:17], v[48:49], v[30:31], v[16:17] op_sel:[0,1,0]
	v_pk_fma_f32 v[14:15], v[48:49], v[34:35], v[14:15] op_sel:[0,1,0]
	ds_load_2addr_b32 v[30:31], v28 offset0:192 offset1:208
	v_dual_mov_b32 v34, v33 :: v_dual_mov_b32 v48, v37
	s_wait_dscnt 0x6
	v_pk_fma_f32 v[16:17], v[50:51], v[32:33], v[16:17] op_sel_hi:[1,0,1]
	v_pk_fma_f32 v[14:15], v[50:51], v[36:37], v[14:15] op_sel_hi:[1,0,1]
	ds_load_2addr_b32 v[32:33], v28 offset0:224 offset1:240
	s_wait_dscnt 0x3
	v_mov_b32_e32 v36, v45
	s_wait_dscnt 0x0
	v_pk_fma_f32 v[16:17], v[52:53], v[34:35], v[16:17] op_sel_hi:[1,0,1]
	v_pk_fma_f32 v[14:15], v[52:53], v[48:49], v[14:15] op_sel_hi:[1,0,1]
	v_mov_b32_e32 v34, v41
	s_barrier_signal -1
	s_barrier_wait -1
	v_pk_fma_f32 v[16:17], v[54:55], v[38:39], v[16:17] op_sel_hi:[1,0,1]
	v_pk_fma_f32 v[14:15], v[54:55], v[42:43], v[14:15] op_sel_hi:[1,0,1]
	s_delay_alu instid0(VALU_DEP_2) | instskip(NEXT) | instid1(VALU_DEP_2)
	v_pk_fma_f32 v[16:17], v[46:47], v[38:39], v[16:17] op_sel:[0,1,0]
	v_pk_fma_f32 v[14:15], v[46:47], v[42:43], v[14:15] op_sel:[0,1,0]
	s_delay_alu instid0(VALU_DEP_2) | instskip(NEXT) | instid1(VALU_DEP_2)
	v_pk_fma_f32 v[16:17], v[30:31], v[40:41], v[16:17] op_sel_hi:[1,0,1]
	v_pk_fma_f32 v[14:15], v[30:31], v[44:45], v[14:15] op_sel_hi:[1,0,1]
	s_delay_alu instid0(VALU_DEP_2) | instskip(NEXT) | instid1(VALU_DEP_2)
	v_pk_fma_f32 v[16:17], v[32:33], v[34:35], v[16:17] op_sel_hi:[1,0,1]
	v_pk_fma_f32 v[14:15], v[32:33], v[36:37], v[14:15] op_sel_hi:[1,0,1]
	s_cbranch_vccz .LBB160_12
.LBB160_8:                              ;   Parent Loop BB160_5 Depth=1
                                        ; =>  This Inner Loop Header: Depth=2
	v_add_nc_u64_e32 v[30:31], s[26:27], v[2:3]
	s_delay_alu instid0(VALU_DEP_1) | instskip(SKIP_2) | instid1(SALU_CYCLE_1)
	v_cmp_gt_i64_e32 vcc_lo, s[36:37], v[30:31]
	v_mov_b32_e32 v30, 0
	s_and_b32 s30, s0, vcc_lo
	s_and_saveexec_b32 s29, s30
	s_cbranch_execz .LBB160_10
; %bb.9:                                ;   in Loop: Header=BB160_8 Depth=2
	flat_load_u16 v30, v[24:25]
	s_wait_loadcnt_dscnt 0x0
	v_lshlrev_b32_e32 v30, 16, v30
.LBB160_10:                             ;   in Loop: Header=BB160_8 Depth=2
	s_wait_xcnt 0x0
	s_or_b32 exec_lo, exec_lo, s29
	v_add_nc_u64_e32 v[32:33], s[26:27], v[0:1]
	v_mov_b32_e32 v31, 0
	ds_store_b32 v26, v30
	v_cmp_gt_i64_e32 vcc_lo, s[36:37], v[32:33]
	s_and_b32 s30, vcc_lo, s1
	s_delay_alu instid0(SALU_CYCLE_1)
	s_and_saveexec_b32 s29, s30
	s_cbranch_execz .LBB160_7
; %bb.11:                               ;   in Loop: Header=BB160_8 Depth=2
	flat_load_u16 v30, v[22:23]
	s_wait_loadcnt_dscnt 0x0
	v_lshlrev_b32_e32 v31, 16, v30
	s_branch .LBB160_7
.LBB160_12:                             ;   in Loop: Header=BB160_5 Depth=1
	s_wait_loadcnt 0x0
	v_add_nc_u64_e32 v[20:21], s[24:25], v[20:21]
	s_and_not1_b32 vcc_lo, exec_lo, s40
	s_cbranch_vccnz .LBB160_17
; %bb.13:                               ;   in Loop: Header=BB160_5 Depth=1
	s_and_saveexec_b32 s26, s2
	s_cbranch_execz .LBB160_32
; %bb.14:                               ;   in Loop: Header=BB160_5 Depth=1
	s_delay_alu instid0(VALU_DEP_1)
	v_lshl_add_u64 v[22:23], v[6:7], 1, v[20:21]
	s_and_saveexec_b32 s27, s3
	s_cbranch_execnz .LBB160_18
; %bb.15:                               ;   in Loop: Header=BB160_5 Depth=1
	s_or_b32 exec_lo, exec_lo, s27
	s_and_saveexec_b32 s27, s4
	s_cbranch_execnz .LBB160_23
.LBB160_16:                             ;   in Loop: Header=BB160_5 Depth=1
	s_or_b32 exec_lo, exec_lo, s27
	s_delay_alu instid0(SALU_CYCLE_1)
	s_and_b32 exec_lo, exec_lo, s5
	s_cbranch_execnz .LBB160_28
	s_branch .LBB160_32
.LBB160_17:                             ;   in Loop: Header=BB160_5 Depth=1
	s_branch .LBB160_33
.LBB160_18:                             ;   in Loop: Header=BB160_5 Depth=1
	v_mul_f32_e32 v24, s38, v16
	s_delay_alu instid0(VALU_DEP_1) | instskip(NEXT) | instid1(VALU_DEP_1)
	v_and_b32_e32 v25, 0x7f800000, v24
	v_cmp_ne_u32_e32 vcc_lo, 0x7f800000, v25
                                        ; implicit-def: $vgpr25
	s_and_saveexec_b32 s29, vcc_lo
	s_delay_alu instid0(SALU_CYCLE_1)
	s_xor_b32 s29, exec_lo, s29
; %bb.19:                               ;   in Loop: Header=BB160_5 Depth=1
	v_bfe_u32 v25, v24, 16, 1
	s_delay_alu instid0(VALU_DEP_1)
	v_add3_u32 v25, v24, v25, 0x7fff
                                        ; implicit-def: $vgpr24
; %bb.20:                               ;   in Loop: Header=BB160_5 Depth=1
	s_and_not1_saveexec_b32 s29, s29
; %bb.21:                               ;   in Loop: Header=BB160_5 Depth=1
	v_and_b32_e32 v25, 0xffff, v24
	v_or_b32_e32 v30, 0x10000, v24
	s_delay_alu instid0(VALU_DEP_2) | instskip(NEXT) | instid1(VALU_DEP_2)
	v_cmp_eq_u32_e32 vcc_lo, 0, v25
	v_cndmask_b32_e32 v25, v30, v24, vcc_lo
; %bb.22:                               ;   in Loop: Header=BB160_5 Depth=1
	s_or_b32 exec_lo, exec_lo, s29
	v_lshl_add_u64 v[30:31], v[4:5], 1, v[22:23]
	flat_store_d16_hi_b16 v[30:31], v25
	s_wait_xcnt 0x0
	s_or_b32 exec_lo, exec_lo, s27
	s_and_saveexec_b32 s27, s4
	s_cbranch_execz .LBB160_16
.LBB160_23:                             ;   in Loop: Header=BB160_5 Depth=1
	v_mul_f32_e32 v24, s38, v17
	s_delay_alu instid0(VALU_DEP_1) | instskip(NEXT) | instid1(VALU_DEP_1)
	v_and_b32_e32 v25, 0x7f800000, v24
	v_cmp_ne_u32_e32 vcc_lo, 0x7f800000, v25
                                        ; implicit-def: $vgpr25
	s_and_saveexec_b32 s29, vcc_lo
	s_delay_alu instid0(SALU_CYCLE_1)
	s_xor_b32 s29, exec_lo, s29
; %bb.24:                               ;   in Loop: Header=BB160_5 Depth=1
	v_bfe_u32 v25, v24, 16, 1
	s_delay_alu instid0(VALU_DEP_1)
	v_add3_u32 v25, v24, v25, 0x7fff
                                        ; implicit-def: $vgpr24
; %bb.25:                               ;   in Loop: Header=BB160_5 Depth=1
	s_and_not1_saveexec_b32 s29, s29
; %bb.26:                               ;   in Loop: Header=BB160_5 Depth=1
	v_and_b32_e32 v25, 0xffff, v24
	v_or_b32_e32 v30, 0x10000, v24
	s_delay_alu instid0(VALU_DEP_2) | instskip(NEXT) | instid1(VALU_DEP_2)
	v_cmp_eq_u32_e32 vcc_lo, 0, v25
	v_cndmask_b32_e32 v25, v30, v24, vcc_lo
; %bb.27:                               ;   in Loop: Header=BB160_5 Depth=1
	s_or_b32 exec_lo, exec_lo, s29
	v_lshl_add_u64 v[30:31], v[4:5], 1, v[22:23]
	flat_store_d16_hi_b16 v[30:31], v25 offset:32
	s_wait_xcnt 0x0
	s_or_b32 exec_lo, exec_lo, s27
	s_delay_alu instid0(SALU_CYCLE_1)
	s_and_b32 exec_lo, exec_lo, s5
	s_cbranch_execz .LBB160_32
.LBB160_28:                             ;   in Loop: Header=BB160_5 Depth=1
	v_lshl_add_u64 v[22:23], s[6:7], 1, v[22:23]
	s_delay_alu instid0(VALU_DEP_1)
	v_lshl_add_u64 v[22:23], v[4:5], 1, v[22:23]
	s_and_saveexec_b32 s27, s3
	s_cbranch_execz .LBB160_30
; %bb.29:                               ;   in Loop: Header=BB160_5 Depth=1
	v_mul_f32_e32 v24, s38, v14
	s_delay_alu instid0(VALU_DEP_1) | instskip(SKIP_3) | instid1(VALU_DEP_4)
	v_and_b32_e32 v30, 0xffff, v24
	v_bfe_u32 v25, v24, 16, 1
	v_or_b32_e32 v31, 0x10000, v24
	v_and_b32_e32 v32, 0x7f800000, v24
	v_cmp_eq_u32_e32 vcc_lo, 0, v30
	s_delay_alu instid0(VALU_DEP_4) | instskip(NEXT) | instid1(VALU_DEP_4)
	v_add3_u32 v25, v24, v25, 0x7fff
	v_cndmask_b32_e32 v24, v31, v24, vcc_lo
	s_delay_alu instid0(VALU_DEP_4) | instskip(NEXT) | instid1(VALU_DEP_2)
	v_cmp_eq_u32_e32 vcc_lo, 0x7f800000, v32
	v_cndmask_b32_e32 v24, v25, v24, vcc_lo
	flat_store_d16_hi_b16 v[22:23], v24
.LBB160_30:                             ;   in Loop: Header=BB160_5 Depth=1
	s_wait_xcnt 0x0
	s_or_b32 exec_lo, exec_lo, s27
	s_delay_alu instid0(SALU_CYCLE_1)
	s_and_b32 exec_lo, exec_lo, s4
	s_cbranch_execz .LBB160_32
; %bb.31:                               ;   in Loop: Header=BB160_5 Depth=1
	v_mul_f32_e32 v24, s38, v15
	s_delay_alu instid0(VALU_DEP_1) | instskip(SKIP_3) | instid1(VALU_DEP_4)
	v_and_b32_e32 v30, 0xffff, v24
	v_bfe_u32 v25, v24, 16, 1
	v_or_b32_e32 v31, 0x10000, v24
	v_and_b32_e32 v32, 0x7f800000, v24
	v_cmp_eq_u32_e32 vcc_lo, 0, v30
	s_delay_alu instid0(VALU_DEP_4) | instskip(NEXT) | instid1(VALU_DEP_4)
	v_add3_u32 v25, v24, v25, 0x7fff
	v_cndmask_b32_e32 v24, v31, v24, vcc_lo
	s_delay_alu instid0(VALU_DEP_4) | instskip(NEXT) | instid1(VALU_DEP_2)
	v_cmp_eq_u32_e32 vcc_lo, 0x7f800000, v32
	v_cndmask_b32_e32 v24, v25, v24, vcc_lo
	flat_store_d16_hi_b16 v[22:23], v24 offset:32
.LBB160_32:                             ;   in Loop: Header=BB160_5 Depth=1
	s_wait_xcnt 0x0
	s_or_b32 exec_lo, exec_lo, s26
	s_cbranch_execnz .LBB160_4
.LBB160_33:                             ;   in Loop: Header=BB160_5 Depth=1
	s_and_saveexec_b32 s26, s2
	s_cbranch_execz .LBB160_3
; %bb.34:                               ;   in Loop: Header=BB160_5 Depth=1
	v_add_nc_u64_e32 v[18:19], s[20:21], v[18:19]
	v_lshl_add_u64 v[20:21], v[6:7], 1, v[20:21]
	s_delay_alu instid0(VALU_DEP_2) | instskip(NEXT) | instid1(VALU_DEP_1)
	v_lshl_add_u64 v[18:19], v[8:9], 1, v[18:19]
	v_lshl_add_u64 v[22:23], v[4:5], 1, v[18:19]
	s_and_saveexec_b32 s27, s3
	s_cbranch_execnz .LBB160_37
; %bb.35:                               ;   in Loop: Header=BB160_5 Depth=1
	s_or_b32 exec_lo, exec_lo, s27
	s_and_saveexec_b32 s27, s4
	s_cbranch_execnz .LBB160_46
.LBB160_36:                             ;   in Loop: Header=BB160_5 Depth=1
	s_or_b32 exec_lo, exec_lo, s27
	s_delay_alu instid0(SALU_CYCLE_1)
	s_and_b32 exec_lo, exec_lo, s5
	s_cbranch_execz .LBB160_3
	s_branch .LBB160_55
.LBB160_37:                             ;   in Loop: Header=BB160_5 Depth=1
	flat_load_u16 v24, v[22:23]
	s_wait_loadcnt_dscnt 0x0
	v_lshlrev_b32_e32 v24, 16, v24
	s_delay_alu instid0(VALU_DEP_1) | instskip(NEXT) | instid1(VALU_DEP_1)
	v_mul_f32_e32 v24, s39, v24
	v_and_b32_e32 v25, 0x7f800000, v24
	s_delay_alu instid0(VALU_DEP_1) | instskip(SKIP_2) | instid1(SALU_CYCLE_1)
	v_cmp_ne_u32_e32 vcc_lo, 0x7f800000, v25
                                        ; implicit-def: $vgpr25
	s_wait_xcnt 0x0
	s_and_saveexec_b32 s29, vcc_lo
	s_xor_b32 s29, exec_lo, s29
; %bb.38:                               ;   in Loop: Header=BB160_5 Depth=1
	v_bfe_u32 v25, v24, 16, 1
	s_delay_alu instid0(VALU_DEP_1)
	v_add3_u32 v25, v24, v25, 0x7fff
                                        ; implicit-def: $vgpr24
; %bb.39:                               ;   in Loop: Header=BB160_5 Depth=1
	s_and_not1_saveexec_b32 s29, s29
; %bb.40:                               ;   in Loop: Header=BB160_5 Depth=1
	v_and_b32_e32 v25, 0xffff, v24
	v_or_b32_e32 v30, 0x10000, v24
	s_delay_alu instid0(VALU_DEP_2) | instskip(NEXT) | instid1(VALU_DEP_2)
	v_cmp_eq_u32_e32 vcc_lo, 0, v25
	v_cndmask_b32_e32 v25, v30, v24, vcc_lo
; %bb.41:                               ;   in Loop: Header=BB160_5 Depth=1
	s_or_b32 exec_lo, exec_lo, s29
	s_delay_alu instid0(VALU_DEP_1) | instskip(NEXT) | instid1(VALU_DEP_1)
	v_fma_mix_f32_bf16 v16, s38, v16, v25 op_sel:[0,0,1] op_sel_hi:[0,0,1]
	v_and_b32_e32 v24, 0x7f800000, v16
	s_delay_alu instid0(VALU_DEP_1) | instskip(SKIP_1) | instid1(SALU_CYCLE_1)
	v_cmp_ne_u32_e32 vcc_lo, 0x7f800000, v24
                                        ; implicit-def: $vgpr24
	s_and_saveexec_b32 s29, vcc_lo
	s_xor_b32 s29, exec_lo, s29
; %bb.42:                               ;   in Loop: Header=BB160_5 Depth=1
	v_bfe_u32 v24, v16, 16, 1
	s_delay_alu instid0(VALU_DEP_1)
	v_add3_u32 v24, v16, v24, 0x7fff
                                        ; implicit-def: $vgpr16
; %bb.43:                               ;   in Loop: Header=BB160_5 Depth=1
	s_and_not1_saveexec_b32 s29, s29
; %bb.44:                               ;   in Loop: Header=BB160_5 Depth=1
	v_and_b32_e32 v24, 0xffff, v16
	v_or_b32_e32 v25, 0x10000, v16
	s_delay_alu instid0(VALU_DEP_2) | instskip(NEXT) | instid1(VALU_DEP_2)
	v_cmp_eq_u32_e32 vcc_lo, 0, v24
	v_cndmask_b32_e32 v24, v25, v16, vcc_lo
; %bb.45:                               ;   in Loop: Header=BB160_5 Depth=1
	s_or_b32 exec_lo, exec_lo, s29
	v_lshl_add_u64 v[30:31], v[4:5], 1, v[20:21]
	flat_store_d16_hi_b16 v[30:31], v24
	s_wait_xcnt 0x0
	s_or_b32 exec_lo, exec_lo, s27
	s_and_saveexec_b32 s27, s4
	s_cbranch_execz .LBB160_36
.LBB160_46:                             ;   in Loop: Header=BB160_5 Depth=1
	flat_load_u16 v16, v[22:23] offset:32
	s_wait_loadcnt_dscnt 0x0
	v_lshlrev_b32_e32 v16, 16, v16
	s_delay_alu instid0(VALU_DEP_1) | instskip(SKIP_1) | instid1(VALU_DEP_1)
	v_mul_f32_e32 v16, s39, v16
	s_wait_xcnt 0x0
	v_and_b32_e32 v22, 0x7f800000, v16
	s_delay_alu instid0(VALU_DEP_1) | instskip(SKIP_1) | instid1(SALU_CYCLE_1)
	v_cmp_ne_u32_e32 vcc_lo, 0x7f800000, v22
                                        ; implicit-def: $vgpr22
	s_and_saveexec_b32 s29, vcc_lo
	s_xor_b32 s29, exec_lo, s29
; %bb.47:                               ;   in Loop: Header=BB160_5 Depth=1
	v_bfe_u32 v22, v16, 16, 1
	s_delay_alu instid0(VALU_DEP_1)
	v_add3_u32 v22, v16, v22, 0x7fff
                                        ; implicit-def: $vgpr16
; %bb.48:                               ;   in Loop: Header=BB160_5 Depth=1
	s_and_not1_saveexec_b32 s29, s29
; %bb.49:                               ;   in Loop: Header=BB160_5 Depth=1
	v_and_b32_e32 v22, 0xffff, v16
	v_or_b32_e32 v23, 0x10000, v16
	s_delay_alu instid0(VALU_DEP_2) | instskip(NEXT) | instid1(VALU_DEP_2)
	v_cmp_eq_u32_e32 vcc_lo, 0, v22
	v_cndmask_b32_e32 v22, v23, v16, vcc_lo
; %bb.50:                               ;   in Loop: Header=BB160_5 Depth=1
	s_or_b32 exec_lo, exec_lo, s29
	s_delay_alu instid0(VALU_DEP_1) | instskip(NEXT) | instid1(VALU_DEP_1)
	v_fma_mix_f32_bf16 v16, s38, v17, v22 op_sel:[0,0,1] op_sel_hi:[0,0,1]
	v_and_b32_e32 v17, 0x7f800000, v16
	s_delay_alu instid0(VALU_DEP_1) | instskip(SKIP_1) | instid1(SALU_CYCLE_1)
	v_cmp_ne_u32_e32 vcc_lo, 0x7f800000, v17
                                        ; implicit-def: $vgpr17
	s_and_saveexec_b32 s29, vcc_lo
	s_xor_b32 s29, exec_lo, s29
; %bb.51:                               ;   in Loop: Header=BB160_5 Depth=1
	v_bfe_u32 v17, v16, 16, 1
	s_delay_alu instid0(VALU_DEP_1)
	v_add3_u32 v17, v16, v17, 0x7fff
                                        ; implicit-def: $vgpr16
; %bb.52:                               ;   in Loop: Header=BB160_5 Depth=1
	s_and_not1_saveexec_b32 s29, s29
; %bb.53:                               ;   in Loop: Header=BB160_5 Depth=1
	v_and_b32_e32 v17, 0xffff, v16
	v_or_b32_e32 v22, 0x10000, v16
	s_delay_alu instid0(VALU_DEP_2) | instskip(NEXT) | instid1(VALU_DEP_2)
	v_cmp_eq_u32_e32 vcc_lo, 0, v17
	v_cndmask_b32_e32 v17, v22, v16, vcc_lo
; %bb.54:                               ;   in Loop: Header=BB160_5 Depth=1
	s_or_b32 exec_lo, exec_lo, s29
	v_lshl_add_u64 v[22:23], v[4:5], 1, v[20:21]
	flat_store_d16_hi_b16 v[22:23], v17 offset:32
	s_wait_xcnt 0x0
	s_or_b32 exec_lo, exec_lo, s27
	s_delay_alu instid0(SALU_CYCLE_1)
	s_and_b32 exec_lo, exec_lo, s5
	s_cbranch_execz .LBB160_3
.LBB160_55:                             ;   in Loop: Header=BB160_5 Depth=1
	v_lshlrev_b64_e32 v[16:17], 1, v[4:5]
	v_lshl_add_u64 v[18:19], s[12:13], 1, v[18:19]
	v_lshl_add_u64 v[20:21], s[6:7], 1, v[20:21]
	s_delay_alu instid0(VALU_DEP_2) | instskip(NEXT) | instid1(VALU_DEP_2)
	v_add_nc_u64_e32 v[18:19], v[18:19], v[16:17]
	v_add_nc_u64_e32 v[16:17], v[20:21], v[16:17]
	s_and_saveexec_b32 s27, s3
	s_cbranch_execz .LBB160_65
; %bb.56:                               ;   in Loop: Header=BB160_5 Depth=1
	flat_load_u16 v20, v[18:19]
	s_wait_loadcnt_dscnt 0x0
	v_lshlrev_b32_e32 v20, 16, v20
	s_delay_alu instid0(VALU_DEP_1) | instskip(NEXT) | instid1(VALU_DEP_1)
	v_mul_f32_e32 v20, s39, v20
	v_and_b32_e32 v21, 0x7f800000, v20
	s_delay_alu instid0(VALU_DEP_1) | instskip(SKIP_2) | instid1(SALU_CYCLE_1)
	v_cmp_ne_u32_e32 vcc_lo, 0x7f800000, v21
                                        ; implicit-def: $vgpr21
	s_wait_xcnt 0x0
	s_and_saveexec_b32 s29, vcc_lo
	s_xor_b32 s29, exec_lo, s29
; %bb.57:                               ;   in Loop: Header=BB160_5 Depth=1
	v_bfe_u32 v21, v20, 16, 1
	s_delay_alu instid0(VALU_DEP_1)
	v_add3_u32 v21, v20, v21, 0x7fff
                                        ; implicit-def: $vgpr20
; %bb.58:                               ;   in Loop: Header=BB160_5 Depth=1
	s_and_not1_saveexec_b32 s29, s29
; %bb.59:                               ;   in Loop: Header=BB160_5 Depth=1
	v_and_b32_e32 v21, 0xffff, v20
	v_or_b32_e32 v22, 0x10000, v20
	s_delay_alu instid0(VALU_DEP_2) | instskip(NEXT) | instid1(VALU_DEP_2)
	v_cmp_eq_u32_e32 vcc_lo, 0, v21
	v_cndmask_b32_e32 v21, v22, v20, vcc_lo
; %bb.60:                               ;   in Loop: Header=BB160_5 Depth=1
	s_or_b32 exec_lo, exec_lo, s29
	s_delay_alu instid0(VALU_DEP_1) | instskip(NEXT) | instid1(VALU_DEP_1)
	v_fma_mix_f32_bf16 v14, s38, v14, v21 op_sel:[0,0,1] op_sel_hi:[0,0,1]
	v_and_b32_e32 v20, 0x7f800000, v14
	s_delay_alu instid0(VALU_DEP_1) | instskip(SKIP_1) | instid1(SALU_CYCLE_1)
	v_cmp_ne_u32_e32 vcc_lo, 0x7f800000, v20
                                        ; implicit-def: $vgpr20
	s_and_saveexec_b32 s29, vcc_lo
	s_xor_b32 s29, exec_lo, s29
; %bb.61:                               ;   in Loop: Header=BB160_5 Depth=1
	v_bfe_u32 v20, v14, 16, 1
	s_delay_alu instid0(VALU_DEP_1)
	v_add3_u32 v20, v14, v20, 0x7fff
                                        ; implicit-def: $vgpr14
; %bb.62:                               ;   in Loop: Header=BB160_5 Depth=1
	s_and_not1_saveexec_b32 s29, s29
; %bb.63:                               ;   in Loop: Header=BB160_5 Depth=1
	v_and_b32_e32 v20, 0xffff, v14
	v_or_b32_e32 v21, 0x10000, v14
	s_delay_alu instid0(VALU_DEP_2) | instskip(NEXT) | instid1(VALU_DEP_2)
	v_cmp_eq_u32_e32 vcc_lo, 0, v20
	v_cndmask_b32_e32 v20, v21, v14, vcc_lo
; %bb.64:                               ;   in Loop: Header=BB160_5 Depth=1
	s_or_b32 exec_lo, exec_lo, s29
	flat_store_d16_hi_b16 v[16:17], v20
.LBB160_65:                             ;   in Loop: Header=BB160_5 Depth=1
	s_wait_xcnt 0x0
	s_or_b32 exec_lo, exec_lo, s27
	s_delay_alu instid0(SALU_CYCLE_1)
	s_and_b32 exec_lo, exec_lo, s4
	s_cbranch_execz .LBB160_3
; %bb.66:                               ;   in Loop: Header=BB160_5 Depth=1
	flat_load_u16 v14, v[18:19] offset:32
	s_wait_loadcnt_dscnt 0x0
	v_lshlrev_b32_e32 v14, 16, v14
	s_delay_alu instid0(VALU_DEP_1) | instskip(SKIP_1) | instid1(VALU_DEP_1)
	v_mul_f32_e32 v14, s39, v14
	s_wait_xcnt 0x0
	v_and_b32_e32 v18, 0x7f800000, v14
	s_delay_alu instid0(VALU_DEP_1) | instskip(SKIP_1) | instid1(SALU_CYCLE_1)
	v_cmp_ne_u32_e32 vcc_lo, 0x7f800000, v18
                                        ; implicit-def: $vgpr18
	s_and_saveexec_b32 s27, vcc_lo
	s_xor_b32 s27, exec_lo, s27
; %bb.67:                               ;   in Loop: Header=BB160_5 Depth=1
	v_bfe_u32 v18, v14, 16, 1
	s_delay_alu instid0(VALU_DEP_1)
	v_add3_u32 v18, v14, v18, 0x7fff
                                        ; implicit-def: $vgpr14
; %bb.68:                               ;   in Loop: Header=BB160_5 Depth=1
	s_and_not1_saveexec_b32 s27, s27
; %bb.69:                               ;   in Loop: Header=BB160_5 Depth=1
	v_and_b32_e32 v18, 0xffff, v14
	v_or_b32_e32 v19, 0x10000, v14
	s_delay_alu instid0(VALU_DEP_2) | instskip(NEXT) | instid1(VALU_DEP_2)
	v_cmp_eq_u32_e32 vcc_lo, 0, v18
	v_cndmask_b32_e32 v18, v19, v14, vcc_lo
; %bb.70:                               ;   in Loop: Header=BB160_5 Depth=1
	s_or_b32 exec_lo, exec_lo, s27
	s_delay_alu instid0(VALU_DEP_1) | instskip(NEXT) | instid1(VALU_DEP_1)
	v_fma_mix_f32_bf16 v14, s38, v15, v18 op_sel:[0,0,1] op_sel_hi:[0,0,1]
	v_and_b32_e32 v15, 0x7f800000, v14
	s_delay_alu instid0(VALU_DEP_1) | instskip(SKIP_1) | instid1(SALU_CYCLE_1)
	v_cmp_ne_u32_e32 vcc_lo, 0x7f800000, v15
                                        ; implicit-def: $vgpr15
	s_and_saveexec_b32 s27, vcc_lo
	s_xor_b32 s27, exec_lo, s27
; %bb.71:                               ;   in Loop: Header=BB160_5 Depth=1
	v_bfe_u32 v15, v14, 16, 1
	s_delay_alu instid0(VALU_DEP_1)
	v_add3_u32 v15, v14, v15, 0x7fff
                                        ; implicit-def: $vgpr14
; %bb.72:                               ;   in Loop: Header=BB160_5 Depth=1
	s_and_not1_saveexec_b32 s27, s27
	s_cbranch_execz .LBB160_2
; %bb.73:                               ;   in Loop: Header=BB160_5 Depth=1
	v_and_b32_e32 v15, 0xffff, v14
	v_or_b32_e32 v18, 0x10000, v14
	s_delay_alu instid0(VALU_DEP_2) | instskip(NEXT) | instid1(VALU_DEP_2)
	v_cmp_eq_u32_e32 vcc_lo, 0, v15
	v_cndmask_b32_e32 v15, v18, v14, vcc_lo
	s_branch .LBB160_2
.LBB160_74:
	s_endpgm
	.section	.rodata,"a",@progbits
	.p2align	6, 0x0
	.amdhsa_kernel _ZN12_GLOBAL__N_135rocblas_gemm_batched_general_kernelIfLi16ELi16ELi32ELi32ELi8ELi32ELi8ELi8ELi32ELc78ELc84EKPK16rocblas_bfloat16S4_KPS1_EEvlllT_PT11_llS9_llS7_PT12_llPT13_lli
		.amdhsa_group_segment_fixed_size 2048
		.amdhsa_private_segment_fixed_size 0
		.amdhsa_kernarg_size 140
		.amdhsa_user_sgpr_count 2
		.amdhsa_user_sgpr_dispatch_ptr 0
		.amdhsa_user_sgpr_queue_ptr 0
		.amdhsa_user_sgpr_kernarg_segment_ptr 1
		.amdhsa_user_sgpr_dispatch_id 0
		.amdhsa_user_sgpr_kernarg_preload_length 0
		.amdhsa_user_sgpr_kernarg_preload_offset 0
		.amdhsa_user_sgpr_private_segment_size 0
		.amdhsa_wavefront_size32 1
		.amdhsa_uses_dynamic_stack 0
		.amdhsa_enable_private_segment 0
		.amdhsa_system_sgpr_workgroup_id_x 1
		.amdhsa_system_sgpr_workgroup_id_y 1
		.amdhsa_system_sgpr_workgroup_id_z 1
		.amdhsa_system_sgpr_workgroup_info 0
		.amdhsa_system_vgpr_workitem_id 1
		.amdhsa_next_free_vgpr 56
		.amdhsa_next_free_sgpr 46
		.amdhsa_named_barrier_count 0
		.amdhsa_reserve_vcc 1
		.amdhsa_float_round_mode_32 0
		.amdhsa_float_round_mode_16_64 0
		.amdhsa_float_denorm_mode_32 3
		.amdhsa_float_denorm_mode_16_64 3
		.amdhsa_fp16_overflow 0
		.amdhsa_memory_ordered 1
		.amdhsa_forward_progress 1
		.amdhsa_inst_pref_size 23
		.amdhsa_round_robin_scheduling 0
		.amdhsa_exception_fp_ieee_invalid_op 0
		.amdhsa_exception_fp_denorm_src 0
		.amdhsa_exception_fp_ieee_div_zero 0
		.amdhsa_exception_fp_ieee_overflow 0
		.amdhsa_exception_fp_ieee_underflow 0
		.amdhsa_exception_fp_ieee_inexact 0
		.amdhsa_exception_int_div_zero 0
	.end_amdhsa_kernel
	.section	.text._ZN12_GLOBAL__N_135rocblas_gemm_batched_general_kernelIfLi16ELi16ELi32ELi32ELi8ELi32ELi8ELi8ELi32ELc78ELc84EKPK16rocblas_bfloat16S4_KPS1_EEvlllT_PT11_llS9_llS7_PT12_llPT13_lli,"axG",@progbits,_ZN12_GLOBAL__N_135rocblas_gemm_batched_general_kernelIfLi16ELi16ELi32ELi32ELi8ELi32ELi8ELi8ELi32ELc78ELc84EKPK16rocblas_bfloat16S4_KPS1_EEvlllT_PT11_llS9_llS7_PT12_llPT13_lli,comdat
.Lfunc_end160:
	.size	_ZN12_GLOBAL__N_135rocblas_gemm_batched_general_kernelIfLi16ELi16ELi32ELi32ELi8ELi32ELi8ELi8ELi32ELc78ELc84EKPK16rocblas_bfloat16S4_KPS1_EEvlllT_PT11_llS9_llS7_PT12_llPT13_lli, .Lfunc_end160-_ZN12_GLOBAL__N_135rocblas_gemm_batched_general_kernelIfLi16ELi16ELi32ELi32ELi8ELi32ELi8ELi8ELi32ELc78ELc84EKPK16rocblas_bfloat16S4_KPS1_EEvlllT_PT11_llS9_llS7_PT12_llPT13_lli
                                        ; -- End function
	.set _ZN12_GLOBAL__N_135rocblas_gemm_batched_general_kernelIfLi16ELi16ELi32ELi32ELi8ELi32ELi8ELi8ELi32ELc78ELc84EKPK16rocblas_bfloat16S4_KPS1_EEvlllT_PT11_llS9_llS7_PT12_llPT13_lli.num_vgpr, 56
	.set _ZN12_GLOBAL__N_135rocblas_gemm_batched_general_kernelIfLi16ELi16ELi32ELi32ELi8ELi32ELi8ELi8ELi32ELc78ELc84EKPK16rocblas_bfloat16S4_KPS1_EEvlllT_PT11_llS9_llS7_PT12_llPT13_lli.num_agpr, 0
	.set _ZN12_GLOBAL__N_135rocblas_gemm_batched_general_kernelIfLi16ELi16ELi32ELi32ELi8ELi32ELi8ELi8ELi32ELc78ELc84EKPK16rocblas_bfloat16S4_KPS1_EEvlllT_PT11_llS9_llS7_PT12_llPT13_lli.numbered_sgpr, 46
	.set _ZN12_GLOBAL__N_135rocblas_gemm_batched_general_kernelIfLi16ELi16ELi32ELi32ELi8ELi32ELi8ELi8ELi32ELc78ELc84EKPK16rocblas_bfloat16S4_KPS1_EEvlllT_PT11_llS9_llS7_PT12_llPT13_lli.num_named_barrier, 0
	.set _ZN12_GLOBAL__N_135rocblas_gemm_batched_general_kernelIfLi16ELi16ELi32ELi32ELi8ELi32ELi8ELi8ELi32ELc78ELc84EKPK16rocblas_bfloat16S4_KPS1_EEvlllT_PT11_llS9_llS7_PT12_llPT13_lli.private_seg_size, 0
	.set _ZN12_GLOBAL__N_135rocblas_gemm_batched_general_kernelIfLi16ELi16ELi32ELi32ELi8ELi32ELi8ELi8ELi32ELc78ELc84EKPK16rocblas_bfloat16S4_KPS1_EEvlllT_PT11_llS9_llS7_PT12_llPT13_lli.uses_vcc, 1
	.set _ZN12_GLOBAL__N_135rocblas_gemm_batched_general_kernelIfLi16ELi16ELi32ELi32ELi8ELi32ELi8ELi8ELi32ELc78ELc84EKPK16rocblas_bfloat16S4_KPS1_EEvlllT_PT11_llS9_llS7_PT12_llPT13_lli.uses_flat_scratch, 0
	.set _ZN12_GLOBAL__N_135rocblas_gemm_batched_general_kernelIfLi16ELi16ELi32ELi32ELi8ELi32ELi8ELi8ELi32ELc78ELc84EKPK16rocblas_bfloat16S4_KPS1_EEvlllT_PT11_llS9_llS7_PT12_llPT13_lli.has_dyn_sized_stack, 0
	.set _ZN12_GLOBAL__N_135rocblas_gemm_batched_general_kernelIfLi16ELi16ELi32ELi32ELi8ELi32ELi8ELi8ELi32ELc78ELc84EKPK16rocblas_bfloat16S4_KPS1_EEvlllT_PT11_llS9_llS7_PT12_llPT13_lli.has_recursion, 0
	.set _ZN12_GLOBAL__N_135rocblas_gemm_batched_general_kernelIfLi16ELi16ELi32ELi32ELi8ELi32ELi8ELi8ELi32ELc78ELc84EKPK16rocblas_bfloat16S4_KPS1_EEvlllT_PT11_llS9_llS7_PT12_llPT13_lli.has_indirect_call, 0
	.section	.AMDGPU.csdata,"",@progbits
; Kernel info:
; codeLenInByte = 2912
; TotalNumSgprs: 48
; NumVgprs: 56
; ScratchSize: 0
; MemoryBound: 0
; FloatMode: 240
; IeeeMode: 1
; LDSByteSize: 2048 bytes/workgroup (compile time only)
; SGPRBlocks: 0
; VGPRBlocks: 3
; NumSGPRsForWavesPerEU: 48
; NumVGPRsForWavesPerEU: 56
; NamedBarCnt: 0
; Occupancy: 16
; WaveLimiterHint : 1
; COMPUTE_PGM_RSRC2:SCRATCH_EN: 0
; COMPUTE_PGM_RSRC2:USER_SGPR: 2
; COMPUTE_PGM_RSRC2:TRAP_HANDLER: 0
; COMPUTE_PGM_RSRC2:TGID_X_EN: 1
; COMPUTE_PGM_RSRC2:TGID_Y_EN: 1
; COMPUTE_PGM_RSRC2:TGID_Z_EN: 1
; COMPUTE_PGM_RSRC2:TIDIG_COMP_CNT: 1
	.section	.text._ZN12_GLOBAL__N_135rocblas_gemm_batched_general_kernelIfLi16ELi16ELi32ELi32ELi8ELi32ELi8ELi8ELi32ELc84ELc84EKPK16rocblas_bfloat16S4_KPS1_EEvlllT_PT11_llS9_llS7_PT12_llPT13_lli,"axG",@progbits,_ZN12_GLOBAL__N_135rocblas_gemm_batched_general_kernelIfLi16ELi16ELi32ELi32ELi8ELi32ELi8ELi8ELi32ELc84ELc84EKPK16rocblas_bfloat16S4_KPS1_EEvlllT_PT11_llS9_llS7_PT12_llPT13_lli,comdat
	.globl	_ZN12_GLOBAL__N_135rocblas_gemm_batched_general_kernelIfLi16ELi16ELi32ELi32ELi8ELi32ELi8ELi8ELi32ELc84ELc84EKPK16rocblas_bfloat16S4_KPS1_EEvlllT_PT11_llS9_llS7_PT12_llPT13_lli ; -- Begin function _ZN12_GLOBAL__N_135rocblas_gemm_batched_general_kernelIfLi16ELi16ELi32ELi32ELi8ELi32ELi8ELi8ELi32ELc84ELc84EKPK16rocblas_bfloat16S4_KPS1_EEvlllT_PT11_llS9_llS7_PT12_llPT13_lli
	.p2align	8
	.type	_ZN12_GLOBAL__N_135rocblas_gemm_batched_general_kernelIfLi16ELi16ELi32ELi32ELi8ELi32ELi8ELi8ELi32ELc84ELc84EKPK16rocblas_bfloat16S4_KPS1_EEvlllT_PT11_llS9_llS7_PT12_llPT13_lli,@function
_ZN12_GLOBAL__N_135rocblas_gemm_batched_general_kernelIfLi16ELi16ELi32ELi32ELi8ELi32ELi8ELi8ELi32ELc84ELc84EKPK16rocblas_bfloat16S4_KPS1_EEvlllT_PT11_llS9_llS7_PT12_llPT13_lli: ; @_ZN12_GLOBAL__N_135rocblas_gemm_batched_general_kernelIfLi16ELi16ELi32ELi32ELi8ELi32ELi8ELi8ELi32ELc84ELc84EKPK16rocblas_bfloat16S4_KPS1_EEvlllT_PT11_llS9_llS7_PT12_llPT13_lli
; %bb.0:
	s_load_b32 s33, s[0:1], 0x88
	s_bfe_u32 s2, ttmp6, 0x40014
	s_lshr_b32 s3, ttmp7, 16
	s_add_co_i32 s2, s2, 1
	s_bfe_u32 s5, ttmp6, 0x40008
	s_mul_i32 s4, s3, s2
	s_getreg_b32 s2, hwreg(HW_REG_IB_STS2, 6, 4)
	s_add_co_i32 s5, s5, s4
	s_cmp_eq_u32 s2, 0
	s_mov_b32 s35, 0
	s_cselect_b32 s34, s3, s5
	s_wait_kmcnt 0x0
	s_cmp_ge_i32 s34, s33
	s_cbranch_scc1 .LBB161_74
; %bb.1:
	v_bfe_u32 v10, v0, 10, 10
	v_and_b32_e32 v12, 0x3ff, v0
	s_clause 0x6
	s_load_b128 s[4:7], s[0:1], 0x0
	s_load_b96 s[36:38], s[0:1], 0x10
	s_load_b256 s[8:15], s[0:1], 0x20
	s_load_b128 s[24:27], s[0:1], 0x40
	s_load_b32 s39, s[0:1], 0x50
	s_load_b128 s[28:31], s[0:1], 0x78
	s_load_b256 s[16:23], s[0:1], 0x58
	s_wait_xcnt 0x0
	s_bfe_u32 s0, ttmp6, 0x4000c
	s_bfe_u32 s3, ttmp6, 0x40010
	s_add_co_i32 s0, s0, 1
	s_and_b32 s40, ttmp7, 0xffff
	s_add_co_i32 s3, s3, 1
	s_and_b32 s1, ttmp6, 15
	s_mul_i32 s0, ttmp9, s0
	s_mul_i32 s3, s40, s3
	s_bfe_u32 s41, ttmp6, 0x40004
	v_lshl_add_u32 v6, v10, 4, v12
	s_add_co_i32 s1, s1, s0
	s_add_co_i32 s41, s41, s3
	s_cmp_eq_u32 s2, 0
	s_delay_alu instid0(VALU_DEP_1) | instskip(SKIP_3) | instid1(VALU_DEP_1)
	v_dual_mov_b32 v1, 0 :: v_dual_bitop2_b32 v8, 31, v6 bitop3:0x40
	s_cselect_b32 s0, ttmp9, s1
	s_cselect_b32 s41, s40, s41
	s_ashr_i32 s1, s0, 31
	v_dual_mov_b32 v11, v1 :: v_dual_bitop2_b32 v2, 7, v0 bitop3:0x40
	v_dual_mov_b32 v3, v1 :: v_dual_lshrrev_b32 v0, 5, v6
	s_lshl_b64 s[2:3], s[0:1], 5
	v_dual_mov_b32 v17, v1 :: v_dual_lshrrev_b32 v16, 3, v6
	v_dual_mov_b32 v5, s3 :: v_dual_bitop2_b32 v4, s2, v8 bitop3:0x54
	s_wait_kmcnt 0x0
	v_mul_u64_e32 v[14:15], s[24:25], v[2:3]
	v_dual_lshlrev_b32 v9, 2, v2 :: v_dual_lshlrev_b32 v8, 2, v8
	s_lshl_b32 s0, s41, 5
	v_mul_u64_e32 v[18:19], s[10:11], v[4:5]
	s_mov_b32 s1, s35
	s_delay_alu instid0(VALU_DEP_2)
	v_lshl_or_b32 v9, v16, 5, v9
	v_add_nc_u64_e32 v[6:7], s[0:1], v[16:17]
	v_add_nc_u64_e32 v[20:21], s[0:1], v[10:11]
	v_dual_mov_b32 v13, v1 :: v_dual_lshlrev_b32 v28, 2, v12
	v_lshl_or_b32 v26, v0, 7, v8
	v_add_nc_u32_e32 v27, 0x400, v9
	v_cmp_gt_i64_e64 s0, s[4:5], v[4:5]
	v_cmp_gt_i64_e64 s1, s[6:7], v[6:7]
	v_mul_u64_e32 v[6:7], s[28:29], v[20:21]
	v_mul_u64_e32 v[8:9], s[18:19], v[20:21]
	v_add_nc_u64_e32 v[4:5], s[2:3], v[12:13]
	s_cmp_eq_f32 s39, 0
	v_lshl_add_u32 v29, v10, 5, 0x400
	s_mov_b32 s11, s35
	v_cmp_gt_i64_e64 s2, s[6:7], v[20:21]
	s_cselect_b32 s40, -1, 0
	s_lshl_b32 s10, s41, 6
	v_add_nc_u64_e32 v[10:11], 16, v[4:5]
	s_lshl_b64 s[26:27], s[26:27], 1
	v_cmp_gt_i64_e64 s3, s[4:5], v[4:5]
	s_add_nc_u64 s[10:11], s[26:27], s[10:11]
	v_cmp_gt_i64_e64 s26, s[36:37], 0
	s_lshl_b64 s[20:21], s[20:21], 1
	v_cmp_gt_i64_e64 s4, s[4:5], v[10:11]
	v_add_nc_u64_e32 v[10:11], 16, v[20:21]
	v_lshl_add_u64 v[12:13], v[14:15], 1, s[10:11]
	s_lshl_b64 s[10:11], s[12:13], 1
	v_dual_mov_b32 v15, v1 :: v_dual_lshlrev_b32 v14, 1, v16
	v_lshl_add_u64 v[16:17], v[18:19], 1, s[10:11]
	v_dual_mov_b32 v19, v1 :: v_dual_lshlrev_b32 v18, 1, v0
	v_cmp_gt_i64_e64 s5, s[6:7], v[10:11]
	s_delay_alu instid0(VALU_DEP_4)
	v_add_nc_u64_e32 v[10:11], v[12:13], v[14:15]
	s_lshl_b64 s[6:7], s[28:29], 4
	s_lshl_b64 s[10:11], s[18:19], 4
	v_add_nc_u64_e32 v[12:13], v[16:17], v[18:19]
	s_lshl_b64 s[12:13], s[24:25], 4
	s_lshl_b64 s[18:19], s[30:31], 1
	s_branch .LBB161_5
.LBB161_2:                              ;   in Loop: Header=BB161_5 Depth=1
	s_or_b32 exec_lo, exec_lo, s25
	flat_store_d16_hi_b16 v[16:17], v15 offset:32
.LBB161_3:                              ;   in Loop: Header=BB161_5 Depth=1
	s_wait_xcnt 0x0
	s_or_b32 exec_lo, exec_lo, s24
.LBB161_4:                              ;   in Loop: Header=BB161_5 Depth=1
	s_add_co_i32 s34, s34, 0x10000
	s_delay_alu instid0(SALU_CYCLE_1)
	s_cmp_lt_i32 s34, s33
	s_cbranch_scc0 .LBB161_74
.LBB161_5:                              ; =>This Loop Header: Depth=1
                                        ;     Child Loop BB161_8 Depth 2
	v_dual_mov_b32 v14, s34 :: v_dual_mov_b32 v17, 0
	v_dual_mov_b32 v16, 0 :: v_dual_mov_b32 v15, 0
	s_and_not1_b32 vcc_lo, exec_lo, s26
	s_clause 0x1
	global_load_b64 v[18:19], v14, s[16:17] scale_offset
	global_load_b64 v[20:21], v14, s[22:23] scale_offset
	s_wait_xcnt 0x0
	v_mov_b32_e32 v14, 0
	s_cbranch_vccnz .LBB161_12
; %bb.6:                                ;   in Loop: Header=BB161_5 Depth=1
	s_lshl_b64 s[24:25], s[34:35], 3
	v_mov_b32_e32 v16, 0
	s_add_nc_u64 s[28:29], s[14:15], s[24:25]
	s_add_nc_u64 s[24:25], s[8:9], s[24:25]
	s_clause 0x1
	global_load_b64 v[14:15], v1, s[28:29]
	global_load_b64 v[24:25], v1, s[24:25]
	s_wait_xcnt 0x0
	s_mov_b64 s[24:25], 0
	v_mov_b32_e32 v17, v16
	s_wait_loadcnt 0x1
	v_add_nc_u64_e32 v[22:23], v[14:15], v[10:11]
	s_wait_loadcnt 0x0
	v_add_nc_u64_e32 v[24:25], v[24:25], v[12:13]
	v_dual_mov_b32 v14, v16 :: v_dual_mov_b32 v15, v16
	s_branch .LBB161_8
.LBB161_7:                              ;   in Loop: Header=BB161_8 Depth=2
	s_wait_xcnt 0x0
	s_or_b32 exec_lo, exec_lo, s27
	ds_store_b32 v27, v31
	s_wait_dscnt 0x0
	s_barrier_signal -1
	s_barrier_wait -1
	ds_load_b128 v[30:33], v29
	ds_load_2addr_b32 v[46:47], v28 offset1:16
	ds_load_b128 v[34:37], v29 offset:512
	ds_load_2addr_b32 v[48:49], v28 offset0:32 offset1:48
	ds_load_2addr_b32 v[50:51], v28 offset0:64 offset1:80
	;; [unrolled: 1-line block ×3, first 2 shown]
	ds_load_b128 v[38:41], v29 offset:16
	ds_load_2addr_b32 v[54:55], v28 offset0:128 offset1:144
	ds_load_b128 v[42:45], v29 offset:528
	s_add_nc_u64 s[24:25], s[24:25], 8
	v_add_nc_u64_e32 v[22:23], s[12:13], v[22:23]
	v_cmp_lt_i64_e64 s27, s[24:25], s[36:37]
	v_add_nc_u64_e32 v[24:25], 16, v[24:25]
	s_and_b32 vcc_lo, exec_lo, s27
	s_wait_dscnt 0x7
	v_pk_fma_f32 v[16:17], v[46:47], v[30:31], v[16:17] op_sel_hi:[1,0,1]
	s_wait_dscnt 0x6
	v_pk_fma_f32 v[14:15], v[46:47], v[34:35], v[14:15] op_sel_hi:[1,0,1]
	ds_load_2addr_b32 v[46:47], v28 offset0:160 offset1:176
	s_wait_dscnt 0x6
	v_pk_fma_f32 v[16:17], v[48:49], v[30:31], v[16:17] op_sel:[0,1,0]
	v_pk_fma_f32 v[14:15], v[48:49], v[34:35], v[14:15] op_sel:[0,1,0]
	ds_load_2addr_b32 v[30:31], v28 offset0:192 offset1:208
	v_dual_mov_b32 v34, v33 :: v_dual_mov_b32 v48, v37
	s_wait_dscnt 0x6
	v_pk_fma_f32 v[16:17], v[50:51], v[32:33], v[16:17] op_sel_hi:[1,0,1]
	v_pk_fma_f32 v[14:15], v[50:51], v[36:37], v[14:15] op_sel_hi:[1,0,1]
	ds_load_2addr_b32 v[32:33], v28 offset0:224 offset1:240
	s_wait_dscnt 0x3
	v_mov_b32_e32 v36, v45
	s_wait_dscnt 0x0
	v_pk_fma_f32 v[16:17], v[52:53], v[34:35], v[16:17] op_sel_hi:[1,0,1]
	v_pk_fma_f32 v[14:15], v[52:53], v[48:49], v[14:15] op_sel_hi:[1,0,1]
	v_mov_b32_e32 v34, v41
	s_barrier_signal -1
	s_barrier_wait -1
	v_pk_fma_f32 v[16:17], v[54:55], v[38:39], v[16:17] op_sel_hi:[1,0,1]
	v_pk_fma_f32 v[14:15], v[54:55], v[42:43], v[14:15] op_sel_hi:[1,0,1]
	s_delay_alu instid0(VALU_DEP_2) | instskip(NEXT) | instid1(VALU_DEP_2)
	v_pk_fma_f32 v[16:17], v[46:47], v[38:39], v[16:17] op_sel:[0,1,0]
	v_pk_fma_f32 v[14:15], v[46:47], v[42:43], v[14:15] op_sel:[0,1,0]
	s_delay_alu instid0(VALU_DEP_2) | instskip(NEXT) | instid1(VALU_DEP_2)
	v_pk_fma_f32 v[16:17], v[30:31], v[40:41], v[16:17] op_sel_hi:[1,0,1]
	v_pk_fma_f32 v[14:15], v[30:31], v[44:45], v[14:15] op_sel_hi:[1,0,1]
	s_delay_alu instid0(VALU_DEP_2) | instskip(NEXT) | instid1(VALU_DEP_2)
	v_pk_fma_f32 v[16:17], v[32:33], v[34:35], v[16:17] op_sel_hi:[1,0,1]
	v_pk_fma_f32 v[14:15], v[32:33], v[36:37], v[14:15] op_sel_hi:[1,0,1]
	s_cbranch_vccz .LBB161_12
.LBB161_8:                              ;   Parent Loop BB161_5 Depth=1
                                        ; =>  This Inner Loop Header: Depth=2
	v_add_nc_u64_e32 v[30:31], s[24:25], v[0:1]
	s_delay_alu instid0(VALU_DEP_1) | instskip(SKIP_2) | instid1(SALU_CYCLE_1)
	v_cmp_gt_i64_e32 vcc_lo, s[36:37], v[30:31]
	v_mov_b32_e32 v30, 0
	s_and_b32 s28, s0, vcc_lo
	s_and_saveexec_b32 s27, s28
	s_cbranch_execz .LBB161_10
; %bb.9:                                ;   in Loop: Header=BB161_8 Depth=2
	flat_load_u16 v30, v[24:25]
	s_wait_loadcnt_dscnt 0x0
	v_lshlrev_b32_e32 v30, 16, v30
.LBB161_10:                             ;   in Loop: Header=BB161_8 Depth=2
	s_wait_xcnt 0x0
	s_or_b32 exec_lo, exec_lo, s27
	v_add_nc_u64_e32 v[32:33], s[24:25], v[2:3]
	v_mov_b32_e32 v31, 0
	ds_store_b32 v26, v30
	v_cmp_gt_i64_e32 vcc_lo, s[36:37], v[32:33]
	s_and_b32 s28, vcc_lo, s1
	s_delay_alu instid0(SALU_CYCLE_1)
	s_and_saveexec_b32 s27, s28
	s_cbranch_execz .LBB161_7
; %bb.11:                               ;   in Loop: Header=BB161_8 Depth=2
	flat_load_u16 v30, v[22:23]
	s_wait_loadcnt_dscnt 0x0
	v_lshlrev_b32_e32 v31, 16, v30
	s_branch .LBB161_7
.LBB161_12:                             ;   in Loop: Header=BB161_5 Depth=1
	s_wait_loadcnt 0x0
	v_add_nc_u64_e32 v[20:21], s[18:19], v[20:21]
	s_and_not1_b32 vcc_lo, exec_lo, s40
	s_cbranch_vccnz .LBB161_17
; %bb.13:                               ;   in Loop: Header=BB161_5 Depth=1
	s_and_saveexec_b32 s24, s2
	s_cbranch_execz .LBB161_32
; %bb.14:                               ;   in Loop: Header=BB161_5 Depth=1
	s_delay_alu instid0(VALU_DEP_1)
	v_lshl_add_u64 v[22:23], v[6:7], 1, v[20:21]
	s_and_saveexec_b32 s25, s3
	s_cbranch_execnz .LBB161_18
; %bb.15:                               ;   in Loop: Header=BB161_5 Depth=1
	s_or_b32 exec_lo, exec_lo, s25
	s_and_saveexec_b32 s25, s4
	s_cbranch_execnz .LBB161_23
.LBB161_16:                             ;   in Loop: Header=BB161_5 Depth=1
	s_or_b32 exec_lo, exec_lo, s25
	s_delay_alu instid0(SALU_CYCLE_1)
	s_and_b32 exec_lo, exec_lo, s5
	s_cbranch_execnz .LBB161_28
	s_branch .LBB161_32
.LBB161_17:                             ;   in Loop: Header=BB161_5 Depth=1
	s_branch .LBB161_33
.LBB161_18:                             ;   in Loop: Header=BB161_5 Depth=1
	v_mul_f32_e32 v24, s38, v16
	s_delay_alu instid0(VALU_DEP_1) | instskip(NEXT) | instid1(VALU_DEP_1)
	v_and_b32_e32 v25, 0x7f800000, v24
	v_cmp_ne_u32_e32 vcc_lo, 0x7f800000, v25
                                        ; implicit-def: $vgpr25
	s_and_saveexec_b32 s27, vcc_lo
	s_delay_alu instid0(SALU_CYCLE_1)
	s_xor_b32 s27, exec_lo, s27
; %bb.19:                               ;   in Loop: Header=BB161_5 Depth=1
	v_bfe_u32 v25, v24, 16, 1
	s_delay_alu instid0(VALU_DEP_1)
	v_add3_u32 v25, v24, v25, 0x7fff
                                        ; implicit-def: $vgpr24
; %bb.20:                               ;   in Loop: Header=BB161_5 Depth=1
	s_and_not1_saveexec_b32 s27, s27
; %bb.21:                               ;   in Loop: Header=BB161_5 Depth=1
	v_and_b32_e32 v25, 0xffff, v24
	v_or_b32_e32 v30, 0x10000, v24
	s_delay_alu instid0(VALU_DEP_2) | instskip(NEXT) | instid1(VALU_DEP_2)
	v_cmp_eq_u32_e32 vcc_lo, 0, v25
	v_cndmask_b32_e32 v25, v30, v24, vcc_lo
; %bb.22:                               ;   in Loop: Header=BB161_5 Depth=1
	s_or_b32 exec_lo, exec_lo, s27
	v_lshl_add_u64 v[30:31], v[4:5], 1, v[22:23]
	flat_store_d16_hi_b16 v[30:31], v25
	s_wait_xcnt 0x0
	s_or_b32 exec_lo, exec_lo, s25
	s_and_saveexec_b32 s25, s4
	s_cbranch_execz .LBB161_16
.LBB161_23:                             ;   in Loop: Header=BB161_5 Depth=1
	v_mul_f32_e32 v24, s38, v17
	s_delay_alu instid0(VALU_DEP_1) | instskip(NEXT) | instid1(VALU_DEP_1)
	v_and_b32_e32 v25, 0x7f800000, v24
	v_cmp_ne_u32_e32 vcc_lo, 0x7f800000, v25
                                        ; implicit-def: $vgpr25
	s_and_saveexec_b32 s27, vcc_lo
	s_delay_alu instid0(SALU_CYCLE_1)
	s_xor_b32 s27, exec_lo, s27
; %bb.24:                               ;   in Loop: Header=BB161_5 Depth=1
	v_bfe_u32 v25, v24, 16, 1
	s_delay_alu instid0(VALU_DEP_1)
	v_add3_u32 v25, v24, v25, 0x7fff
                                        ; implicit-def: $vgpr24
; %bb.25:                               ;   in Loop: Header=BB161_5 Depth=1
	s_and_not1_saveexec_b32 s27, s27
; %bb.26:                               ;   in Loop: Header=BB161_5 Depth=1
	v_and_b32_e32 v25, 0xffff, v24
	v_or_b32_e32 v30, 0x10000, v24
	s_delay_alu instid0(VALU_DEP_2) | instskip(NEXT) | instid1(VALU_DEP_2)
	v_cmp_eq_u32_e32 vcc_lo, 0, v25
	v_cndmask_b32_e32 v25, v30, v24, vcc_lo
; %bb.27:                               ;   in Loop: Header=BB161_5 Depth=1
	s_or_b32 exec_lo, exec_lo, s27
	v_lshl_add_u64 v[30:31], v[4:5], 1, v[22:23]
	flat_store_d16_hi_b16 v[30:31], v25 offset:32
	s_wait_xcnt 0x0
	s_or_b32 exec_lo, exec_lo, s25
	s_delay_alu instid0(SALU_CYCLE_1)
	s_and_b32 exec_lo, exec_lo, s5
	s_cbranch_execz .LBB161_32
.LBB161_28:                             ;   in Loop: Header=BB161_5 Depth=1
	v_lshl_add_u64 v[22:23], s[6:7], 1, v[22:23]
	s_delay_alu instid0(VALU_DEP_1)
	v_lshl_add_u64 v[22:23], v[4:5], 1, v[22:23]
	s_and_saveexec_b32 s25, s3
	s_cbranch_execz .LBB161_30
; %bb.29:                               ;   in Loop: Header=BB161_5 Depth=1
	v_mul_f32_e32 v24, s38, v14
	s_delay_alu instid0(VALU_DEP_1) | instskip(SKIP_3) | instid1(VALU_DEP_4)
	v_and_b32_e32 v30, 0xffff, v24
	v_bfe_u32 v25, v24, 16, 1
	v_or_b32_e32 v31, 0x10000, v24
	v_and_b32_e32 v32, 0x7f800000, v24
	v_cmp_eq_u32_e32 vcc_lo, 0, v30
	s_delay_alu instid0(VALU_DEP_4) | instskip(NEXT) | instid1(VALU_DEP_4)
	v_add3_u32 v25, v24, v25, 0x7fff
	v_cndmask_b32_e32 v24, v31, v24, vcc_lo
	s_delay_alu instid0(VALU_DEP_4) | instskip(NEXT) | instid1(VALU_DEP_2)
	v_cmp_eq_u32_e32 vcc_lo, 0x7f800000, v32
	v_cndmask_b32_e32 v24, v25, v24, vcc_lo
	flat_store_d16_hi_b16 v[22:23], v24
.LBB161_30:                             ;   in Loop: Header=BB161_5 Depth=1
	s_wait_xcnt 0x0
	s_or_b32 exec_lo, exec_lo, s25
	s_delay_alu instid0(SALU_CYCLE_1)
	s_and_b32 exec_lo, exec_lo, s4
	s_cbranch_execz .LBB161_32
; %bb.31:                               ;   in Loop: Header=BB161_5 Depth=1
	v_mul_f32_e32 v24, s38, v15
	s_delay_alu instid0(VALU_DEP_1) | instskip(SKIP_3) | instid1(VALU_DEP_4)
	v_and_b32_e32 v30, 0xffff, v24
	v_bfe_u32 v25, v24, 16, 1
	v_or_b32_e32 v31, 0x10000, v24
	v_and_b32_e32 v32, 0x7f800000, v24
	v_cmp_eq_u32_e32 vcc_lo, 0, v30
	s_delay_alu instid0(VALU_DEP_4) | instskip(NEXT) | instid1(VALU_DEP_4)
	v_add3_u32 v25, v24, v25, 0x7fff
	v_cndmask_b32_e32 v24, v31, v24, vcc_lo
	s_delay_alu instid0(VALU_DEP_4) | instskip(NEXT) | instid1(VALU_DEP_2)
	v_cmp_eq_u32_e32 vcc_lo, 0x7f800000, v32
	v_cndmask_b32_e32 v24, v25, v24, vcc_lo
	flat_store_d16_hi_b16 v[22:23], v24 offset:32
.LBB161_32:                             ;   in Loop: Header=BB161_5 Depth=1
	s_wait_xcnt 0x0
	s_or_b32 exec_lo, exec_lo, s24
	s_cbranch_execnz .LBB161_4
.LBB161_33:                             ;   in Loop: Header=BB161_5 Depth=1
	s_and_saveexec_b32 s24, s2
	s_cbranch_execz .LBB161_3
; %bb.34:                               ;   in Loop: Header=BB161_5 Depth=1
	v_add_nc_u64_e32 v[18:19], s[20:21], v[18:19]
	v_lshl_add_u64 v[20:21], v[6:7], 1, v[20:21]
	s_delay_alu instid0(VALU_DEP_2) | instskip(NEXT) | instid1(VALU_DEP_1)
	v_lshl_add_u64 v[18:19], v[8:9], 1, v[18:19]
	v_lshl_add_u64 v[22:23], v[4:5], 1, v[18:19]
	s_and_saveexec_b32 s25, s3
	s_cbranch_execnz .LBB161_37
; %bb.35:                               ;   in Loop: Header=BB161_5 Depth=1
	s_or_b32 exec_lo, exec_lo, s25
	s_and_saveexec_b32 s25, s4
	s_cbranch_execnz .LBB161_46
.LBB161_36:                             ;   in Loop: Header=BB161_5 Depth=1
	s_or_b32 exec_lo, exec_lo, s25
	s_delay_alu instid0(SALU_CYCLE_1)
	s_and_b32 exec_lo, exec_lo, s5
	s_cbranch_execz .LBB161_3
	s_branch .LBB161_55
.LBB161_37:                             ;   in Loop: Header=BB161_5 Depth=1
	flat_load_u16 v24, v[22:23]
	s_wait_loadcnt_dscnt 0x0
	v_lshlrev_b32_e32 v24, 16, v24
	s_delay_alu instid0(VALU_DEP_1) | instskip(NEXT) | instid1(VALU_DEP_1)
	v_mul_f32_e32 v24, s39, v24
	v_and_b32_e32 v25, 0x7f800000, v24
	s_delay_alu instid0(VALU_DEP_1) | instskip(SKIP_2) | instid1(SALU_CYCLE_1)
	v_cmp_ne_u32_e32 vcc_lo, 0x7f800000, v25
                                        ; implicit-def: $vgpr25
	s_wait_xcnt 0x0
	s_and_saveexec_b32 s27, vcc_lo
	s_xor_b32 s27, exec_lo, s27
; %bb.38:                               ;   in Loop: Header=BB161_5 Depth=1
	v_bfe_u32 v25, v24, 16, 1
	s_delay_alu instid0(VALU_DEP_1)
	v_add3_u32 v25, v24, v25, 0x7fff
                                        ; implicit-def: $vgpr24
; %bb.39:                               ;   in Loop: Header=BB161_5 Depth=1
	s_and_not1_saveexec_b32 s27, s27
; %bb.40:                               ;   in Loop: Header=BB161_5 Depth=1
	v_and_b32_e32 v25, 0xffff, v24
	v_or_b32_e32 v30, 0x10000, v24
	s_delay_alu instid0(VALU_DEP_2) | instskip(NEXT) | instid1(VALU_DEP_2)
	v_cmp_eq_u32_e32 vcc_lo, 0, v25
	v_cndmask_b32_e32 v25, v30, v24, vcc_lo
; %bb.41:                               ;   in Loop: Header=BB161_5 Depth=1
	s_or_b32 exec_lo, exec_lo, s27
	s_delay_alu instid0(VALU_DEP_1) | instskip(NEXT) | instid1(VALU_DEP_1)
	v_fma_mix_f32_bf16 v16, s38, v16, v25 op_sel:[0,0,1] op_sel_hi:[0,0,1]
	v_and_b32_e32 v24, 0x7f800000, v16
	s_delay_alu instid0(VALU_DEP_1) | instskip(SKIP_1) | instid1(SALU_CYCLE_1)
	v_cmp_ne_u32_e32 vcc_lo, 0x7f800000, v24
                                        ; implicit-def: $vgpr24
	s_and_saveexec_b32 s27, vcc_lo
	s_xor_b32 s27, exec_lo, s27
; %bb.42:                               ;   in Loop: Header=BB161_5 Depth=1
	v_bfe_u32 v24, v16, 16, 1
	s_delay_alu instid0(VALU_DEP_1)
	v_add3_u32 v24, v16, v24, 0x7fff
                                        ; implicit-def: $vgpr16
; %bb.43:                               ;   in Loop: Header=BB161_5 Depth=1
	s_and_not1_saveexec_b32 s27, s27
; %bb.44:                               ;   in Loop: Header=BB161_5 Depth=1
	v_and_b32_e32 v24, 0xffff, v16
	v_or_b32_e32 v25, 0x10000, v16
	s_delay_alu instid0(VALU_DEP_2) | instskip(NEXT) | instid1(VALU_DEP_2)
	v_cmp_eq_u32_e32 vcc_lo, 0, v24
	v_cndmask_b32_e32 v24, v25, v16, vcc_lo
; %bb.45:                               ;   in Loop: Header=BB161_5 Depth=1
	s_or_b32 exec_lo, exec_lo, s27
	v_lshl_add_u64 v[30:31], v[4:5], 1, v[20:21]
	flat_store_d16_hi_b16 v[30:31], v24
	s_wait_xcnt 0x0
	s_or_b32 exec_lo, exec_lo, s25
	s_and_saveexec_b32 s25, s4
	s_cbranch_execz .LBB161_36
.LBB161_46:                             ;   in Loop: Header=BB161_5 Depth=1
	flat_load_u16 v16, v[22:23] offset:32
	s_wait_loadcnt_dscnt 0x0
	v_lshlrev_b32_e32 v16, 16, v16
	s_delay_alu instid0(VALU_DEP_1) | instskip(SKIP_1) | instid1(VALU_DEP_1)
	v_mul_f32_e32 v16, s39, v16
	s_wait_xcnt 0x0
	v_and_b32_e32 v22, 0x7f800000, v16
	s_delay_alu instid0(VALU_DEP_1) | instskip(SKIP_1) | instid1(SALU_CYCLE_1)
	v_cmp_ne_u32_e32 vcc_lo, 0x7f800000, v22
                                        ; implicit-def: $vgpr22
	s_and_saveexec_b32 s27, vcc_lo
	s_xor_b32 s27, exec_lo, s27
; %bb.47:                               ;   in Loop: Header=BB161_5 Depth=1
	v_bfe_u32 v22, v16, 16, 1
	s_delay_alu instid0(VALU_DEP_1)
	v_add3_u32 v22, v16, v22, 0x7fff
                                        ; implicit-def: $vgpr16
; %bb.48:                               ;   in Loop: Header=BB161_5 Depth=1
	s_and_not1_saveexec_b32 s27, s27
; %bb.49:                               ;   in Loop: Header=BB161_5 Depth=1
	v_and_b32_e32 v22, 0xffff, v16
	v_or_b32_e32 v23, 0x10000, v16
	s_delay_alu instid0(VALU_DEP_2) | instskip(NEXT) | instid1(VALU_DEP_2)
	v_cmp_eq_u32_e32 vcc_lo, 0, v22
	v_cndmask_b32_e32 v22, v23, v16, vcc_lo
; %bb.50:                               ;   in Loop: Header=BB161_5 Depth=1
	s_or_b32 exec_lo, exec_lo, s27
	s_delay_alu instid0(VALU_DEP_1) | instskip(NEXT) | instid1(VALU_DEP_1)
	v_fma_mix_f32_bf16 v16, s38, v17, v22 op_sel:[0,0,1] op_sel_hi:[0,0,1]
	v_and_b32_e32 v17, 0x7f800000, v16
	s_delay_alu instid0(VALU_DEP_1) | instskip(SKIP_1) | instid1(SALU_CYCLE_1)
	v_cmp_ne_u32_e32 vcc_lo, 0x7f800000, v17
                                        ; implicit-def: $vgpr17
	s_and_saveexec_b32 s27, vcc_lo
	s_xor_b32 s27, exec_lo, s27
; %bb.51:                               ;   in Loop: Header=BB161_5 Depth=1
	v_bfe_u32 v17, v16, 16, 1
	s_delay_alu instid0(VALU_DEP_1)
	v_add3_u32 v17, v16, v17, 0x7fff
                                        ; implicit-def: $vgpr16
; %bb.52:                               ;   in Loop: Header=BB161_5 Depth=1
	s_and_not1_saveexec_b32 s27, s27
; %bb.53:                               ;   in Loop: Header=BB161_5 Depth=1
	v_and_b32_e32 v17, 0xffff, v16
	v_or_b32_e32 v22, 0x10000, v16
	s_delay_alu instid0(VALU_DEP_2) | instskip(NEXT) | instid1(VALU_DEP_2)
	v_cmp_eq_u32_e32 vcc_lo, 0, v17
	v_cndmask_b32_e32 v17, v22, v16, vcc_lo
; %bb.54:                               ;   in Loop: Header=BB161_5 Depth=1
	s_or_b32 exec_lo, exec_lo, s27
	v_lshl_add_u64 v[22:23], v[4:5], 1, v[20:21]
	flat_store_d16_hi_b16 v[22:23], v17 offset:32
	s_wait_xcnt 0x0
	s_or_b32 exec_lo, exec_lo, s25
	s_delay_alu instid0(SALU_CYCLE_1)
	s_and_b32 exec_lo, exec_lo, s5
	s_cbranch_execz .LBB161_3
.LBB161_55:                             ;   in Loop: Header=BB161_5 Depth=1
	v_lshlrev_b64_e32 v[16:17], 1, v[4:5]
	v_lshl_add_u64 v[18:19], s[10:11], 1, v[18:19]
	v_lshl_add_u64 v[20:21], s[6:7], 1, v[20:21]
	s_delay_alu instid0(VALU_DEP_2) | instskip(NEXT) | instid1(VALU_DEP_2)
	v_add_nc_u64_e32 v[18:19], v[18:19], v[16:17]
	v_add_nc_u64_e32 v[16:17], v[20:21], v[16:17]
	s_and_saveexec_b32 s25, s3
	s_cbranch_execz .LBB161_65
; %bb.56:                               ;   in Loop: Header=BB161_5 Depth=1
	flat_load_u16 v20, v[18:19]
	s_wait_loadcnt_dscnt 0x0
	v_lshlrev_b32_e32 v20, 16, v20
	s_delay_alu instid0(VALU_DEP_1) | instskip(NEXT) | instid1(VALU_DEP_1)
	v_mul_f32_e32 v20, s39, v20
	v_and_b32_e32 v21, 0x7f800000, v20
	s_delay_alu instid0(VALU_DEP_1) | instskip(SKIP_2) | instid1(SALU_CYCLE_1)
	v_cmp_ne_u32_e32 vcc_lo, 0x7f800000, v21
                                        ; implicit-def: $vgpr21
	s_wait_xcnt 0x0
	s_and_saveexec_b32 s27, vcc_lo
	s_xor_b32 s27, exec_lo, s27
; %bb.57:                               ;   in Loop: Header=BB161_5 Depth=1
	v_bfe_u32 v21, v20, 16, 1
	s_delay_alu instid0(VALU_DEP_1)
	v_add3_u32 v21, v20, v21, 0x7fff
                                        ; implicit-def: $vgpr20
; %bb.58:                               ;   in Loop: Header=BB161_5 Depth=1
	s_and_not1_saveexec_b32 s27, s27
; %bb.59:                               ;   in Loop: Header=BB161_5 Depth=1
	v_and_b32_e32 v21, 0xffff, v20
	v_or_b32_e32 v22, 0x10000, v20
	s_delay_alu instid0(VALU_DEP_2) | instskip(NEXT) | instid1(VALU_DEP_2)
	v_cmp_eq_u32_e32 vcc_lo, 0, v21
	v_cndmask_b32_e32 v21, v22, v20, vcc_lo
; %bb.60:                               ;   in Loop: Header=BB161_5 Depth=1
	s_or_b32 exec_lo, exec_lo, s27
	s_delay_alu instid0(VALU_DEP_1) | instskip(NEXT) | instid1(VALU_DEP_1)
	v_fma_mix_f32_bf16 v14, s38, v14, v21 op_sel:[0,0,1] op_sel_hi:[0,0,1]
	v_and_b32_e32 v20, 0x7f800000, v14
	s_delay_alu instid0(VALU_DEP_1) | instskip(SKIP_1) | instid1(SALU_CYCLE_1)
	v_cmp_ne_u32_e32 vcc_lo, 0x7f800000, v20
                                        ; implicit-def: $vgpr20
	s_and_saveexec_b32 s27, vcc_lo
	s_xor_b32 s27, exec_lo, s27
; %bb.61:                               ;   in Loop: Header=BB161_5 Depth=1
	v_bfe_u32 v20, v14, 16, 1
	s_delay_alu instid0(VALU_DEP_1)
	v_add3_u32 v20, v14, v20, 0x7fff
                                        ; implicit-def: $vgpr14
; %bb.62:                               ;   in Loop: Header=BB161_5 Depth=1
	s_and_not1_saveexec_b32 s27, s27
; %bb.63:                               ;   in Loop: Header=BB161_5 Depth=1
	v_and_b32_e32 v20, 0xffff, v14
	v_or_b32_e32 v21, 0x10000, v14
	s_delay_alu instid0(VALU_DEP_2) | instskip(NEXT) | instid1(VALU_DEP_2)
	v_cmp_eq_u32_e32 vcc_lo, 0, v20
	v_cndmask_b32_e32 v20, v21, v14, vcc_lo
; %bb.64:                               ;   in Loop: Header=BB161_5 Depth=1
	s_or_b32 exec_lo, exec_lo, s27
	flat_store_d16_hi_b16 v[16:17], v20
.LBB161_65:                             ;   in Loop: Header=BB161_5 Depth=1
	s_wait_xcnt 0x0
	s_or_b32 exec_lo, exec_lo, s25
	s_delay_alu instid0(SALU_CYCLE_1)
	s_and_b32 exec_lo, exec_lo, s4
	s_cbranch_execz .LBB161_3
; %bb.66:                               ;   in Loop: Header=BB161_5 Depth=1
	flat_load_u16 v14, v[18:19] offset:32
	s_wait_loadcnt_dscnt 0x0
	v_lshlrev_b32_e32 v14, 16, v14
	s_delay_alu instid0(VALU_DEP_1) | instskip(SKIP_1) | instid1(VALU_DEP_1)
	v_mul_f32_e32 v14, s39, v14
	s_wait_xcnt 0x0
	v_and_b32_e32 v18, 0x7f800000, v14
	s_delay_alu instid0(VALU_DEP_1) | instskip(SKIP_1) | instid1(SALU_CYCLE_1)
	v_cmp_ne_u32_e32 vcc_lo, 0x7f800000, v18
                                        ; implicit-def: $vgpr18
	s_and_saveexec_b32 s25, vcc_lo
	s_xor_b32 s25, exec_lo, s25
; %bb.67:                               ;   in Loop: Header=BB161_5 Depth=1
	v_bfe_u32 v18, v14, 16, 1
	s_delay_alu instid0(VALU_DEP_1)
	v_add3_u32 v18, v14, v18, 0x7fff
                                        ; implicit-def: $vgpr14
; %bb.68:                               ;   in Loop: Header=BB161_5 Depth=1
	s_and_not1_saveexec_b32 s25, s25
; %bb.69:                               ;   in Loop: Header=BB161_5 Depth=1
	v_and_b32_e32 v18, 0xffff, v14
	v_or_b32_e32 v19, 0x10000, v14
	s_delay_alu instid0(VALU_DEP_2) | instskip(NEXT) | instid1(VALU_DEP_2)
	v_cmp_eq_u32_e32 vcc_lo, 0, v18
	v_cndmask_b32_e32 v18, v19, v14, vcc_lo
; %bb.70:                               ;   in Loop: Header=BB161_5 Depth=1
	s_or_b32 exec_lo, exec_lo, s25
	s_delay_alu instid0(VALU_DEP_1) | instskip(NEXT) | instid1(VALU_DEP_1)
	v_fma_mix_f32_bf16 v14, s38, v15, v18 op_sel:[0,0,1] op_sel_hi:[0,0,1]
	v_and_b32_e32 v15, 0x7f800000, v14
	s_delay_alu instid0(VALU_DEP_1) | instskip(SKIP_1) | instid1(SALU_CYCLE_1)
	v_cmp_ne_u32_e32 vcc_lo, 0x7f800000, v15
                                        ; implicit-def: $vgpr15
	s_and_saveexec_b32 s25, vcc_lo
	s_xor_b32 s25, exec_lo, s25
; %bb.71:                               ;   in Loop: Header=BB161_5 Depth=1
	v_bfe_u32 v15, v14, 16, 1
	s_delay_alu instid0(VALU_DEP_1)
	v_add3_u32 v15, v14, v15, 0x7fff
                                        ; implicit-def: $vgpr14
; %bb.72:                               ;   in Loop: Header=BB161_5 Depth=1
	s_and_not1_saveexec_b32 s25, s25
	s_cbranch_execz .LBB161_2
; %bb.73:                               ;   in Loop: Header=BB161_5 Depth=1
	v_and_b32_e32 v15, 0xffff, v14
	v_or_b32_e32 v18, 0x10000, v14
	s_delay_alu instid0(VALU_DEP_2) | instskip(NEXT) | instid1(VALU_DEP_2)
	v_cmp_eq_u32_e32 vcc_lo, 0, v15
	v_cndmask_b32_e32 v15, v18, v14, vcc_lo
	s_branch .LBB161_2
.LBB161_74:
	s_endpgm
	.section	.rodata,"a",@progbits
	.p2align	6, 0x0
	.amdhsa_kernel _ZN12_GLOBAL__N_135rocblas_gemm_batched_general_kernelIfLi16ELi16ELi32ELi32ELi8ELi32ELi8ELi8ELi32ELc84ELc84EKPK16rocblas_bfloat16S4_KPS1_EEvlllT_PT11_llS9_llS7_PT12_llPT13_lli
		.amdhsa_group_segment_fixed_size 2048
		.amdhsa_private_segment_fixed_size 0
		.amdhsa_kernarg_size 140
		.amdhsa_user_sgpr_count 2
		.amdhsa_user_sgpr_dispatch_ptr 0
		.amdhsa_user_sgpr_queue_ptr 0
		.amdhsa_user_sgpr_kernarg_segment_ptr 1
		.amdhsa_user_sgpr_dispatch_id 0
		.amdhsa_user_sgpr_kernarg_preload_length 0
		.amdhsa_user_sgpr_kernarg_preload_offset 0
		.amdhsa_user_sgpr_private_segment_size 0
		.amdhsa_wavefront_size32 1
		.amdhsa_uses_dynamic_stack 0
		.amdhsa_enable_private_segment 0
		.amdhsa_system_sgpr_workgroup_id_x 1
		.amdhsa_system_sgpr_workgroup_id_y 1
		.amdhsa_system_sgpr_workgroup_id_z 1
		.amdhsa_system_sgpr_workgroup_info 0
		.amdhsa_system_vgpr_workitem_id 1
		.amdhsa_next_free_vgpr 56
		.amdhsa_next_free_sgpr 42
		.amdhsa_named_barrier_count 0
		.amdhsa_reserve_vcc 1
		.amdhsa_float_round_mode_32 0
		.amdhsa_float_round_mode_16_64 0
		.amdhsa_float_denorm_mode_32 3
		.amdhsa_float_denorm_mode_16_64 3
		.amdhsa_fp16_overflow 0
		.amdhsa_memory_ordered 1
		.amdhsa_forward_progress 1
		.amdhsa_inst_pref_size 23
		.amdhsa_round_robin_scheduling 0
		.amdhsa_exception_fp_ieee_invalid_op 0
		.amdhsa_exception_fp_denorm_src 0
		.amdhsa_exception_fp_ieee_div_zero 0
		.amdhsa_exception_fp_ieee_overflow 0
		.amdhsa_exception_fp_ieee_underflow 0
		.amdhsa_exception_fp_ieee_inexact 0
		.amdhsa_exception_int_div_zero 0
	.end_amdhsa_kernel
	.section	.text._ZN12_GLOBAL__N_135rocblas_gemm_batched_general_kernelIfLi16ELi16ELi32ELi32ELi8ELi32ELi8ELi8ELi32ELc84ELc84EKPK16rocblas_bfloat16S4_KPS1_EEvlllT_PT11_llS9_llS7_PT12_llPT13_lli,"axG",@progbits,_ZN12_GLOBAL__N_135rocblas_gemm_batched_general_kernelIfLi16ELi16ELi32ELi32ELi8ELi32ELi8ELi8ELi32ELc84ELc84EKPK16rocblas_bfloat16S4_KPS1_EEvlllT_PT11_llS9_llS7_PT12_llPT13_lli,comdat
.Lfunc_end161:
	.size	_ZN12_GLOBAL__N_135rocblas_gemm_batched_general_kernelIfLi16ELi16ELi32ELi32ELi8ELi32ELi8ELi8ELi32ELc84ELc84EKPK16rocblas_bfloat16S4_KPS1_EEvlllT_PT11_llS9_llS7_PT12_llPT13_lli, .Lfunc_end161-_ZN12_GLOBAL__N_135rocblas_gemm_batched_general_kernelIfLi16ELi16ELi32ELi32ELi8ELi32ELi8ELi8ELi32ELc84ELc84EKPK16rocblas_bfloat16S4_KPS1_EEvlllT_PT11_llS9_llS7_PT12_llPT13_lli
                                        ; -- End function
	.set _ZN12_GLOBAL__N_135rocblas_gemm_batched_general_kernelIfLi16ELi16ELi32ELi32ELi8ELi32ELi8ELi8ELi32ELc84ELc84EKPK16rocblas_bfloat16S4_KPS1_EEvlllT_PT11_llS9_llS7_PT12_llPT13_lli.num_vgpr, 56
	.set _ZN12_GLOBAL__N_135rocblas_gemm_batched_general_kernelIfLi16ELi16ELi32ELi32ELi8ELi32ELi8ELi8ELi32ELc84ELc84EKPK16rocblas_bfloat16S4_KPS1_EEvlllT_PT11_llS9_llS7_PT12_llPT13_lli.num_agpr, 0
	.set _ZN12_GLOBAL__N_135rocblas_gemm_batched_general_kernelIfLi16ELi16ELi32ELi32ELi8ELi32ELi8ELi8ELi32ELc84ELc84EKPK16rocblas_bfloat16S4_KPS1_EEvlllT_PT11_llS9_llS7_PT12_llPT13_lli.numbered_sgpr, 42
	.set _ZN12_GLOBAL__N_135rocblas_gemm_batched_general_kernelIfLi16ELi16ELi32ELi32ELi8ELi32ELi8ELi8ELi32ELc84ELc84EKPK16rocblas_bfloat16S4_KPS1_EEvlllT_PT11_llS9_llS7_PT12_llPT13_lli.num_named_barrier, 0
	.set _ZN12_GLOBAL__N_135rocblas_gemm_batched_general_kernelIfLi16ELi16ELi32ELi32ELi8ELi32ELi8ELi8ELi32ELc84ELc84EKPK16rocblas_bfloat16S4_KPS1_EEvlllT_PT11_llS9_llS7_PT12_llPT13_lli.private_seg_size, 0
	.set _ZN12_GLOBAL__N_135rocblas_gemm_batched_general_kernelIfLi16ELi16ELi32ELi32ELi8ELi32ELi8ELi8ELi32ELc84ELc84EKPK16rocblas_bfloat16S4_KPS1_EEvlllT_PT11_llS9_llS7_PT12_llPT13_lli.uses_vcc, 1
	.set _ZN12_GLOBAL__N_135rocblas_gemm_batched_general_kernelIfLi16ELi16ELi32ELi32ELi8ELi32ELi8ELi8ELi32ELc84ELc84EKPK16rocblas_bfloat16S4_KPS1_EEvlllT_PT11_llS9_llS7_PT12_llPT13_lli.uses_flat_scratch, 0
	.set _ZN12_GLOBAL__N_135rocblas_gemm_batched_general_kernelIfLi16ELi16ELi32ELi32ELi8ELi32ELi8ELi8ELi32ELc84ELc84EKPK16rocblas_bfloat16S4_KPS1_EEvlllT_PT11_llS9_llS7_PT12_llPT13_lli.has_dyn_sized_stack, 0
	.set _ZN12_GLOBAL__N_135rocblas_gemm_batched_general_kernelIfLi16ELi16ELi32ELi32ELi8ELi32ELi8ELi8ELi32ELc84ELc84EKPK16rocblas_bfloat16S4_KPS1_EEvlllT_PT11_llS9_llS7_PT12_llPT13_lli.has_recursion, 0
	.set _ZN12_GLOBAL__N_135rocblas_gemm_batched_general_kernelIfLi16ELi16ELi32ELi32ELi8ELi32ELi8ELi8ELi32ELc84ELc84EKPK16rocblas_bfloat16S4_KPS1_EEvlllT_PT11_llS9_llS7_PT12_llPT13_lli.has_indirect_call, 0
	.section	.AMDGPU.csdata,"",@progbits
; Kernel info:
; codeLenInByte = 2908
; TotalNumSgprs: 44
; NumVgprs: 56
; ScratchSize: 0
; MemoryBound: 0
; FloatMode: 240
; IeeeMode: 1
; LDSByteSize: 2048 bytes/workgroup (compile time only)
; SGPRBlocks: 0
; VGPRBlocks: 3
; NumSGPRsForWavesPerEU: 44
; NumVGPRsForWavesPerEU: 56
; NamedBarCnt: 0
; Occupancy: 16
; WaveLimiterHint : 1
; COMPUTE_PGM_RSRC2:SCRATCH_EN: 0
; COMPUTE_PGM_RSRC2:USER_SGPR: 2
; COMPUTE_PGM_RSRC2:TRAP_HANDLER: 0
; COMPUTE_PGM_RSRC2:TGID_X_EN: 1
; COMPUTE_PGM_RSRC2:TGID_Y_EN: 1
; COMPUTE_PGM_RSRC2:TGID_Z_EN: 1
; COMPUTE_PGM_RSRC2:TIDIG_COMP_CNT: 1
	.section	.text._ZN12_GLOBAL__N_135rocblas_gemm_batched_general_kernelIfLi16ELi16ELi32ELi32ELi8ELi32ELi8ELi8ELi32ELc67ELc67EKPK16rocblas_bfloat16S4_KPS1_EEvlllT_PT11_llS9_llS7_PT12_llPT13_lli,"axG",@progbits,_ZN12_GLOBAL__N_135rocblas_gemm_batched_general_kernelIfLi16ELi16ELi32ELi32ELi8ELi32ELi8ELi8ELi32ELc67ELc67EKPK16rocblas_bfloat16S4_KPS1_EEvlllT_PT11_llS9_llS7_PT12_llPT13_lli,comdat
	.globl	_ZN12_GLOBAL__N_135rocblas_gemm_batched_general_kernelIfLi16ELi16ELi32ELi32ELi8ELi32ELi8ELi8ELi32ELc67ELc67EKPK16rocblas_bfloat16S4_KPS1_EEvlllT_PT11_llS9_llS7_PT12_llPT13_lli ; -- Begin function _ZN12_GLOBAL__N_135rocblas_gemm_batched_general_kernelIfLi16ELi16ELi32ELi32ELi8ELi32ELi8ELi8ELi32ELc67ELc67EKPK16rocblas_bfloat16S4_KPS1_EEvlllT_PT11_llS9_llS7_PT12_llPT13_lli
	.p2align	8
	.type	_ZN12_GLOBAL__N_135rocblas_gemm_batched_general_kernelIfLi16ELi16ELi32ELi32ELi8ELi32ELi8ELi8ELi32ELc67ELc67EKPK16rocblas_bfloat16S4_KPS1_EEvlllT_PT11_llS9_llS7_PT12_llPT13_lli,@function
_ZN12_GLOBAL__N_135rocblas_gemm_batched_general_kernelIfLi16ELi16ELi32ELi32ELi8ELi32ELi8ELi8ELi32ELc67ELc67EKPK16rocblas_bfloat16S4_KPS1_EEvlllT_PT11_llS9_llS7_PT12_llPT13_lli: ; @_ZN12_GLOBAL__N_135rocblas_gemm_batched_general_kernelIfLi16ELi16ELi32ELi32ELi8ELi32ELi8ELi8ELi32ELc67ELc67EKPK16rocblas_bfloat16S4_KPS1_EEvlllT_PT11_llS9_llS7_PT12_llPT13_lli
; %bb.0:
	s_load_b32 s33, s[0:1], 0x88
	s_bfe_u32 s2, ttmp6, 0x40014
	s_lshr_b32 s3, ttmp7, 16
	s_add_co_i32 s2, s2, 1
	s_bfe_u32 s5, ttmp6, 0x40008
	s_mul_i32 s4, s3, s2
	s_getreg_b32 s2, hwreg(HW_REG_IB_STS2, 6, 4)
	s_add_co_i32 s5, s5, s4
	s_cmp_eq_u32 s2, 0
	s_mov_b32 s35, 0
	s_cselect_b32 s34, s3, s5
	s_wait_kmcnt 0x0
	s_cmp_ge_i32 s34, s33
	s_cbranch_scc1 .LBB162_74
; %bb.1:
	v_bfe_u32 v10, v0, 10, 10
	v_and_b32_e32 v12, 0x3ff, v0
	s_clause 0x6
	s_load_b128 s[4:7], s[0:1], 0x0
	s_load_b96 s[36:38], s[0:1], 0x10
	s_load_b256 s[8:15], s[0:1], 0x20
	s_load_b128 s[24:27], s[0:1], 0x40
	s_load_b32 s39, s[0:1], 0x50
	s_load_b128 s[28:31], s[0:1], 0x78
	s_load_b256 s[16:23], s[0:1], 0x58
	s_wait_xcnt 0x0
	s_bfe_u32 s0, ttmp6, 0x4000c
	s_bfe_u32 s3, ttmp6, 0x40010
	s_add_co_i32 s0, s0, 1
	s_and_b32 s40, ttmp7, 0xffff
	s_add_co_i32 s3, s3, 1
	s_and_b32 s1, ttmp6, 15
	s_mul_i32 s0, ttmp9, s0
	s_mul_i32 s3, s40, s3
	s_bfe_u32 s41, ttmp6, 0x40004
	v_lshl_add_u32 v6, v10, 4, v12
	s_add_co_i32 s1, s1, s0
	s_add_co_i32 s41, s41, s3
	s_cmp_eq_u32 s2, 0
	s_delay_alu instid0(VALU_DEP_1) | instskip(SKIP_3) | instid1(VALU_DEP_1)
	v_dual_mov_b32 v1, 0 :: v_dual_bitop2_b32 v8, 31, v6 bitop3:0x40
	s_cselect_b32 s0, ttmp9, s1
	s_cselect_b32 s41, s40, s41
	s_ashr_i32 s1, s0, 31
	v_dual_mov_b32 v11, v1 :: v_dual_bitop2_b32 v2, 7, v0 bitop3:0x40
	v_dual_mov_b32 v3, v1 :: v_dual_lshrrev_b32 v0, 5, v6
	s_lshl_b64 s[2:3], s[0:1], 5
	v_dual_mov_b32 v17, v1 :: v_dual_lshrrev_b32 v16, 3, v6
	v_dual_mov_b32 v5, s3 :: v_dual_bitop2_b32 v4, s2, v8 bitop3:0x54
	s_wait_kmcnt 0x0
	v_mul_u64_e32 v[14:15], s[24:25], v[2:3]
	v_dual_lshlrev_b32 v9, 2, v2 :: v_dual_lshlrev_b32 v8, 2, v8
	s_lshl_b32 s0, s41, 5
	v_mul_u64_e32 v[18:19], s[10:11], v[4:5]
	s_mov_b32 s1, s35
	s_delay_alu instid0(VALU_DEP_2)
	v_lshl_or_b32 v9, v16, 5, v9
	v_add_nc_u64_e32 v[6:7], s[0:1], v[16:17]
	v_add_nc_u64_e32 v[20:21], s[0:1], v[10:11]
	v_dual_mov_b32 v13, v1 :: v_dual_lshlrev_b32 v28, 2, v12
	v_lshl_or_b32 v26, v0, 7, v8
	v_add_nc_u32_e32 v27, 0x400, v9
	v_cmp_gt_i64_e64 s0, s[4:5], v[4:5]
	v_cmp_gt_i64_e64 s1, s[6:7], v[6:7]
	v_mul_u64_e32 v[6:7], s[28:29], v[20:21]
	v_mul_u64_e32 v[8:9], s[18:19], v[20:21]
	v_add_nc_u64_e32 v[4:5], s[2:3], v[12:13]
	s_cmp_eq_f32 s39, 0
	v_lshl_add_u32 v29, v10, 5, 0x400
	s_mov_b32 s11, s35
	v_cmp_gt_i64_e64 s2, s[6:7], v[20:21]
	s_cselect_b32 s40, -1, 0
	s_lshl_b32 s10, s41, 6
	v_add_nc_u64_e32 v[10:11], 16, v[4:5]
	s_lshl_b64 s[26:27], s[26:27], 1
	v_cmp_gt_i64_e64 s3, s[4:5], v[4:5]
	s_add_nc_u64 s[10:11], s[26:27], s[10:11]
	v_cmp_gt_i64_e64 s26, s[36:37], 0
	s_lshl_b64 s[20:21], s[20:21], 1
	v_cmp_gt_i64_e64 s4, s[4:5], v[10:11]
	v_add_nc_u64_e32 v[10:11], 16, v[20:21]
	v_lshl_add_u64 v[12:13], v[14:15], 1, s[10:11]
	s_lshl_b64 s[10:11], s[12:13], 1
	v_dual_mov_b32 v15, v1 :: v_dual_lshlrev_b32 v14, 1, v16
	v_lshl_add_u64 v[16:17], v[18:19], 1, s[10:11]
	v_dual_mov_b32 v19, v1 :: v_dual_lshlrev_b32 v18, 1, v0
	v_cmp_gt_i64_e64 s5, s[6:7], v[10:11]
	s_delay_alu instid0(VALU_DEP_4)
	v_add_nc_u64_e32 v[10:11], v[12:13], v[14:15]
	s_lshl_b64 s[6:7], s[28:29], 4
	s_lshl_b64 s[10:11], s[18:19], 4
	v_add_nc_u64_e32 v[12:13], v[16:17], v[18:19]
	s_lshl_b64 s[12:13], s[24:25], 4
	s_lshl_b64 s[18:19], s[30:31], 1
	s_branch .LBB162_5
.LBB162_2:                              ;   in Loop: Header=BB162_5 Depth=1
	s_or_b32 exec_lo, exec_lo, s25
	flat_store_d16_hi_b16 v[16:17], v15 offset:32
.LBB162_3:                              ;   in Loop: Header=BB162_5 Depth=1
	s_wait_xcnt 0x0
	s_or_b32 exec_lo, exec_lo, s24
.LBB162_4:                              ;   in Loop: Header=BB162_5 Depth=1
	s_add_co_i32 s34, s34, 0x10000
	s_delay_alu instid0(SALU_CYCLE_1)
	s_cmp_lt_i32 s34, s33
	s_cbranch_scc0 .LBB162_74
.LBB162_5:                              ; =>This Loop Header: Depth=1
                                        ;     Child Loop BB162_8 Depth 2
	v_dual_mov_b32 v14, s34 :: v_dual_mov_b32 v17, 0
	v_dual_mov_b32 v16, 0 :: v_dual_mov_b32 v15, 0
	s_and_not1_b32 vcc_lo, exec_lo, s26
	s_clause 0x1
	global_load_b64 v[18:19], v14, s[16:17] scale_offset
	global_load_b64 v[20:21], v14, s[22:23] scale_offset
	s_wait_xcnt 0x0
	v_mov_b32_e32 v14, 0
	s_cbranch_vccnz .LBB162_12
; %bb.6:                                ;   in Loop: Header=BB162_5 Depth=1
	s_lshl_b64 s[24:25], s[34:35], 3
	v_mov_b32_e32 v16, 0
	s_add_nc_u64 s[28:29], s[14:15], s[24:25]
	s_add_nc_u64 s[24:25], s[8:9], s[24:25]
	s_clause 0x1
	global_load_b64 v[14:15], v1, s[28:29]
	global_load_b64 v[24:25], v1, s[24:25]
	s_wait_xcnt 0x0
	s_mov_b64 s[24:25], 0
	v_mov_b32_e32 v17, v16
	s_wait_loadcnt 0x1
	v_add_nc_u64_e32 v[22:23], v[14:15], v[10:11]
	s_wait_loadcnt 0x0
	v_add_nc_u64_e32 v[24:25], v[24:25], v[12:13]
	v_dual_mov_b32 v14, v16 :: v_dual_mov_b32 v15, v16
	s_branch .LBB162_8
.LBB162_7:                              ;   in Loop: Header=BB162_8 Depth=2
	s_wait_xcnt 0x0
	s_or_b32 exec_lo, exec_lo, s27
	ds_store_b32 v27, v31
	s_wait_dscnt 0x0
	s_barrier_signal -1
	s_barrier_wait -1
	ds_load_b128 v[30:33], v29
	ds_load_2addr_b32 v[46:47], v28 offset1:16
	ds_load_b128 v[34:37], v29 offset:512
	ds_load_2addr_b32 v[48:49], v28 offset0:32 offset1:48
	ds_load_2addr_b32 v[50:51], v28 offset0:64 offset1:80
	;; [unrolled: 1-line block ×3, first 2 shown]
	ds_load_b128 v[38:41], v29 offset:16
	ds_load_2addr_b32 v[54:55], v28 offset0:128 offset1:144
	ds_load_b128 v[42:45], v29 offset:528
	s_add_nc_u64 s[24:25], s[24:25], 8
	v_add_nc_u64_e32 v[22:23], s[12:13], v[22:23]
	v_cmp_lt_i64_e64 s27, s[24:25], s[36:37]
	v_add_nc_u64_e32 v[24:25], 16, v[24:25]
	s_and_b32 vcc_lo, exec_lo, s27
	s_wait_dscnt 0x7
	v_pk_fma_f32 v[16:17], v[46:47], v[30:31], v[16:17] op_sel_hi:[1,0,1]
	s_wait_dscnt 0x6
	v_pk_fma_f32 v[14:15], v[46:47], v[34:35], v[14:15] op_sel_hi:[1,0,1]
	ds_load_2addr_b32 v[46:47], v28 offset0:160 offset1:176
	s_wait_dscnt 0x6
	v_pk_fma_f32 v[16:17], v[48:49], v[30:31], v[16:17] op_sel:[0,1,0]
	v_pk_fma_f32 v[14:15], v[48:49], v[34:35], v[14:15] op_sel:[0,1,0]
	ds_load_2addr_b32 v[30:31], v28 offset0:192 offset1:208
	v_dual_mov_b32 v34, v33 :: v_dual_mov_b32 v48, v37
	s_wait_dscnt 0x6
	v_pk_fma_f32 v[16:17], v[50:51], v[32:33], v[16:17] op_sel_hi:[1,0,1]
	v_pk_fma_f32 v[14:15], v[50:51], v[36:37], v[14:15] op_sel_hi:[1,0,1]
	ds_load_2addr_b32 v[32:33], v28 offset0:224 offset1:240
	s_wait_dscnt 0x3
	v_mov_b32_e32 v36, v45
	s_wait_dscnt 0x0
	v_pk_fma_f32 v[16:17], v[52:53], v[34:35], v[16:17] op_sel_hi:[1,0,1]
	v_pk_fma_f32 v[14:15], v[52:53], v[48:49], v[14:15] op_sel_hi:[1,0,1]
	v_mov_b32_e32 v34, v41
	s_barrier_signal -1
	s_barrier_wait -1
	v_pk_fma_f32 v[16:17], v[54:55], v[38:39], v[16:17] op_sel_hi:[1,0,1]
	v_pk_fma_f32 v[14:15], v[54:55], v[42:43], v[14:15] op_sel_hi:[1,0,1]
	s_delay_alu instid0(VALU_DEP_2) | instskip(NEXT) | instid1(VALU_DEP_2)
	v_pk_fma_f32 v[16:17], v[46:47], v[38:39], v[16:17] op_sel:[0,1,0]
	v_pk_fma_f32 v[14:15], v[46:47], v[42:43], v[14:15] op_sel:[0,1,0]
	s_delay_alu instid0(VALU_DEP_2) | instskip(NEXT) | instid1(VALU_DEP_2)
	v_pk_fma_f32 v[16:17], v[30:31], v[40:41], v[16:17] op_sel_hi:[1,0,1]
	v_pk_fma_f32 v[14:15], v[30:31], v[44:45], v[14:15] op_sel_hi:[1,0,1]
	s_delay_alu instid0(VALU_DEP_2) | instskip(NEXT) | instid1(VALU_DEP_2)
	v_pk_fma_f32 v[16:17], v[32:33], v[34:35], v[16:17] op_sel_hi:[1,0,1]
	v_pk_fma_f32 v[14:15], v[32:33], v[36:37], v[14:15] op_sel_hi:[1,0,1]
	s_cbranch_vccz .LBB162_12
.LBB162_8:                              ;   Parent Loop BB162_5 Depth=1
                                        ; =>  This Inner Loop Header: Depth=2
	v_add_nc_u64_e32 v[30:31], s[24:25], v[0:1]
	s_delay_alu instid0(VALU_DEP_1) | instskip(SKIP_2) | instid1(SALU_CYCLE_1)
	v_cmp_gt_i64_e32 vcc_lo, s[36:37], v[30:31]
	v_mov_b32_e32 v30, 0
	s_and_b32 s28, s0, vcc_lo
	s_and_saveexec_b32 s27, s28
	s_cbranch_execz .LBB162_10
; %bb.9:                                ;   in Loop: Header=BB162_8 Depth=2
	flat_load_u16 v30, v[24:25]
	s_wait_loadcnt_dscnt 0x0
	v_lshlrev_b32_e32 v30, 16, v30
.LBB162_10:                             ;   in Loop: Header=BB162_8 Depth=2
	s_wait_xcnt 0x0
	s_or_b32 exec_lo, exec_lo, s27
	v_add_nc_u64_e32 v[32:33], s[24:25], v[2:3]
	v_mov_b32_e32 v31, 0
	ds_store_b32 v26, v30
	v_cmp_gt_i64_e32 vcc_lo, s[36:37], v[32:33]
	s_and_b32 s28, vcc_lo, s1
	s_delay_alu instid0(SALU_CYCLE_1)
	s_and_saveexec_b32 s27, s28
	s_cbranch_execz .LBB162_7
; %bb.11:                               ;   in Loop: Header=BB162_8 Depth=2
	flat_load_u16 v30, v[22:23]
	s_wait_loadcnt_dscnt 0x0
	v_lshlrev_b32_e32 v31, 16, v30
	s_branch .LBB162_7
.LBB162_12:                             ;   in Loop: Header=BB162_5 Depth=1
	s_wait_loadcnt 0x0
	v_add_nc_u64_e32 v[20:21], s[18:19], v[20:21]
	s_and_not1_b32 vcc_lo, exec_lo, s40
	s_cbranch_vccnz .LBB162_17
; %bb.13:                               ;   in Loop: Header=BB162_5 Depth=1
	s_and_saveexec_b32 s24, s2
	s_cbranch_execz .LBB162_32
; %bb.14:                               ;   in Loop: Header=BB162_5 Depth=1
	s_delay_alu instid0(VALU_DEP_1)
	v_lshl_add_u64 v[22:23], v[6:7], 1, v[20:21]
	s_and_saveexec_b32 s25, s3
	s_cbranch_execnz .LBB162_18
; %bb.15:                               ;   in Loop: Header=BB162_5 Depth=1
	s_or_b32 exec_lo, exec_lo, s25
	s_and_saveexec_b32 s25, s4
	s_cbranch_execnz .LBB162_23
.LBB162_16:                             ;   in Loop: Header=BB162_5 Depth=1
	s_or_b32 exec_lo, exec_lo, s25
	s_delay_alu instid0(SALU_CYCLE_1)
	s_and_b32 exec_lo, exec_lo, s5
	s_cbranch_execnz .LBB162_28
	s_branch .LBB162_32
.LBB162_17:                             ;   in Loop: Header=BB162_5 Depth=1
	s_branch .LBB162_33
.LBB162_18:                             ;   in Loop: Header=BB162_5 Depth=1
	v_mul_f32_e32 v24, s38, v16
	s_delay_alu instid0(VALU_DEP_1) | instskip(NEXT) | instid1(VALU_DEP_1)
	v_and_b32_e32 v25, 0x7f800000, v24
	v_cmp_ne_u32_e32 vcc_lo, 0x7f800000, v25
                                        ; implicit-def: $vgpr25
	s_and_saveexec_b32 s27, vcc_lo
	s_delay_alu instid0(SALU_CYCLE_1)
	s_xor_b32 s27, exec_lo, s27
; %bb.19:                               ;   in Loop: Header=BB162_5 Depth=1
	v_bfe_u32 v25, v24, 16, 1
	s_delay_alu instid0(VALU_DEP_1)
	v_add3_u32 v25, v24, v25, 0x7fff
                                        ; implicit-def: $vgpr24
; %bb.20:                               ;   in Loop: Header=BB162_5 Depth=1
	s_and_not1_saveexec_b32 s27, s27
; %bb.21:                               ;   in Loop: Header=BB162_5 Depth=1
	v_and_b32_e32 v25, 0xffff, v24
	v_or_b32_e32 v30, 0x10000, v24
	s_delay_alu instid0(VALU_DEP_2) | instskip(NEXT) | instid1(VALU_DEP_2)
	v_cmp_eq_u32_e32 vcc_lo, 0, v25
	v_cndmask_b32_e32 v25, v30, v24, vcc_lo
; %bb.22:                               ;   in Loop: Header=BB162_5 Depth=1
	s_or_b32 exec_lo, exec_lo, s27
	v_lshl_add_u64 v[30:31], v[4:5], 1, v[22:23]
	flat_store_d16_hi_b16 v[30:31], v25
	s_wait_xcnt 0x0
	s_or_b32 exec_lo, exec_lo, s25
	s_and_saveexec_b32 s25, s4
	s_cbranch_execz .LBB162_16
.LBB162_23:                             ;   in Loop: Header=BB162_5 Depth=1
	v_mul_f32_e32 v24, s38, v17
	s_delay_alu instid0(VALU_DEP_1) | instskip(NEXT) | instid1(VALU_DEP_1)
	v_and_b32_e32 v25, 0x7f800000, v24
	v_cmp_ne_u32_e32 vcc_lo, 0x7f800000, v25
                                        ; implicit-def: $vgpr25
	s_and_saveexec_b32 s27, vcc_lo
	s_delay_alu instid0(SALU_CYCLE_1)
	s_xor_b32 s27, exec_lo, s27
; %bb.24:                               ;   in Loop: Header=BB162_5 Depth=1
	v_bfe_u32 v25, v24, 16, 1
	s_delay_alu instid0(VALU_DEP_1)
	v_add3_u32 v25, v24, v25, 0x7fff
                                        ; implicit-def: $vgpr24
; %bb.25:                               ;   in Loop: Header=BB162_5 Depth=1
	s_and_not1_saveexec_b32 s27, s27
; %bb.26:                               ;   in Loop: Header=BB162_5 Depth=1
	v_and_b32_e32 v25, 0xffff, v24
	v_or_b32_e32 v30, 0x10000, v24
	s_delay_alu instid0(VALU_DEP_2) | instskip(NEXT) | instid1(VALU_DEP_2)
	v_cmp_eq_u32_e32 vcc_lo, 0, v25
	v_cndmask_b32_e32 v25, v30, v24, vcc_lo
; %bb.27:                               ;   in Loop: Header=BB162_5 Depth=1
	s_or_b32 exec_lo, exec_lo, s27
	v_lshl_add_u64 v[30:31], v[4:5], 1, v[22:23]
	flat_store_d16_hi_b16 v[30:31], v25 offset:32
	s_wait_xcnt 0x0
	s_or_b32 exec_lo, exec_lo, s25
	s_delay_alu instid0(SALU_CYCLE_1)
	s_and_b32 exec_lo, exec_lo, s5
	s_cbranch_execz .LBB162_32
.LBB162_28:                             ;   in Loop: Header=BB162_5 Depth=1
	v_lshl_add_u64 v[22:23], s[6:7], 1, v[22:23]
	s_delay_alu instid0(VALU_DEP_1)
	v_lshl_add_u64 v[22:23], v[4:5], 1, v[22:23]
	s_and_saveexec_b32 s25, s3
	s_cbranch_execz .LBB162_30
; %bb.29:                               ;   in Loop: Header=BB162_5 Depth=1
	v_mul_f32_e32 v24, s38, v14
	s_delay_alu instid0(VALU_DEP_1) | instskip(SKIP_3) | instid1(VALU_DEP_4)
	v_and_b32_e32 v30, 0xffff, v24
	v_bfe_u32 v25, v24, 16, 1
	v_or_b32_e32 v31, 0x10000, v24
	v_and_b32_e32 v32, 0x7f800000, v24
	v_cmp_eq_u32_e32 vcc_lo, 0, v30
	s_delay_alu instid0(VALU_DEP_4) | instskip(NEXT) | instid1(VALU_DEP_4)
	v_add3_u32 v25, v24, v25, 0x7fff
	v_cndmask_b32_e32 v24, v31, v24, vcc_lo
	s_delay_alu instid0(VALU_DEP_4) | instskip(NEXT) | instid1(VALU_DEP_2)
	v_cmp_eq_u32_e32 vcc_lo, 0x7f800000, v32
	v_cndmask_b32_e32 v24, v25, v24, vcc_lo
	flat_store_d16_hi_b16 v[22:23], v24
.LBB162_30:                             ;   in Loop: Header=BB162_5 Depth=1
	s_wait_xcnt 0x0
	s_or_b32 exec_lo, exec_lo, s25
	s_delay_alu instid0(SALU_CYCLE_1)
	s_and_b32 exec_lo, exec_lo, s4
	s_cbranch_execz .LBB162_32
; %bb.31:                               ;   in Loop: Header=BB162_5 Depth=1
	v_mul_f32_e32 v24, s38, v15
	s_delay_alu instid0(VALU_DEP_1) | instskip(SKIP_3) | instid1(VALU_DEP_4)
	v_and_b32_e32 v30, 0xffff, v24
	v_bfe_u32 v25, v24, 16, 1
	v_or_b32_e32 v31, 0x10000, v24
	v_and_b32_e32 v32, 0x7f800000, v24
	v_cmp_eq_u32_e32 vcc_lo, 0, v30
	s_delay_alu instid0(VALU_DEP_4) | instskip(NEXT) | instid1(VALU_DEP_4)
	v_add3_u32 v25, v24, v25, 0x7fff
	v_cndmask_b32_e32 v24, v31, v24, vcc_lo
	s_delay_alu instid0(VALU_DEP_4) | instskip(NEXT) | instid1(VALU_DEP_2)
	v_cmp_eq_u32_e32 vcc_lo, 0x7f800000, v32
	v_cndmask_b32_e32 v24, v25, v24, vcc_lo
	flat_store_d16_hi_b16 v[22:23], v24 offset:32
.LBB162_32:                             ;   in Loop: Header=BB162_5 Depth=1
	s_wait_xcnt 0x0
	s_or_b32 exec_lo, exec_lo, s24
	s_cbranch_execnz .LBB162_4
.LBB162_33:                             ;   in Loop: Header=BB162_5 Depth=1
	s_and_saveexec_b32 s24, s2
	s_cbranch_execz .LBB162_3
; %bb.34:                               ;   in Loop: Header=BB162_5 Depth=1
	v_add_nc_u64_e32 v[18:19], s[20:21], v[18:19]
	v_lshl_add_u64 v[20:21], v[6:7], 1, v[20:21]
	s_delay_alu instid0(VALU_DEP_2) | instskip(NEXT) | instid1(VALU_DEP_1)
	v_lshl_add_u64 v[18:19], v[8:9], 1, v[18:19]
	v_lshl_add_u64 v[22:23], v[4:5], 1, v[18:19]
	s_and_saveexec_b32 s25, s3
	s_cbranch_execnz .LBB162_37
; %bb.35:                               ;   in Loop: Header=BB162_5 Depth=1
	s_or_b32 exec_lo, exec_lo, s25
	s_and_saveexec_b32 s25, s4
	s_cbranch_execnz .LBB162_46
.LBB162_36:                             ;   in Loop: Header=BB162_5 Depth=1
	s_or_b32 exec_lo, exec_lo, s25
	s_delay_alu instid0(SALU_CYCLE_1)
	s_and_b32 exec_lo, exec_lo, s5
	s_cbranch_execz .LBB162_3
	s_branch .LBB162_55
.LBB162_37:                             ;   in Loop: Header=BB162_5 Depth=1
	flat_load_u16 v24, v[22:23]
	s_wait_loadcnt_dscnt 0x0
	v_lshlrev_b32_e32 v24, 16, v24
	s_delay_alu instid0(VALU_DEP_1) | instskip(NEXT) | instid1(VALU_DEP_1)
	v_mul_f32_e32 v24, s39, v24
	v_and_b32_e32 v25, 0x7f800000, v24
	s_delay_alu instid0(VALU_DEP_1) | instskip(SKIP_2) | instid1(SALU_CYCLE_1)
	v_cmp_ne_u32_e32 vcc_lo, 0x7f800000, v25
                                        ; implicit-def: $vgpr25
	s_wait_xcnt 0x0
	s_and_saveexec_b32 s27, vcc_lo
	s_xor_b32 s27, exec_lo, s27
; %bb.38:                               ;   in Loop: Header=BB162_5 Depth=1
	v_bfe_u32 v25, v24, 16, 1
	s_delay_alu instid0(VALU_DEP_1)
	v_add3_u32 v25, v24, v25, 0x7fff
                                        ; implicit-def: $vgpr24
; %bb.39:                               ;   in Loop: Header=BB162_5 Depth=1
	s_and_not1_saveexec_b32 s27, s27
; %bb.40:                               ;   in Loop: Header=BB162_5 Depth=1
	v_and_b32_e32 v25, 0xffff, v24
	v_or_b32_e32 v30, 0x10000, v24
	s_delay_alu instid0(VALU_DEP_2) | instskip(NEXT) | instid1(VALU_DEP_2)
	v_cmp_eq_u32_e32 vcc_lo, 0, v25
	v_cndmask_b32_e32 v25, v30, v24, vcc_lo
; %bb.41:                               ;   in Loop: Header=BB162_5 Depth=1
	s_or_b32 exec_lo, exec_lo, s27
	s_delay_alu instid0(VALU_DEP_1) | instskip(NEXT) | instid1(VALU_DEP_1)
	v_fma_mix_f32_bf16 v16, s38, v16, v25 op_sel:[0,0,1] op_sel_hi:[0,0,1]
	v_and_b32_e32 v24, 0x7f800000, v16
	s_delay_alu instid0(VALU_DEP_1) | instskip(SKIP_1) | instid1(SALU_CYCLE_1)
	v_cmp_ne_u32_e32 vcc_lo, 0x7f800000, v24
                                        ; implicit-def: $vgpr24
	s_and_saveexec_b32 s27, vcc_lo
	s_xor_b32 s27, exec_lo, s27
; %bb.42:                               ;   in Loop: Header=BB162_5 Depth=1
	v_bfe_u32 v24, v16, 16, 1
	s_delay_alu instid0(VALU_DEP_1)
	v_add3_u32 v24, v16, v24, 0x7fff
                                        ; implicit-def: $vgpr16
; %bb.43:                               ;   in Loop: Header=BB162_5 Depth=1
	s_and_not1_saveexec_b32 s27, s27
; %bb.44:                               ;   in Loop: Header=BB162_5 Depth=1
	v_and_b32_e32 v24, 0xffff, v16
	v_or_b32_e32 v25, 0x10000, v16
	s_delay_alu instid0(VALU_DEP_2) | instskip(NEXT) | instid1(VALU_DEP_2)
	v_cmp_eq_u32_e32 vcc_lo, 0, v24
	v_cndmask_b32_e32 v24, v25, v16, vcc_lo
; %bb.45:                               ;   in Loop: Header=BB162_5 Depth=1
	s_or_b32 exec_lo, exec_lo, s27
	v_lshl_add_u64 v[30:31], v[4:5], 1, v[20:21]
	flat_store_d16_hi_b16 v[30:31], v24
	s_wait_xcnt 0x0
	s_or_b32 exec_lo, exec_lo, s25
	s_and_saveexec_b32 s25, s4
	s_cbranch_execz .LBB162_36
.LBB162_46:                             ;   in Loop: Header=BB162_5 Depth=1
	flat_load_u16 v16, v[22:23] offset:32
	s_wait_loadcnt_dscnt 0x0
	v_lshlrev_b32_e32 v16, 16, v16
	s_delay_alu instid0(VALU_DEP_1) | instskip(SKIP_1) | instid1(VALU_DEP_1)
	v_mul_f32_e32 v16, s39, v16
	s_wait_xcnt 0x0
	v_and_b32_e32 v22, 0x7f800000, v16
	s_delay_alu instid0(VALU_DEP_1) | instskip(SKIP_1) | instid1(SALU_CYCLE_1)
	v_cmp_ne_u32_e32 vcc_lo, 0x7f800000, v22
                                        ; implicit-def: $vgpr22
	s_and_saveexec_b32 s27, vcc_lo
	s_xor_b32 s27, exec_lo, s27
; %bb.47:                               ;   in Loop: Header=BB162_5 Depth=1
	v_bfe_u32 v22, v16, 16, 1
	s_delay_alu instid0(VALU_DEP_1)
	v_add3_u32 v22, v16, v22, 0x7fff
                                        ; implicit-def: $vgpr16
; %bb.48:                               ;   in Loop: Header=BB162_5 Depth=1
	s_and_not1_saveexec_b32 s27, s27
; %bb.49:                               ;   in Loop: Header=BB162_5 Depth=1
	v_and_b32_e32 v22, 0xffff, v16
	v_or_b32_e32 v23, 0x10000, v16
	s_delay_alu instid0(VALU_DEP_2) | instskip(NEXT) | instid1(VALU_DEP_2)
	v_cmp_eq_u32_e32 vcc_lo, 0, v22
	v_cndmask_b32_e32 v22, v23, v16, vcc_lo
; %bb.50:                               ;   in Loop: Header=BB162_5 Depth=1
	s_or_b32 exec_lo, exec_lo, s27
	s_delay_alu instid0(VALU_DEP_1) | instskip(NEXT) | instid1(VALU_DEP_1)
	v_fma_mix_f32_bf16 v16, s38, v17, v22 op_sel:[0,0,1] op_sel_hi:[0,0,1]
	v_and_b32_e32 v17, 0x7f800000, v16
	s_delay_alu instid0(VALU_DEP_1) | instskip(SKIP_1) | instid1(SALU_CYCLE_1)
	v_cmp_ne_u32_e32 vcc_lo, 0x7f800000, v17
                                        ; implicit-def: $vgpr17
	s_and_saveexec_b32 s27, vcc_lo
	s_xor_b32 s27, exec_lo, s27
; %bb.51:                               ;   in Loop: Header=BB162_5 Depth=1
	v_bfe_u32 v17, v16, 16, 1
	s_delay_alu instid0(VALU_DEP_1)
	v_add3_u32 v17, v16, v17, 0x7fff
                                        ; implicit-def: $vgpr16
; %bb.52:                               ;   in Loop: Header=BB162_5 Depth=1
	s_and_not1_saveexec_b32 s27, s27
; %bb.53:                               ;   in Loop: Header=BB162_5 Depth=1
	v_and_b32_e32 v17, 0xffff, v16
	v_or_b32_e32 v22, 0x10000, v16
	s_delay_alu instid0(VALU_DEP_2) | instskip(NEXT) | instid1(VALU_DEP_2)
	v_cmp_eq_u32_e32 vcc_lo, 0, v17
	v_cndmask_b32_e32 v17, v22, v16, vcc_lo
; %bb.54:                               ;   in Loop: Header=BB162_5 Depth=1
	s_or_b32 exec_lo, exec_lo, s27
	v_lshl_add_u64 v[22:23], v[4:5], 1, v[20:21]
	flat_store_d16_hi_b16 v[22:23], v17 offset:32
	s_wait_xcnt 0x0
	s_or_b32 exec_lo, exec_lo, s25
	s_delay_alu instid0(SALU_CYCLE_1)
	s_and_b32 exec_lo, exec_lo, s5
	s_cbranch_execz .LBB162_3
.LBB162_55:                             ;   in Loop: Header=BB162_5 Depth=1
	v_lshlrev_b64_e32 v[16:17], 1, v[4:5]
	v_lshl_add_u64 v[18:19], s[10:11], 1, v[18:19]
	v_lshl_add_u64 v[20:21], s[6:7], 1, v[20:21]
	s_delay_alu instid0(VALU_DEP_2) | instskip(NEXT) | instid1(VALU_DEP_2)
	v_add_nc_u64_e32 v[18:19], v[18:19], v[16:17]
	v_add_nc_u64_e32 v[16:17], v[20:21], v[16:17]
	s_and_saveexec_b32 s25, s3
	s_cbranch_execz .LBB162_65
; %bb.56:                               ;   in Loop: Header=BB162_5 Depth=1
	flat_load_u16 v20, v[18:19]
	s_wait_loadcnt_dscnt 0x0
	v_lshlrev_b32_e32 v20, 16, v20
	s_delay_alu instid0(VALU_DEP_1) | instskip(NEXT) | instid1(VALU_DEP_1)
	v_mul_f32_e32 v20, s39, v20
	v_and_b32_e32 v21, 0x7f800000, v20
	s_delay_alu instid0(VALU_DEP_1) | instskip(SKIP_2) | instid1(SALU_CYCLE_1)
	v_cmp_ne_u32_e32 vcc_lo, 0x7f800000, v21
                                        ; implicit-def: $vgpr21
	s_wait_xcnt 0x0
	s_and_saveexec_b32 s27, vcc_lo
	s_xor_b32 s27, exec_lo, s27
; %bb.57:                               ;   in Loop: Header=BB162_5 Depth=1
	v_bfe_u32 v21, v20, 16, 1
	s_delay_alu instid0(VALU_DEP_1)
	v_add3_u32 v21, v20, v21, 0x7fff
                                        ; implicit-def: $vgpr20
; %bb.58:                               ;   in Loop: Header=BB162_5 Depth=1
	s_and_not1_saveexec_b32 s27, s27
; %bb.59:                               ;   in Loop: Header=BB162_5 Depth=1
	v_and_b32_e32 v21, 0xffff, v20
	v_or_b32_e32 v22, 0x10000, v20
	s_delay_alu instid0(VALU_DEP_2) | instskip(NEXT) | instid1(VALU_DEP_2)
	v_cmp_eq_u32_e32 vcc_lo, 0, v21
	v_cndmask_b32_e32 v21, v22, v20, vcc_lo
; %bb.60:                               ;   in Loop: Header=BB162_5 Depth=1
	s_or_b32 exec_lo, exec_lo, s27
	s_delay_alu instid0(VALU_DEP_1) | instskip(NEXT) | instid1(VALU_DEP_1)
	v_fma_mix_f32_bf16 v14, s38, v14, v21 op_sel:[0,0,1] op_sel_hi:[0,0,1]
	v_and_b32_e32 v20, 0x7f800000, v14
	s_delay_alu instid0(VALU_DEP_1) | instskip(SKIP_1) | instid1(SALU_CYCLE_1)
	v_cmp_ne_u32_e32 vcc_lo, 0x7f800000, v20
                                        ; implicit-def: $vgpr20
	s_and_saveexec_b32 s27, vcc_lo
	s_xor_b32 s27, exec_lo, s27
; %bb.61:                               ;   in Loop: Header=BB162_5 Depth=1
	v_bfe_u32 v20, v14, 16, 1
	s_delay_alu instid0(VALU_DEP_1)
	v_add3_u32 v20, v14, v20, 0x7fff
                                        ; implicit-def: $vgpr14
; %bb.62:                               ;   in Loop: Header=BB162_5 Depth=1
	s_and_not1_saveexec_b32 s27, s27
; %bb.63:                               ;   in Loop: Header=BB162_5 Depth=1
	v_and_b32_e32 v20, 0xffff, v14
	v_or_b32_e32 v21, 0x10000, v14
	s_delay_alu instid0(VALU_DEP_2) | instskip(NEXT) | instid1(VALU_DEP_2)
	v_cmp_eq_u32_e32 vcc_lo, 0, v20
	v_cndmask_b32_e32 v20, v21, v14, vcc_lo
; %bb.64:                               ;   in Loop: Header=BB162_5 Depth=1
	s_or_b32 exec_lo, exec_lo, s27
	flat_store_d16_hi_b16 v[16:17], v20
.LBB162_65:                             ;   in Loop: Header=BB162_5 Depth=1
	s_wait_xcnt 0x0
	s_or_b32 exec_lo, exec_lo, s25
	s_delay_alu instid0(SALU_CYCLE_1)
	s_and_b32 exec_lo, exec_lo, s4
	s_cbranch_execz .LBB162_3
; %bb.66:                               ;   in Loop: Header=BB162_5 Depth=1
	flat_load_u16 v14, v[18:19] offset:32
	s_wait_loadcnt_dscnt 0x0
	v_lshlrev_b32_e32 v14, 16, v14
	s_delay_alu instid0(VALU_DEP_1) | instskip(SKIP_1) | instid1(VALU_DEP_1)
	v_mul_f32_e32 v14, s39, v14
	s_wait_xcnt 0x0
	v_and_b32_e32 v18, 0x7f800000, v14
	s_delay_alu instid0(VALU_DEP_1) | instskip(SKIP_1) | instid1(SALU_CYCLE_1)
	v_cmp_ne_u32_e32 vcc_lo, 0x7f800000, v18
                                        ; implicit-def: $vgpr18
	s_and_saveexec_b32 s25, vcc_lo
	s_xor_b32 s25, exec_lo, s25
; %bb.67:                               ;   in Loop: Header=BB162_5 Depth=1
	v_bfe_u32 v18, v14, 16, 1
	s_delay_alu instid0(VALU_DEP_1)
	v_add3_u32 v18, v14, v18, 0x7fff
                                        ; implicit-def: $vgpr14
; %bb.68:                               ;   in Loop: Header=BB162_5 Depth=1
	s_and_not1_saveexec_b32 s25, s25
; %bb.69:                               ;   in Loop: Header=BB162_5 Depth=1
	v_and_b32_e32 v18, 0xffff, v14
	v_or_b32_e32 v19, 0x10000, v14
	s_delay_alu instid0(VALU_DEP_2) | instskip(NEXT) | instid1(VALU_DEP_2)
	v_cmp_eq_u32_e32 vcc_lo, 0, v18
	v_cndmask_b32_e32 v18, v19, v14, vcc_lo
; %bb.70:                               ;   in Loop: Header=BB162_5 Depth=1
	s_or_b32 exec_lo, exec_lo, s25
	s_delay_alu instid0(VALU_DEP_1) | instskip(NEXT) | instid1(VALU_DEP_1)
	v_fma_mix_f32_bf16 v14, s38, v15, v18 op_sel:[0,0,1] op_sel_hi:[0,0,1]
	v_and_b32_e32 v15, 0x7f800000, v14
	s_delay_alu instid0(VALU_DEP_1) | instskip(SKIP_1) | instid1(SALU_CYCLE_1)
	v_cmp_ne_u32_e32 vcc_lo, 0x7f800000, v15
                                        ; implicit-def: $vgpr15
	s_and_saveexec_b32 s25, vcc_lo
	s_xor_b32 s25, exec_lo, s25
; %bb.71:                               ;   in Loop: Header=BB162_5 Depth=1
	v_bfe_u32 v15, v14, 16, 1
	s_delay_alu instid0(VALU_DEP_1)
	v_add3_u32 v15, v14, v15, 0x7fff
                                        ; implicit-def: $vgpr14
; %bb.72:                               ;   in Loop: Header=BB162_5 Depth=1
	s_and_not1_saveexec_b32 s25, s25
	s_cbranch_execz .LBB162_2
; %bb.73:                               ;   in Loop: Header=BB162_5 Depth=1
	v_and_b32_e32 v15, 0xffff, v14
	v_or_b32_e32 v18, 0x10000, v14
	s_delay_alu instid0(VALU_DEP_2) | instskip(NEXT) | instid1(VALU_DEP_2)
	v_cmp_eq_u32_e32 vcc_lo, 0, v15
	v_cndmask_b32_e32 v15, v18, v14, vcc_lo
	s_branch .LBB162_2
.LBB162_74:
	s_endpgm
	.section	.rodata,"a",@progbits
	.p2align	6, 0x0
	.amdhsa_kernel _ZN12_GLOBAL__N_135rocblas_gemm_batched_general_kernelIfLi16ELi16ELi32ELi32ELi8ELi32ELi8ELi8ELi32ELc67ELc67EKPK16rocblas_bfloat16S4_KPS1_EEvlllT_PT11_llS9_llS7_PT12_llPT13_lli
		.amdhsa_group_segment_fixed_size 2048
		.amdhsa_private_segment_fixed_size 0
		.amdhsa_kernarg_size 140
		.amdhsa_user_sgpr_count 2
		.amdhsa_user_sgpr_dispatch_ptr 0
		.amdhsa_user_sgpr_queue_ptr 0
		.amdhsa_user_sgpr_kernarg_segment_ptr 1
		.amdhsa_user_sgpr_dispatch_id 0
		.amdhsa_user_sgpr_kernarg_preload_length 0
		.amdhsa_user_sgpr_kernarg_preload_offset 0
		.amdhsa_user_sgpr_private_segment_size 0
		.amdhsa_wavefront_size32 1
		.amdhsa_uses_dynamic_stack 0
		.amdhsa_enable_private_segment 0
		.amdhsa_system_sgpr_workgroup_id_x 1
		.amdhsa_system_sgpr_workgroup_id_y 1
		.amdhsa_system_sgpr_workgroup_id_z 1
		.amdhsa_system_sgpr_workgroup_info 0
		.amdhsa_system_vgpr_workitem_id 1
		.amdhsa_next_free_vgpr 56
		.amdhsa_next_free_sgpr 42
		.amdhsa_named_barrier_count 0
		.amdhsa_reserve_vcc 1
		.amdhsa_float_round_mode_32 0
		.amdhsa_float_round_mode_16_64 0
		.amdhsa_float_denorm_mode_32 3
		.amdhsa_float_denorm_mode_16_64 3
		.amdhsa_fp16_overflow 0
		.amdhsa_memory_ordered 1
		.amdhsa_forward_progress 1
		.amdhsa_inst_pref_size 23
		.amdhsa_round_robin_scheduling 0
		.amdhsa_exception_fp_ieee_invalid_op 0
		.amdhsa_exception_fp_denorm_src 0
		.amdhsa_exception_fp_ieee_div_zero 0
		.amdhsa_exception_fp_ieee_overflow 0
		.amdhsa_exception_fp_ieee_underflow 0
		.amdhsa_exception_fp_ieee_inexact 0
		.amdhsa_exception_int_div_zero 0
	.end_amdhsa_kernel
	.section	.text._ZN12_GLOBAL__N_135rocblas_gemm_batched_general_kernelIfLi16ELi16ELi32ELi32ELi8ELi32ELi8ELi8ELi32ELc67ELc67EKPK16rocblas_bfloat16S4_KPS1_EEvlllT_PT11_llS9_llS7_PT12_llPT13_lli,"axG",@progbits,_ZN12_GLOBAL__N_135rocblas_gemm_batched_general_kernelIfLi16ELi16ELi32ELi32ELi8ELi32ELi8ELi8ELi32ELc67ELc67EKPK16rocblas_bfloat16S4_KPS1_EEvlllT_PT11_llS9_llS7_PT12_llPT13_lli,comdat
.Lfunc_end162:
	.size	_ZN12_GLOBAL__N_135rocblas_gemm_batched_general_kernelIfLi16ELi16ELi32ELi32ELi8ELi32ELi8ELi8ELi32ELc67ELc67EKPK16rocblas_bfloat16S4_KPS1_EEvlllT_PT11_llS9_llS7_PT12_llPT13_lli, .Lfunc_end162-_ZN12_GLOBAL__N_135rocblas_gemm_batched_general_kernelIfLi16ELi16ELi32ELi32ELi8ELi32ELi8ELi8ELi32ELc67ELc67EKPK16rocblas_bfloat16S4_KPS1_EEvlllT_PT11_llS9_llS7_PT12_llPT13_lli
                                        ; -- End function
	.set _ZN12_GLOBAL__N_135rocblas_gemm_batched_general_kernelIfLi16ELi16ELi32ELi32ELi8ELi32ELi8ELi8ELi32ELc67ELc67EKPK16rocblas_bfloat16S4_KPS1_EEvlllT_PT11_llS9_llS7_PT12_llPT13_lli.num_vgpr, 56
	.set _ZN12_GLOBAL__N_135rocblas_gemm_batched_general_kernelIfLi16ELi16ELi32ELi32ELi8ELi32ELi8ELi8ELi32ELc67ELc67EKPK16rocblas_bfloat16S4_KPS1_EEvlllT_PT11_llS9_llS7_PT12_llPT13_lli.num_agpr, 0
	.set _ZN12_GLOBAL__N_135rocblas_gemm_batched_general_kernelIfLi16ELi16ELi32ELi32ELi8ELi32ELi8ELi8ELi32ELc67ELc67EKPK16rocblas_bfloat16S4_KPS1_EEvlllT_PT11_llS9_llS7_PT12_llPT13_lli.numbered_sgpr, 42
	.set _ZN12_GLOBAL__N_135rocblas_gemm_batched_general_kernelIfLi16ELi16ELi32ELi32ELi8ELi32ELi8ELi8ELi32ELc67ELc67EKPK16rocblas_bfloat16S4_KPS1_EEvlllT_PT11_llS9_llS7_PT12_llPT13_lli.num_named_barrier, 0
	.set _ZN12_GLOBAL__N_135rocblas_gemm_batched_general_kernelIfLi16ELi16ELi32ELi32ELi8ELi32ELi8ELi8ELi32ELc67ELc67EKPK16rocblas_bfloat16S4_KPS1_EEvlllT_PT11_llS9_llS7_PT12_llPT13_lli.private_seg_size, 0
	.set _ZN12_GLOBAL__N_135rocblas_gemm_batched_general_kernelIfLi16ELi16ELi32ELi32ELi8ELi32ELi8ELi8ELi32ELc67ELc67EKPK16rocblas_bfloat16S4_KPS1_EEvlllT_PT11_llS9_llS7_PT12_llPT13_lli.uses_vcc, 1
	.set _ZN12_GLOBAL__N_135rocblas_gemm_batched_general_kernelIfLi16ELi16ELi32ELi32ELi8ELi32ELi8ELi8ELi32ELc67ELc67EKPK16rocblas_bfloat16S4_KPS1_EEvlllT_PT11_llS9_llS7_PT12_llPT13_lli.uses_flat_scratch, 0
	.set _ZN12_GLOBAL__N_135rocblas_gemm_batched_general_kernelIfLi16ELi16ELi32ELi32ELi8ELi32ELi8ELi8ELi32ELc67ELc67EKPK16rocblas_bfloat16S4_KPS1_EEvlllT_PT11_llS9_llS7_PT12_llPT13_lli.has_dyn_sized_stack, 0
	.set _ZN12_GLOBAL__N_135rocblas_gemm_batched_general_kernelIfLi16ELi16ELi32ELi32ELi8ELi32ELi8ELi8ELi32ELc67ELc67EKPK16rocblas_bfloat16S4_KPS1_EEvlllT_PT11_llS9_llS7_PT12_llPT13_lli.has_recursion, 0
	.set _ZN12_GLOBAL__N_135rocblas_gemm_batched_general_kernelIfLi16ELi16ELi32ELi32ELi8ELi32ELi8ELi8ELi32ELc67ELc67EKPK16rocblas_bfloat16S4_KPS1_EEvlllT_PT11_llS9_llS7_PT12_llPT13_lli.has_indirect_call, 0
	.section	.AMDGPU.csdata,"",@progbits
; Kernel info:
; codeLenInByte = 2908
; TotalNumSgprs: 44
; NumVgprs: 56
; ScratchSize: 0
; MemoryBound: 0
; FloatMode: 240
; IeeeMode: 1
; LDSByteSize: 2048 bytes/workgroup (compile time only)
; SGPRBlocks: 0
; VGPRBlocks: 3
; NumSGPRsForWavesPerEU: 44
; NumVGPRsForWavesPerEU: 56
; NamedBarCnt: 0
; Occupancy: 16
; WaveLimiterHint : 1
; COMPUTE_PGM_RSRC2:SCRATCH_EN: 0
; COMPUTE_PGM_RSRC2:USER_SGPR: 2
; COMPUTE_PGM_RSRC2:TRAP_HANDLER: 0
; COMPUTE_PGM_RSRC2:TGID_X_EN: 1
; COMPUTE_PGM_RSRC2:TGID_Y_EN: 1
; COMPUTE_PGM_RSRC2:TGID_Z_EN: 1
; COMPUTE_PGM_RSRC2:TIDIG_COMP_CNT: 1
	.section	.text._ZN12_GLOBAL__N_135rocblas_gemm_batched_general_kernelIfLi16ELi16ELi32ELi32ELi8ELi32ELi8ELi8ELi32ELc67ELc78EKPK16rocblas_bfloat16S4_KPS1_EEvlllT_PT11_llS9_llS7_PT12_llPT13_lli,"axG",@progbits,_ZN12_GLOBAL__N_135rocblas_gemm_batched_general_kernelIfLi16ELi16ELi32ELi32ELi8ELi32ELi8ELi8ELi32ELc67ELc78EKPK16rocblas_bfloat16S4_KPS1_EEvlllT_PT11_llS9_llS7_PT12_llPT13_lli,comdat
	.globl	_ZN12_GLOBAL__N_135rocblas_gemm_batched_general_kernelIfLi16ELi16ELi32ELi32ELi8ELi32ELi8ELi8ELi32ELc67ELc78EKPK16rocblas_bfloat16S4_KPS1_EEvlllT_PT11_llS9_llS7_PT12_llPT13_lli ; -- Begin function _ZN12_GLOBAL__N_135rocblas_gemm_batched_general_kernelIfLi16ELi16ELi32ELi32ELi8ELi32ELi8ELi8ELi32ELc67ELc78EKPK16rocblas_bfloat16S4_KPS1_EEvlllT_PT11_llS9_llS7_PT12_llPT13_lli
	.p2align	8
	.type	_ZN12_GLOBAL__N_135rocblas_gemm_batched_general_kernelIfLi16ELi16ELi32ELi32ELi8ELi32ELi8ELi8ELi32ELc67ELc78EKPK16rocblas_bfloat16S4_KPS1_EEvlllT_PT11_llS9_llS7_PT12_llPT13_lli,@function
_ZN12_GLOBAL__N_135rocblas_gemm_batched_general_kernelIfLi16ELi16ELi32ELi32ELi8ELi32ELi8ELi8ELi32ELc67ELc78EKPK16rocblas_bfloat16S4_KPS1_EEvlllT_PT11_llS9_llS7_PT12_llPT13_lli: ; @_ZN12_GLOBAL__N_135rocblas_gemm_batched_general_kernelIfLi16ELi16ELi32ELi32ELi8ELi32ELi8ELi8ELi32ELc67ELc78EKPK16rocblas_bfloat16S4_KPS1_EEvlllT_PT11_llS9_llS7_PT12_llPT13_lli
; %bb.0:
	s_load_b32 s33, s[0:1], 0x88
	s_bfe_u32 s2, ttmp6, 0x40014
	s_lshr_b32 s3, ttmp7, 16
	s_add_co_i32 s2, s2, 1
	s_bfe_u32 s5, ttmp6, 0x40008
	s_mul_i32 s4, s3, s2
	s_getreg_b32 s2, hwreg(HW_REG_IB_STS2, 6, 4)
	s_add_co_i32 s5, s5, s4
	s_cmp_eq_u32 s2, 0
	s_mov_b32 s35, 0
	s_cselect_b32 s34, s3, s5
	s_wait_kmcnt 0x0
	s_cmp_ge_i32 s34, s33
	s_cbranch_scc1 .LBB163_74
; %bb.1:
	v_bfe_u32 v10, v0, 10, 10
	v_and_b32_e32 v12, 0x3ff, v0
	s_bfe_u32 s16, ttmp6, 0x4000c
	s_bfe_u32 s17, ttmp6, 0x40010
	s_clause 0x3
	s_load_b128 s[4:7], s[0:1], 0x0
	s_load_b256 s[8:15], s[0:1], 0x20
	s_load_b128 s[24:27], s[0:1], 0x40
	s_load_b32 s39, s[0:1], 0x50
	s_add_co_i32 s16, s16, 1
	s_and_b32 s18, ttmp7, 0xffff
	s_add_co_i32 s17, s17, 1
	v_lshl_add_u32 v3, v10, 4, v12
	v_mov_b32_e32 v1, 0
	s_and_b32 s3, ttmp6, 15
	s_mul_i32 s16, ttmp9, s16
	s_mul_i32 s17, s18, s17
	s_bfe_u32 s19, ttmp6, 0x40004
	s_add_co_i32 s3, s3, s16
	s_add_co_i32 s19, s19, s17
	s_cmp_eq_u32 s2, 0
	v_dual_mov_b32 v5, v1 :: v_dual_lshrrev_b32 v4, 3, v3
	v_and_b32_e32 v20, 31, v3
	s_cselect_b32 s16, s18, s19
	s_cselect_b32 s2, ttmp9, s3
	s_lshl_b32 s40, s16, 5
	s_mov_b32 s41, s35
	s_ashr_i32 s3, s2, 31
	v_add_nc_u64_e32 v[8:9], s[40:41], v[4:5]
	s_clause 0x1
	s_load_b128 s[28:31], s[0:1], 0x78
	s_load_b256 s[16:23], s[0:1], 0x58
	s_lshl_b64 s[2:3], s[2:3], 5
	v_dual_mov_b32 v11, v1 :: v_dual_bitop2_b32 v2, 7, v0 bitop3:0x40
	v_dual_mov_b32 v7, s3 :: v_dual_bitop2_b32 v6, s2, v20 bitop3:0x54
	s_wait_kmcnt 0x0
	v_mul_u64_e32 v[14:15], s[24:25], v[8:9]
	s_delay_alu instid0(VALU_DEP_3)
	v_add_nc_u64_e32 v[18:19], s[40:41], v[10:11]
	v_dual_mov_b32 v13, v1 :: v_dual_lshlrev_b32 v5, 2, v2
	v_mul_u64_e32 v[16:17], s[10:11], v[6:7]
	s_load_b96 s[36:38], s[0:1], 0x10
	v_lshlrev_b32_e32 v11, 2, v20
	s_wait_xcnt 0x0
	v_cmp_gt_i64_e64 s0, s[4:5], v[6:7]
	v_lshl_or_b32 v20, v4, 5, v5
	v_cmp_gt_i64_e64 s1, s[6:7], v[8:9]
	v_add_nc_u64_e32 v[8:9], s[2:3], v[12:13]
	s_cmp_eq_f32 s39, 0
	v_dual_mov_b32 v3, v1 :: v_dual_lshrrev_b32 v0, 5, v3
	v_mul_u64_e32 v[4:5], s[28:29], v[18:19]
	v_mul_u64_e32 v[6:7], s[18:19], v[18:19]
	s_cselect_b32 s24, -1, 0
	s_lshl_b64 s[10:11], s[26:27], 1
	v_lshlrev_b32_e32 v28, 2, v12
	v_lshl_add_u32 v29, v10, 5, 0x400
	v_cmp_gt_i64_e64 s2, s[6:7], v[18:19]
	v_add_nc_u64_e32 v[12:13], 16, v[18:19]
	v_lshlrev_b32_e32 v18, 1, v2
	v_lshl_or_b32 v26, v0, 7, v11
	v_add_nc_u64_e32 v[10:11], 16, v[8:9]
	v_add_nc_u32_e32 v27, 0x400, v20
	v_dual_mov_b32 v19, v1 :: v_dual_lshlrev_b32 v20, 1, v0
	v_mov_b32_e32 v21, v1
	v_cmp_gt_i64_e64 s3, s[4:5], v[8:9]
	s_wait_kmcnt 0x0
	v_cmp_gt_i64_e64 s25, s[36:37], 0
	v_cmp_gt_i64_e64 s4, s[4:5], v[10:11]
	v_lshl_add_u64 v[14:15], v[14:15], 1, s[10:11]
	s_lshl_b64 s[10:11], s[12:13], 1
	v_cmp_gt_i64_e64 s5, s[6:7], v[12:13]
	s_lshl_b64 s[6:7], s[28:29], 4
	v_lshl_add_u64 v[16:17], v[16:17], 1, s[10:11]
	v_add_nc_u64_e32 v[10:11], v[14:15], v[18:19]
	s_lshl_b64 s[10:11], s[18:19], 4
	s_lshl_b64 s[12:13], s[30:31], 1
	;; [unrolled: 1-line block ×3, first 2 shown]
	v_add_nc_u64_e32 v[12:13], v[16:17], v[20:21]
	s_branch .LBB163_5
.LBB163_2:                              ;   in Loop: Header=BB163_5 Depth=1
	s_or_b32 exec_lo, exec_lo, s21
	flat_store_d16_hi_b16 v[16:17], v15 offset:32
.LBB163_3:                              ;   in Loop: Header=BB163_5 Depth=1
	s_wait_xcnt 0x0
	s_or_b32 exec_lo, exec_lo, s20
.LBB163_4:                              ;   in Loop: Header=BB163_5 Depth=1
	s_add_co_i32 s34, s34, 0x10000
	s_delay_alu instid0(SALU_CYCLE_1)
	s_cmp_lt_i32 s34, s33
	s_cbranch_scc0 .LBB163_74
.LBB163_5:                              ; =>This Loop Header: Depth=1
                                        ;     Child Loop BB163_8 Depth 2
	v_dual_mov_b32 v14, s34 :: v_dual_mov_b32 v17, 0
	v_dual_mov_b32 v16, 0 :: v_dual_mov_b32 v15, 0
	s_and_not1_b32 vcc_lo, exec_lo, s25
	s_clause 0x1
	global_load_b64 v[18:19], v14, s[16:17] scale_offset
	global_load_b64 v[20:21], v14, s[22:23] scale_offset
	s_wait_xcnt 0x0
	v_mov_b32_e32 v14, 0
	s_cbranch_vccnz .LBB163_12
; %bb.6:                                ;   in Loop: Header=BB163_5 Depth=1
	s_lshl_b64 s[20:21], s[34:35], 3
	v_mov_b32_e32 v16, 0
	s_add_nc_u64 s[26:27], s[14:15], s[20:21]
	s_add_nc_u64 s[20:21], s[8:9], s[20:21]
	s_clause 0x1
	global_load_b64 v[14:15], v1, s[26:27]
	global_load_b64 v[24:25], v1, s[20:21]
	s_wait_xcnt 0x0
	s_mov_b64 s[20:21], 0
	v_mov_b32_e32 v17, v16
	s_wait_loadcnt 0x1
	v_add_nc_u64_e32 v[22:23], v[14:15], v[10:11]
	s_wait_loadcnt 0x0
	v_add_nc_u64_e32 v[24:25], v[24:25], v[12:13]
	v_dual_mov_b32 v14, v16 :: v_dual_mov_b32 v15, v16
	s_branch .LBB163_8
.LBB163_7:                              ;   in Loop: Header=BB163_8 Depth=2
	s_wait_xcnt 0x0
	s_or_b32 exec_lo, exec_lo, s26
	ds_store_b32 v27, v31
	s_wait_dscnt 0x0
	s_barrier_signal -1
	s_barrier_wait -1
	ds_load_b128 v[30:33], v29
	ds_load_2addr_b32 v[46:47], v28 offset1:16
	ds_load_b128 v[34:37], v29 offset:512
	ds_load_2addr_b32 v[48:49], v28 offset0:32 offset1:48
	ds_load_2addr_b32 v[50:51], v28 offset0:64 offset1:80
	;; [unrolled: 1-line block ×3, first 2 shown]
	ds_load_b128 v[38:41], v29 offset:16
	ds_load_2addr_b32 v[54:55], v28 offset0:128 offset1:144
	ds_load_b128 v[42:45], v29 offset:528
	s_add_nc_u64 s[20:21], s[20:21], 8
	v_add_nc_u64_e32 v[22:23], 16, v[22:23]
	v_cmp_lt_i64_e64 s26, s[20:21], s[36:37]
	v_add_nc_u64_e32 v[24:25], 16, v[24:25]
	s_and_b32 vcc_lo, exec_lo, s26
	s_wait_dscnt 0x7
	v_pk_fma_f32 v[16:17], v[46:47], v[30:31], v[16:17] op_sel_hi:[1,0,1]
	s_wait_dscnt 0x6
	v_pk_fma_f32 v[14:15], v[46:47], v[34:35], v[14:15] op_sel_hi:[1,0,1]
	ds_load_2addr_b32 v[46:47], v28 offset0:160 offset1:176
	s_wait_dscnt 0x6
	v_pk_fma_f32 v[16:17], v[48:49], v[30:31], v[16:17] op_sel:[0,1,0]
	v_pk_fma_f32 v[14:15], v[48:49], v[34:35], v[14:15] op_sel:[0,1,0]
	ds_load_2addr_b32 v[30:31], v28 offset0:192 offset1:208
	v_dual_mov_b32 v34, v33 :: v_dual_mov_b32 v48, v37
	s_wait_dscnt 0x6
	v_pk_fma_f32 v[16:17], v[50:51], v[32:33], v[16:17] op_sel_hi:[1,0,1]
	v_pk_fma_f32 v[14:15], v[50:51], v[36:37], v[14:15] op_sel_hi:[1,0,1]
	ds_load_2addr_b32 v[32:33], v28 offset0:224 offset1:240
	s_wait_dscnt 0x3
	v_mov_b32_e32 v36, v45
	s_wait_dscnt 0x0
	v_pk_fma_f32 v[16:17], v[52:53], v[34:35], v[16:17] op_sel_hi:[1,0,1]
	v_pk_fma_f32 v[14:15], v[52:53], v[48:49], v[14:15] op_sel_hi:[1,0,1]
	v_mov_b32_e32 v34, v41
	s_barrier_signal -1
	s_barrier_wait -1
	v_pk_fma_f32 v[16:17], v[54:55], v[38:39], v[16:17] op_sel_hi:[1,0,1]
	v_pk_fma_f32 v[14:15], v[54:55], v[42:43], v[14:15] op_sel_hi:[1,0,1]
	s_delay_alu instid0(VALU_DEP_2) | instskip(NEXT) | instid1(VALU_DEP_2)
	v_pk_fma_f32 v[16:17], v[46:47], v[38:39], v[16:17] op_sel:[0,1,0]
	v_pk_fma_f32 v[14:15], v[46:47], v[42:43], v[14:15] op_sel:[0,1,0]
	s_delay_alu instid0(VALU_DEP_2) | instskip(NEXT) | instid1(VALU_DEP_2)
	v_pk_fma_f32 v[16:17], v[30:31], v[40:41], v[16:17] op_sel_hi:[1,0,1]
	v_pk_fma_f32 v[14:15], v[30:31], v[44:45], v[14:15] op_sel_hi:[1,0,1]
	s_delay_alu instid0(VALU_DEP_2) | instskip(NEXT) | instid1(VALU_DEP_2)
	v_pk_fma_f32 v[16:17], v[32:33], v[34:35], v[16:17] op_sel_hi:[1,0,1]
	v_pk_fma_f32 v[14:15], v[32:33], v[36:37], v[14:15] op_sel_hi:[1,0,1]
	s_cbranch_vccz .LBB163_12
.LBB163_8:                              ;   Parent Loop BB163_5 Depth=1
                                        ; =>  This Inner Loop Header: Depth=2
	v_add_nc_u64_e32 v[30:31], s[20:21], v[0:1]
	s_delay_alu instid0(VALU_DEP_1) | instskip(SKIP_2) | instid1(SALU_CYCLE_1)
	v_cmp_gt_i64_e32 vcc_lo, s[36:37], v[30:31]
	v_mov_b32_e32 v30, 0
	s_and_b32 s27, s0, vcc_lo
	s_and_saveexec_b32 s26, s27
	s_cbranch_execz .LBB163_10
; %bb.9:                                ;   in Loop: Header=BB163_8 Depth=2
	flat_load_u16 v30, v[24:25]
	s_wait_loadcnt_dscnt 0x0
	v_lshlrev_b32_e32 v30, 16, v30
.LBB163_10:                             ;   in Loop: Header=BB163_8 Depth=2
	s_wait_xcnt 0x0
	s_or_b32 exec_lo, exec_lo, s26
	v_add_nc_u64_e32 v[32:33], s[20:21], v[2:3]
	v_mov_b32_e32 v31, 0
	ds_store_b32 v26, v30
	v_cmp_gt_i64_e32 vcc_lo, s[36:37], v[32:33]
	s_and_b32 s27, vcc_lo, s1
	s_delay_alu instid0(SALU_CYCLE_1)
	s_and_saveexec_b32 s26, s27
	s_cbranch_execz .LBB163_7
; %bb.11:                               ;   in Loop: Header=BB163_8 Depth=2
	flat_load_u16 v30, v[22:23]
	s_wait_loadcnt_dscnt 0x0
	v_lshlrev_b32_e32 v31, 16, v30
	s_branch .LBB163_7
.LBB163_12:                             ;   in Loop: Header=BB163_5 Depth=1
	s_wait_loadcnt 0x0
	v_add_nc_u64_e32 v[20:21], s[12:13], v[20:21]
	s_and_not1_b32 vcc_lo, exec_lo, s24
	s_cbranch_vccnz .LBB163_17
; %bb.13:                               ;   in Loop: Header=BB163_5 Depth=1
	s_and_saveexec_b32 s20, s2
	s_cbranch_execz .LBB163_32
; %bb.14:                               ;   in Loop: Header=BB163_5 Depth=1
	s_delay_alu instid0(VALU_DEP_1)
	v_lshl_add_u64 v[22:23], v[4:5], 1, v[20:21]
	s_and_saveexec_b32 s21, s3
	s_cbranch_execnz .LBB163_18
; %bb.15:                               ;   in Loop: Header=BB163_5 Depth=1
	s_or_b32 exec_lo, exec_lo, s21
	s_and_saveexec_b32 s21, s4
	s_cbranch_execnz .LBB163_23
.LBB163_16:                             ;   in Loop: Header=BB163_5 Depth=1
	s_or_b32 exec_lo, exec_lo, s21
	s_delay_alu instid0(SALU_CYCLE_1)
	s_and_b32 exec_lo, exec_lo, s5
	s_cbranch_execnz .LBB163_28
	s_branch .LBB163_32
.LBB163_17:                             ;   in Loop: Header=BB163_5 Depth=1
	s_branch .LBB163_33
.LBB163_18:                             ;   in Loop: Header=BB163_5 Depth=1
	v_mul_f32_e32 v24, s38, v16
	s_delay_alu instid0(VALU_DEP_1) | instskip(NEXT) | instid1(VALU_DEP_1)
	v_and_b32_e32 v25, 0x7f800000, v24
	v_cmp_ne_u32_e32 vcc_lo, 0x7f800000, v25
                                        ; implicit-def: $vgpr25
	s_and_saveexec_b32 s26, vcc_lo
	s_delay_alu instid0(SALU_CYCLE_1)
	s_xor_b32 s26, exec_lo, s26
; %bb.19:                               ;   in Loop: Header=BB163_5 Depth=1
	v_bfe_u32 v25, v24, 16, 1
	s_delay_alu instid0(VALU_DEP_1)
	v_add3_u32 v25, v24, v25, 0x7fff
                                        ; implicit-def: $vgpr24
; %bb.20:                               ;   in Loop: Header=BB163_5 Depth=1
	s_and_not1_saveexec_b32 s26, s26
; %bb.21:                               ;   in Loop: Header=BB163_5 Depth=1
	v_and_b32_e32 v25, 0xffff, v24
	v_or_b32_e32 v30, 0x10000, v24
	s_delay_alu instid0(VALU_DEP_2) | instskip(NEXT) | instid1(VALU_DEP_2)
	v_cmp_eq_u32_e32 vcc_lo, 0, v25
	v_cndmask_b32_e32 v25, v30, v24, vcc_lo
; %bb.22:                               ;   in Loop: Header=BB163_5 Depth=1
	s_or_b32 exec_lo, exec_lo, s26
	v_lshl_add_u64 v[30:31], v[8:9], 1, v[22:23]
	flat_store_d16_hi_b16 v[30:31], v25
	s_wait_xcnt 0x0
	s_or_b32 exec_lo, exec_lo, s21
	s_and_saveexec_b32 s21, s4
	s_cbranch_execz .LBB163_16
.LBB163_23:                             ;   in Loop: Header=BB163_5 Depth=1
	v_mul_f32_e32 v24, s38, v17
	s_delay_alu instid0(VALU_DEP_1) | instskip(NEXT) | instid1(VALU_DEP_1)
	v_and_b32_e32 v25, 0x7f800000, v24
	v_cmp_ne_u32_e32 vcc_lo, 0x7f800000, v25
                                        ; implicit-def: $vgpr25
	s_and_saveexec_b32 s26, vcc_lo
	s_delay_alu instid0(SALU_CYCLE_1)
	s_xor_b32 s26, exec_lo, s26
; %bb.24:                               ;   in Loop: Header=BB163_5 Depth=1
	v_bfe_u32 v25, v24, 16, 1
	s_delay_alu instid0(VALU_DEP_1)
	v_add3_u32 v25, v24, v25, 0x7fff
                                        ; implicit-def: $vgpr24
; %bb.25:                               ;   in Loop: Header=BB163_5 Depth=1
	s_and_not1_saveexec_b32 s26, s26
; %bb.26:                               ;   in Loop: Header=BB163_5 Depth=1
	v_and_b32_e32 v25, 0xffff, v24
	v_or_b32_e32 v30, 0x10000, v24
	s_delay_alu instid0(VALU_DEP_2) | instskip(NEXT) | instid1(VALU_DEP_2)
	v_cmp_eq_u32_e32 vcc_lo, 0, v25
	v_cndmask_b32_e32 v25, v30, v24, vcc_lo
; %bb.27:                               ;   in Loop: Header=BB163_5 Depth=1
	s_or_b32 exec_lo, exec_lo, s26
	v_lshl_add_u64 v[30:31], v[8:9], 1, v[22:23]
	flat_store_d16_hi_b16 v[30:31], v25 offset:32
	s_wait_xcnt 0x0
	s_or_b32 exec_lo, exec_lo, s21
	s_delay_alu instid0(SALU_CYCLE_1)
	s_and_b32 exec_lo, exec_lo, s5
	s_cbranch_execz .LBB163_32
.LBB163_28:                             ;   in Loop: Header=BB163_5 Depth=1
	v_lshl_add_u64 v[22:23], s[6:7], 1, v[22:23]
	s_delay_alu instid0(VALU_DEP_1)
	v_lshl_add_u64 v[22:23], v[8:9], 1, v[22:23]
	s_and_saveexec_b32 s21, s3
	s_cbranch_execz .LBB163_30
; %bb.29:                               ;   in Loop: Header=BB163_5 Depth=1
	v_mul_f32_e32 v24, s38, v14
	s_delay_alu instid0(VALU_DEP_1) | instskip(SKIP_3) | instid1(VALU_DEP_4)
	v_and_b32_e32 v30, 0xffff, v24
	v_bfe_u32 v25, v24, 16, 1
	v_or_b32_e32 v31, 0x10000, v24
	v_and_b32_e32 v32, 0x7f800000, v24
	v_cmp_eq_u32_e32 vcc_lo, 0, v30
	s_delay_alu instid0(VALU_DEP_4) | instskip(NEXT) | instid1(VALU_DEP_4)
	v_add3_u32 v25, v24, v25, 0x7fff
	v_cndmask_b32_e32 v24, v31, v24, vcc_lo
	s_delay_alu instid0(VALU_DEP_4) | instskip(NEXT) | instid1(VALU_DEP_2)
	v_cmp_eq_u32_e32 vcc_lo, 0x7f800000, v32
	v_cndmask_b32_e32 v24, v25, v24, vcc_lo
	flat_store_d16_hi_b16 v[22:23], v24
.LBB163_30:                             ;   in Loop: Header=BB163_5 Depth=1
	s_wait_xcnt 0x0
	s_or_b32 exec_lo, exec_lo, s21
	s_delay_alu instid0(SALU_CYCLE_1)
	s_and_b32 exec_lo, exec_lo, s4
	s_cbranch_execz .LBB163_32
; %bb.31:                               ;   in Loop: Header=BB163_5 Depth=1
	v_mul_f32_e32 v24, s38, v15
	s_delay_alu instid0(VALU_DEP_1) | instskip(SKIP_3) | instid1(VALU_DEP_4)
	v_and_b32_e32 v30, 0xffff, v24
	v_bfe_u32 v25, v24, 16, 1
	v_or_b32_e32 v31, 0x10000, v24
	v_and_b32_e32 v32, 0x7f800000, v24
	v_cmp_eq_u32_e32 vcc_lo, 0, v30
	s_delay_alu instid0(VALU_DEP_4) | instskip(NEXT) | instid1(VALU_DEP_4)
	v_add3_u32 v25, v24, v25, 0x7fff
	v_cndmask_b32_e32 v24, v31, v24, vcc_lo
	s_delay_alu instid0(VALU_DEP_4) | instskip(NEXT) | instid1(VALU_DEP_2)
	v_cmp_eq_u32_e32 vcc_lo, 0x7f800000, v32
	v_cndmask_b32_e32 v24, v25, v24, vcc_lo
	flat_store_d16_hi_b16 v[22:23], v24 offset:32
.LBB163_32:                             ;   in Loop: Header=BB163_5 Depth=1
	s_wait_xcnt 0x0
	s_or_b32 exec_lo, exec_lo, s20
	s_cbranch_execnz .LBB163_4
.LBB163_33:                             ;   in Loop: Header=BB163_5 Depth=1
	s_and_saveexec_b32 s20, s2
	s_cbranch_execz .LBB163_3
; %bb.34:                               ;   in Loop: Header=BB163_5 Depth=1
	v_add_nc_u64_e32 v[18:19], s[18:19], v[18:19]
	v_lshl_add_u64 v[20:21], v[4:5], 1, v[20:21]
	s_delay_alu instid0(VALU_DEP_2) | instskip(NEXT) | instid1(VALU_DEP_1)
	v_lshl_add_u64 v[18:19], v[6:7], 1, v[18:19]
	v_lshl_add_u64 v[22:23], v[8:9], 1, v[18:19]
	s_and_saveexec_b32 s21, s3
	s_cbranch_execnz .LBB163_37
; %bb.35:                               ;   in Loop: Header=BB163_5 Depth=1
	s_or_b32 exec_lo, exec_lo, s21
	s_and_saveexec_b32 s21, s4
	s_cbranch_execnz .LBB163_46
.LBB163_36:                             ;   in Loop: Header=BB163_5 Depth=1
	s_or_b32 exec_lo, exec_lo, s21
	s_delay_alu instid0(SALU_CYCLE_1)
	s_and_b32 exec_lo, exec_lo, s5
	s_cbranch_execz .LBB163_3
	s_branch .LBB163_55
.LBB163_37:                             ;   in Loop: Header=BB163_5 Depth=1
	flat_load_u16 v24, v[22:23]
	s_wait_loadcnt_dscnt 0x0
	v_lshlrev_b32_e32 v24, 16, v24
	s_delay_alu instid0(VALU_DEP_1) | instskip(NEXT) | instid1(VALU_DEP_1)
	v_mul_f32_e32 v24, s39, v24
	v_and_b32_e32 v25, 0x7f800000, v24
	s_delay_alu instid0(VALU_DEP_1) | instskip(SKIP_2) | instid1(SALU_CYCLE_1)
	v_cmp_ne_u32_e32 vcc_lo, 0x7f800000, v25
                                        ; implicit-def: $vgpr25
	s_wait_xcnt 0x0
	s_and_saveexec_b32 s26, vcc_lo
	s_xor_b32 s26, exec_lo, s26
; %bb.38:                               ;   in Loop: Header=BB163_5 Depth=1
	v_bfe_u32 v25, v24, 16, 1
	s_delay_alu instid0(VALU_DEP_1)
	v_add3_u32 v25, v24, v25, 0x7fff
                                        ; implicit-def: $vgpr24
; %bb.39:                               ;   in Loop: Header=BB163_5 Depth=1
	s_and_not1_saveexec_b32 s26, s26
; %bb.40:                               ;   in Loop: Header=BB163_5 Depth=1
	v_and_b32_e32 v25, 0xffff, v24
	v_or_b32_e32 v30, 0x10000, v24
	s_delay_alu instid0(VALU_DEP_2) | instskip(NEXT) | instid1(VALU_DEP_2)
	v_cmp_eq_u32_e32 vcc_lo, 0, v25
	v_cndmask_b32_e32 v25, v30, v24, vcc_lo
; %bb.41:                               ;   in Loop: Header=BB163_5 Depth=1
	s_or_b32 exec_lo, exec_lo, s26
	s_delay_alu instid0(VALU_DEP_1) | instskip(NEXT) | instid1(VALU_DEP_1)
	v_fma_mix_f32_bf16 v16, s38, v16, v25 op_sel:[0,0,1] op_sel_hi:[0,0,1]
	v_and_b32_e32 v24, 0x7f800000, v16
	s_delay_alu instid0(VALU_DEP_1) | instskip(SKIP_1) | instid1(SALU_CYCLE_1)
	v_cmp_ne_u32_e32 vcc_lo, 0x7f800000, v24
                                        ; implicit-def: $vgpr24
	s_and_saveexec_b32 s26, vcc_lo
	s_xor_b32 s26, exec_lo, s26
; %bb.42:                               ;   in Loop: Header=BB163_5 Depth=1
	v_bfe_u32 v24, v16, 16, 1
	s_delay_alu instid0(VALU_DEP_1)
	v_add3_u32 v24, v16, v24, 0x7fff
                                        ; implicit-def: $vgpr16
; %bb.43:                               ;   in Loop: Header=BB163_5 Depth=1
	s_and_not1_saveexec_b32 s26, s26
; %bb.44:                               ;   in Loop: Header=BB163_5 Depth=1
	v_and_b32_e32 v24, 0xffff, v16
	v_or_b32_e32 v25, 0x10000, v16
	s_delay_alu instid0(VALU_DEP_2) | instskip(NEXT) | instid1(VALU_DEP_2)
	v_cmp_eq_u32_e32 vcc_lo, 0, v24
	v_cndmask_b32_e32 v24, v25, v16, vcc_lo
; %bb.45:                               ;   in Loop: Header=BB163_5 Depth=1
	s_or_b32 exec_lo, exec_lo, s26
	v_lshl_add_u64 v[30:31], v[8:9], 1, v[20:21]
	flat_store_d16_hi_b16 v[30:31], v24
	s_wait_xcnt 0x0
	s_or_b32 exec_lo, exec_lo, s21
	s_and_saveexec_b32 s21, s4
	s_cbranch_execz .LBB163_36
.LBB163_46:                             ;   in Loop: Header=BB163_5 Depth=1
	flat_load_u16 v16, v[22:23] offset:32
	s_wait_loadcnt_dscnt 0x0
	v_lshlrev_b32_e32 v16, 16, v16
	s_delay_alu instid0(VALU_DEP_1) | instskip(SKIP_1) | instid1(VALU_DEP_1)
	v_mul_f32_e32 v16, s39, v16
	s_wait_xcnt 0x0
	v_and_b32_e32 v22, 0x7f800000, v16
	s_delay_alu instid0(VALU_DEP_1) | instskip(SKIP_1) | instid1(SALU_CYCLE_1)
	v_cmp_ne_u32_e32 vcc_lo, 0x7f800000, v22
                                        ; implicit-def: $vgpr22
	s_and_saveexec_b32 s26, vcc_lo
	s_xor_b32 s26, exec_lo, s26
; %bb.47:                               ;   in Loop: Header=BB163_5 Depth=1
	v_bfe_u32 v22, v16, 16, 1
	s_delay_alu instid0(VALU_DEP_1)
	v_add3_u32 v22, v16, v22, 0x7fff
                                        ; implicit-def: $vgpr16
; %bb.48:                               ;   in Loop: Header=BB163_5 Depth=1
	s_and_not1_saveexec_b32 s26, s26
; %bb.49:                               ;   in Loop: Header=BB163_5 Depth=1
	v_and_b32_e32 v22, 0xffff, v16
	v_or_b32_e32 v23, 0x10000, v16
	s_delay_alu instid0(VALU_DEP_2) | instskip(NEXT) | instid1(VALU_DEP_2)
	v_cmp_eq_u32_e32 vcc_lo, 0, v22
	v_cndmask_b32_e32 v22, v23, v16, vcc_lo
; %bb.50:                               ;   in Loop: Header=BB163_5 Depth=1
	s_or_b32 exec_lo, exec_lo, s26
	s_delay_alu instid0(VALU_DEP_1) | instskip(NEXT) | instid1(VALU_DEP_1)
	v_fma_mix_f32_bf16 v16, s38, v17, v22 op_sel:[0,0,1] op_sel_hi:[0,0,1]
	v_and_b32_e32 v17, 0x7f800000, v16
	s_delay_alu instid0(VALU_DEP_1) | instskip(SKIP_1) | instid1(SALU_CYCLE_1)
	v_cmp_ne_u32_e32 vcc_lo, 0x7f800000, v17
                                        ; implicit-def: $vgpr17
	s_and_saveexec_b32 s26, vcc_lo
	s_xor_b32 s26, exec_lo, s26
; %bb.51:                               ;   in Loop: Header=BB163_5 Depth=1
	v_bfe_u32 v17, v16, 16, 1
	s_delay_alu instid0(VALU_DEP_1)
	v_add3_u32 v17, v16, v17, 0x7fff
                                        ; implicit-def: $vgpr16
; %bb.52:                               ;   in Loop: Header=BB163_5 Depth=1
	s_and_not1_saveexec_b32 s26, s26
; %bb.53:                               ;   in Loop: Header=BB163_5 Depth=1
	v_and_b32_e32 v17, 0xffff, v16
	v_or_b32_e32 v22, 0x10000, v16
	s_delay_alu instid0(VALU_DEP_2) | instskip(NEXT) | instid1(VALU_DEP_2)
	v_cmp_eq_u32_e32 vcc_lo, 0, v17
	v_cndmask_b32_e32 v17, v22, v16, vcc_lo
; %bb.54:                               ;   in Loop: Header=BB163_5 Depth=1
	s_or_b32 exec_lo, exec_lo, s26
	v_lshl_add_u64 v[22:23], v[8:9], 1, v[20:21]
	flat_store_d16_hi_b16 v[22:23], v17 offset:32
	s_wait_xcnt 0x0
	s_or_b32 exec_lo, exec_lo, s21
	s_delay_alu instid0(SALU_CYCLE_1)
	s_and_b32 exec_lo, exec_lo, s5
	s_cbranch_execz .LBB163_3
.LBB163_55:                             ;   in Loop: Header=BB163_5 Depth=1
	v_lshlrev_b64_e32 v[16:17], 1, v[8:9]
	v_lshl_add_u64 v[18:19], s[10:11], 1, v[18:19]
	v_lshl_add_u64 v[20:21], s[6:7], 1, v[20:21]
	s_delay_alu instid0(VALU_DEP_2) | instskip(NEXT) | instid1(VALU_DEP_2)
	v_add_nc_u64_e32 v[18:19], v[18:19], v[16:17]
	v_add_nc_u64_e32 v[16:17], v[20:21], v[16:17]
	s_and_saveexec_b32 s21, s3
	s_cbranch_execz .LBB163_65
; %bb.56:                               ;   in Loop: Header=BB163_5 Depth=1
	flat_load_u16 v20, v[18:19]
	s_wait_loadcnt_dscnt 0x0
	v_lshlrev_b32_e32 v20, 16, v20
	s_delay_alu instid0(VALU_DEP_1) | instskip(NEXT) | instid1(VALU_DEP_1)
	v_mul_f32_e32 v20, s39, v20
	v_and_b32_e32 v21, 0x7f800000, v20
	s_delay_alu instid0(VALU_DEP_1) | instskip(SKIP_2) | instid1(SALU_CYCLE_1)
	v_cmp_ne_u32_e32 vcc_lo, 0x7f800000, v21
                                        ; implicit-def: $vgpr21
	s_wait_xcnt 0x0
	s_and_saveexec_b32 s26, vcc_lo
	s_xor_b32 s26, exec_lo, s26
; %bb.57:                               ;   in Loop: Header=BB163_5 Depth=1
	v_bfe_u32 v21, v20, 16, 1
	s_delay_alu instid0(VALU_DEP_1)
	v_add3_u32 v21, v20, v21, 0x7fff
                                        ; implicit-def: $vgpr20
; %bb.58:                               ;   in Loop: Header=BB163_5 Depth=1
	s_and_not1_saveexec_b32 s26, s26
; %bb.59:                               ;   in Loop: Header=BB163_5 Depth=1
	v_and_b32_e32 v21, 0xffff, v20
	v_or_b32_e32 v22, 0x10000, v20
	s_delay_alu instid0(VALU_DEP_2) | instskip(NEXT) | instid1(VALU_DEP_2)
	v_cmp_eq_u32_e32 vcc_lo, 0, v21
	v_cndmask_b32_e32 v21, v22, v20, vcc_lo
; %bb.60:                               ;   in Loop: Header=BB163_5 Depth=1
	s_or_b32 exec_lo, exec_lo, s26
	s_delay_alu instid0(VALU_DEP_1) | instskip(NEXT) | instid1(VALU_DEP_1)
	v_fma_mix_f32_bf16 v14, s38, v14, v21 op_sel:[0,0,1] op_sel_hi:[0,0,1]
	v_and_b32_e32 v20, 0x7f800000, v14
	s_delay_alu instid0(VALU_DEP_1) | instskip(SKIP_1) | instid1(SALU_CYCLE_1)
	v_cmp_ne_u32_e32 vcc_lo, 0x7f800000, v20
                                        ; implicit-def: $vgpr20
	s_and_saveexec_b32 s26, vcc_lo
	s_xor_b32 s26, exec_lo, s26
; %bb.61:                               ;   in Loop: Header=BB163_5 Depth=1
	v_bfe_u32 v20, v14, 16, 1
	s_delay_alu instid0(VALU_DEP_1)
	v_add3_u32 v20, v14, v20, 0x7fff
                                        ; implicit-def: $vgpr14
; %bb.62:                               ;   in Loop: Header=BB163_5 Depth=1
	s_and_not1_saveexec_b32 s26, s26
; %bb.63:                               ;   in Loop: Header=BB163_5 Depth=1
	v_and_b32_e32 v20, 0xffff, v14
	v_or_b32_e32 v21, 0x10000, v14
	s_delay_alu instid0(VALU_DEP_2) | instskip(NEXT) | instid1(VALU_DEP_2)
	v_cmp_eq_u32_e32 vcc_lo, 0, v20
	v_cndmask_b32_e32 v20, v21, v14, vcc_lo
; %bb.64:                               ;   in Loop: Header=BB163_5 Depth=1
	s_or_b32 exec_lo, exec_lo, s26
	flat_store_d16_hi_b16 v[16:17], v20
.LBB163_65:                             ;   in Loop: Header=BB163_5 Depth=1
	s_wait_xcnt 0x0
	s_or_b32 exec_lo, exec_lo, s21
	s_delay_alu instid0(SALU_CYCLE_1)
	s_and_b32 exec_lo, exec_lo, s4
	s_cbranch_execz .LBB163_3
; %bb.66:                               ;   in Loop: Header=BB163_5 Depth=1
	flat_load_u16 v14, v[18:19] offset:32
	s_wait_loadcnt_dscnt 0x0
	v_lshlrev_b32_e32 v14, 16, v14
	s_delay_alu instid0(VALU_DEP_1) | instskip(SKIP_1) | instid1(VALU_DEP_1)
	v_mul_f32_e32 v14, s39, v14
	s_wait_xcnt 0x0
	v_and_b32_e32 v18, 0x7f800000, v14
	s_delay_alu instid0(VALU_DEP_1) | instskip(SKIP_1) | instid1(SALU_CYCLE_1)
	v_cmp_ne_u32_e32 vcc_lo, 0x7f800000, v18
                                        ; implicit-def: $vgpr18
	s_and_saveexec_b32 s21, vcc_lo
	s_xor_b32 s21, exec_lo, s21
; %bb.67:                               ;   in Loop: Header=BB163_5 Depth=1
	v_bfe_u32 v18, v14, 16, 1
	s_delay_alu instid0(VALU_DEP_1)
	v_add3_u32 v18, v14, v18, 0x7fff
                                        ; implicit-def: $vgpr14
; %bb.68:                               ;   in Loop: Header=BB163_5 Depth=1
	s_and_not1_saveexec_b32 s21, s21
; %bb.69:                               ;   in Loop: Header=BB163_5 Depth=1
	v_and_b32_e32 v18, 0xffff, v14
	v_or_b32_e32 v19, 0x10000, v14
	s_delay_alu instid0(VALU_DEP_2) | instskip(NEXT) | instid1(VALU_DEP_2)
	v_cmp_eq_u32_e32 vcc_lo, 0, v18
	v_cndmask_b32_e32 v18, v19, v14, vcc_lo
; %bb.70:                               ;   in Loop: Header=BB163_5 Depth=1
	s_or_b32 exec_lo, exec_lo, s21
	s_delay_alu instid0(VALU_DEP_1) | instskip(NEXT) | instid1(VALU_DEP_1)
	v_fma_mix_f32_bf16 v14, s38, v15, v18 op_sel:[0,0,1] op_sel_hi:[0,0,1]
	v_and_b32_e32 v15, 0x7f800000, v14
	s_delay_alu instid0(VALU_DEP_1) | instskip(SKIP_1) | instid1(SALU_CYCLE_1)
	v_cmp_ne_u32_e32 vcc_lo, 0x7f800000, v15
                                        ; implicit-def: $vgpr15
	s_and_saveexec_b32 s21, vcc_lo
	s_xor_b32 s21, exec_lo, s21
; %bb.71:                               ;   in Loop: Header=BB163_5 Depth=1
	v_bfe_u32 v15, v14, 16, 1
	s_delay_alu instid0(VALU_DEP_1)
	v_add3_u32 v15, v14, v15, 0x7fff
                                        ; implicit-def: $vgpr14
; %bb.72:                               ;   in Loop: Header=BB163_5 Depth=1
	s_and_not1_saveexec_b32 s21, s21
	s_cbranch_execz .LBB163_2
; %bb.73:                               ;   in Loop: Header=BB163_5 Depth=1
	v_and_b32_e32 v15, 0xffff, v14
	v_or_b32_e32 v18, 0x10000, v14
	s_delay_alu instid0(VALU_DEP_2) | instskip(NEXT) | instid1(VALU_DEP_2)
	v_cmp_eq_u32_e32 vcc_lo, 0, v15
	v_cndmask_b32_e32 v15, v18, v14, vcc_lo
	s_branch .LBB163_2
.LBB163_74:
	s_endpgm
	.section	.rodata,"a",@progbits
	.p2align	6, 0x0
	.amdhsa_kernel _ZN12_GLOBAL__N_135rocblas_gemm_batched_general_kernelIfLi16ELi16ELi32ELi32ELi8ELi32ELi8ELi8ELi32ELc67ELc78EKPK16rocblas_bfloat16S4_KPS1_EEvlllT_PT11_llS9_llS7_PT12_llPT13_lli
		.amdhsa_group_segment_fixed_size 2048
		.amdhsa_private_segment_fixed_size 0
		.amdhsa_kernarg_size 140
		.amdhsa_user_sgpr_count 2
		.amdhsa_user_sgpr_dispatch_ptr 0
		.amdhsa_user_sgpr_queue_ptr 0
		.amdhsa_user_sgpr_kernarg_segment_ptr 1
		.amdhsa_user_sgpr_dispatch_id 0
		.amdhsa_user_sgpr_kernarg_preload_length 0
		.amdhsa_user_sgpr_kernarg_preload_offset 0
		.amdhsa_user_sgpr_private_segment_size 0
		.amdhsa_wavefront_size32 1
		.amdhsa_uses_dynamic_stack 0
		.amdhsa_enable_private_segment 0
		.amdhsa_system_sgpr_workgroup_id_x 1
		.amdhsa_system_sgpr_workgroup_id_y 1
		.amdhsa_system_sgpr_workgroup_id_z 1
		.amdhsa_system_sgpr_workgroup_info 0
		.amdhsa_system_vgpr_workitem_id 1
		.amdhsa_next_free_vgpr 56
		.amdhsa_next_free_sgpr 42
		.amdhsa_named_barrier_count 0
		.amdhsa_reserve_vcc 1
		.amdhsa_float_round_mode_32 0
		.amdhsa_float_round_mode_16_64 0
		.amdhsa_float_denorm_mode_32 3
		.amdhsa_float_denorm_mode_16_64 3
		.amdhsa_fp16_overflow 0
		.amdhsa_memory_ordered 1
		.amdhsa_forward_progress 1
		.amdhsa_inst_pref_size 23
		.amdhsa_round_robin_scheduling 0
		.amdhsa_exception_fp_ieee_invalid_op 0
		.amdhsa_exception_fp_denorm_src 0
		.amdhsa_exception_fp_ieee_div_zero 0
		.amdhsa_exception_fp_ieee_overflow 0
		.amdhsa_exception_fp_ieee_underflow 0
		.amdhsa_exception_fp_ieee_inexact 0
		.amdhsa_exception_int_div_zero 0
	.end_amdhsa_kernel
	.section	.text._ZN12_GLOBAL__N_135rocblas_gemm_batched_general_kernelIfLi16ELi16ELi32ELi32ELi8ELi32ELi8ELi8ELi32ELc67ELc78EKPK16rocblas_bfloat16S4_KPS1_EEvlllT_PT11_llS9_llS7_PT12_llPT13_lli,"axG",@progbits,_ZN12_GLOBAL__N_135rocblas_gemm_batched_general_kernelIfLi16ELi16ELi32ELi32ELi8ELi32ELi8ELi8ELi32ELc67ELc78EKPK16rocblas_bfloat16S4_KPS1_EEvlllT_PT11_llS9_llS7_PT12_llPT13_lli,comdat
.Lfunc_end163:
	.size	_ZN12_GLOBAL__N_135rocblas_gemm_batched_general_kernelIfLi16ELi16ELi32ELi32ELi8ELi32ELi8ELi8ELi32ELc67ELc78EKPK16rocblas_bfloat16S4_KPS1_EEvlllT_PT11_llS9_llS7_PT12_llPT13_lli, .Lfunc_end163-_ZN12_GLOBAL__N_135rocblas_gemm_batched_general_kernelIfLi16ELi16ELi32ELi32ELi8ELi32ELi8ELi8ELi32ELc67ELc78EKPK16rocblas_bfloat16S4_KPS1_EEvlllT_PT11_llS9_llS7_PT12_llPT13_lli
                                        ; -- End function
	.set _ZN12_GLOBAL__N_135rocblas_gemm_batched_general_kernelIfLi16ELi16ELi32ELi32ELi8ELi32ELi8ELi8ELi32ELc67ELc78EKPK16rocblas_bfloat16S4_KPS1_EEvlllT_PT11_llS9_llS7_PT12_llPT13_lli.num_vgpr, 56
	.set _ZN12_GLOBAL__N_135rocblas_gemm_batched_general_kernelIfLi16ELi16ELi32ELi32ELi8ELi32ELi8ELi8ELi32ELc67ELc78EKPK16rocblas_bfloat16S4_KPS1_EEvlllT_PT11_llS9_llS7_PT12_llPT13_lli.num_agpr, 0
	.set _ZN12_GLOBAL__N_135rocblas_gemm_batched_general_kernelIfLi16ELi16ELi32ELi32ELi8ELi32ELi8ELi8ELi32ELc67ELc78EKPK16rocblas_bfloat16S4_KPS1_EEvlllT_PT11_llS9_llS7_PT12_llPT13_lli.numbered_sgpr, 42
	.set _ZN12_GLOBAL__N_135rocblas_gemm_batched_general_kernelIfLi16ELi16ELi32ELi32ELi8ELi32ELi8ELi8ELi32ELc67ELc78EKPK16rocblas_bfloat16S4_KPS1_EEvlllT_PT11_llS9_llS7_PT12_llPT13_lli.num_named_barrier, 0
	.set _ZN12_GLOBAL__N_135rocblas_gemm_batched_general_kernelIfLi16ELi16ELi32ELi32ELi8ELi32ELi8ELi8ELi32ELc67ELc78EKPK16rocblas_bfloat16S4_KPS1_EEvlllT_PT11_llS9_llS7_PT12_llPT13_lli.private_seg_size, 0
	.set _ZN12_GLOBAL__N_135rocblas_gemm_batched_general_kernelIfLi16ELi16ELi32ELi32ELi8ELi32ELi8ELi8ELi32ELc67ELc78EKPK16rocblas_bfloat16S4_KPS1_EEvlllT_PT11_llS9_llS7_PT12_llPT13_lli.uses_vcc, 1
	.set _ZN12_GLOBAL__N_135rocblas_gemm_batched_general_kernelIfLi16ELi16ELi32ELi32ELi8ELi32ELi8ELi8ELi32ELc67ELc78EKPK16rocblas_bfloat16S4_KPS1_EEvlllT_PT11_llS9_llS7_PT12_llPT13_lli.uses_flat_scratch, 0
	.set _ZN12_GLOBAL__N_135rocblas_gemm_batched_general_kernelIfLi16ELi16ELi32ELi32ELi8ELi32ELi8ELi8ELi32ELc67ELc78EKPK16rocblas_bfloat16S4_KPS1_EEvlllT_PT11_llS9_llS7_PT12_llPT13_lli.has_dyn_sized_stack, 0
	.set _ZN12_GLOBAL__N_135rocblas_gemm_batched_general_kernelIfLi16ELi16ELi32ELi32ELi8ELi32ELi8ELi8ELi32ELc67ELc78EKPK16rocblas_bfloat16S4_KPS1_EEvlllT_PT11_llS9_llS7_PT12_llPT13_lli.has_recursion, 0
	.set _ZN12_GLOBAL__N_135rocblas_gemm_batched_general_kernelIfLi16ELi16ELi32ELi32ELi8ELi32ELi8ELi8ELi32ELc67ELc78EKPK16rocblas_bfloat16S4_KPS1_EEvlllT_PT11_llS9_llS7_PT12_llPT13_lli.has_indirect_call, 0
	.section	.AMDGPU.csdata,"",@progbits
; Kernel info:
; codeLenInByte = 2888
; TotalNumSgprs: 44
; NumVgprs: 56
; ScratchSize: 0
; MemoryBound: 0
; FloatMode: 240
; IeeeMode: 1
; LDSByteSize: 2048 bytes/workgroup (compile time only)
; SGPRBlocks: 0
; VGPRBlocks: 3
; NumSGPRsForWavesPerEU: 44
; NumVGPRsForWavesPerEU: 56
; NamedBarCnt: 0
; Occupancy: 16
; WaveLimiterHint : 1
; COMPUTE_PGM_RSRC2:SCRATCH_EN: 0
; COMPUTE_PGM_RSRC2:USER_SGPR: 2
; COMPUTE_PGM_RSRC2:TRAP_HANDLER: 0
; COMPUTE_PGM_RSRC2:TGID_X_EN: 1
; COMPUTE_PGM_RSRC2:TGID_Y_EN: 1
; COMPUTE_PGM_RSRC2:TGID_Z_EN: 1
; COMPUTE_PGM_RSRC2:TIDIG_COMP_CNT: 1
	.section	.text._ZN12_GLOBAL__N_135rocblas_gemm_batched_general_kernelIfLi16ELi16ELi32ELi32ELi8ELi32ELi8ELi8ELi32ELc67ELc84EKPK16rocblas_bfloat16S4_KPS1_EEvlllT_PT11_llS9_llS7_PT12_llPT13_lli,"axG",@progbits,_ZN12_GLOBAL__N_135rocblas_gemm_batched_general_kernelIfLi16ELi16ELi32ELi32ELi8ELi32ELi8ELi8ELi32ELc67ELc84EKPK16rocblas_bfloat16S4_KPS1_EEvlllT_PT11_llS9_llS7_PT12_llPT13_lli,comdat
	.globl	_ZN12_GLOBAL__N_135rocblas_gemm_batched_general_kernelIfLi16ELi16ELi32ELi32ELi8ELi32ELi8ELi8ELi32ELc67ELc84EKPK16rocblas_bfloat16S4_KPS1_EEvlllT_PT11_llS9_llS7_PT12_llPT13_lli ; -- Begin function _ZN12_GLOBAL__N_135rocblas_gemm_batched_general_kernelIfLi16ELi16ELi32ELi32ELi8ELi32ELi8ELi8ELi32ELc67ELc84EKPK16rocblas_bfloat16S4_KPS1_EEvlllT_PT11_llS9_llS7_PT12_llPT13_lli
	.p2align	8
	.type	_ZN12_GLOBAL__N_135rocblas_gemm_batched_general_kernelIfLi16ELi16ELi32ELi32ELi8ELi32ELi8ELi8ELi32ELc67ELc84EKPK16rocblas_bfloat16S4_KPS1_EEvlllT_PT11_llS9_llS7_PT12_llPT13_lli,@function
_ZN12_GLOBAL__N_135rocblas_gemm_batched_general_kernelIfLi16ELi16ELi32ELi32ELi8ELi32ELi8ELi8ELi32ELc67ELc84EKPK16rocblas_bfloat16S4_KPS1_EEvlllT_PT11_llS9_llS7_PT12_llPT13_lli: ; @_ZN12_GLOBAL__N_135rocblas_gemm_batched_general_kernelIfLi16ELi16ELi32ELi32ELi8ELi32ELi8ELi8ELi32ELc67ELc84EKPK16rocblas_bfloat16S4_KPS1_EEvlllT_PT11_llS9_llS7_PT12_llPT13_lli
; %bb.0:
	s_load_b32 s33, s[0:1], 0x88
	s_bfe_u32 s2, ttmp6, 0x40014
	s_lshr_b32 s3, ttmp7, 16
	s_add_co_i32 s2, s2, 1
	s_bfe_u32 s5, ttmp6, 0x40008
	s_mul_i32 s4, s3, s2
	s_getreg_b32 s2, hwreg(HW_REG_IB_STS2, 6, 4)
	s_add_co_i32 s5, s5, s4
	s_cmp_eq_u32 s2, 0
	s_mov_b32 s35, 0
	s_cselect_b32 s34, s3, s5
	s_wait_kmcnt 0x0
	s_cmp_ge_i32 s34, s33
	s_cbranch_scc1 .LBB164_74
; %bb.1:
	v_bfe_u32 v10, v0, 10, 10
	v_and_b32_e32 v12, 0x3ff, v0
	s_clause 0x6
	s_load_b128 s[4:7], s[0:1], 0x0
	s_load_b96 s[36:38], s[0:1], 0x10
	s_load_b256 s[8:15], s[0:1], 0x20
	s_load_b128 s[24:27], s[0:1], 0x40
	s_load_b32 s39, s[0:1], 0x50
	s_load_b128 s[28:31], s[0:1], 0x78
	s_load_b256 s[16:23], s[0:1], 0x58
	s_wait_xcnt 0x0
	s_bfe_u32 s0, ttmp6, 0x4000c
	s_bfe_u32 s3, ttmp6, 0x40010
	s_add_co_i32 s0, s0, 1
	s_and_b32 s40, ttmp7, 0xffff
	s_add_co_i32 s3, s3, 1
	s_and_b32 s1, ttmp6, 15
	s_mul_i32 s0, ttmp9, s0
	s_mul_i32 s3, s40, s3
	s_bfe_u32 s41, ttmp6, 0x40004
	v_lshl_add_u32 v6, v10, 4, v12
	s_add_co_i32 s1, s1, s0
	s_add_co_i32 s41, s41, s3
	s_cmp_eq_u32 s2, 0
	s_delay_alu instid0(VALU_DEP_1) | instskip(SKIP_3) | instid1(VALU_DEP_1)
	v_dual_mov_b32 v1, 0 :: v_dual_bitop2_b32 v8, 31, v6 bitop3:0x40
	s_cselect_b32 s0, ttmp9, s1
	s_cselect_b32 s41, s40, s41
	s_ashr_i32 s1, s0, 31
	v_dual_mov_b32 v11, v1 :: v_dual_bitop2_b32 v2, 7, v0 bitop3:0x40
	v_dual_mov_b32 v3, v1 :: v_dual_lshrrev_b32 v0, 5, v6
	s_lshl_b64 s[2:3], s[0:1], 5
	v_dual_mov_b32 v17, v1 :: v_dual_lshrrev_b32 v16, 3, v6
	v_dual_mov_b32 v5, s3 :: v_dual_bitop2_b32 v4, s2, v8 bitop3:0x54
	s_wait_kmcnt 0x0
	v_mul_u64_e32 v[14:15], s[24:25], v[2:3]
	v_dual_lshlrev_b32 v9, 2, v2 :: v_dual_lshlrev_b32 v8, 2, v8
	s_lshl_b32 s0, s41, 5
	v_mul_u64_e32 v[18:19], s[10:11], v[4:5]
	s_mov_b32 s1, s35
	s_delay_alu instid0(VALU_DEP_2)
	v_lshl_or_b32 v9, v16, 5, v9
	v_add_nc_u64_e32 v[6:7], s[0:1], v[16:17]
	v_add_nc_u64_e32 v[20:21], s[0:1], v[10:11]
	v_dual_mov_b32 v13, v1 :: v_dual_lshlrev_b32 v28, 2, v12
	v_lshl_or_b32 v26, v0, 7, v8
	v_add_nc_u32_e32 v27, 0x400, v9
	v_cmp_gt_i64_e64 s0, s[4:5], v[4:5]
	v_cmp_gt_i64_e64 s1, s[6:7], v[6:7]
	v_mul_u64_e32 v[6:7], s[28:29], v[20:21]
	v_mul_u64_e32 v[8:9], s[18:19], v[20:21]
	v_add_nc_u64_e32 v[4:5], s[2:3], v[12:13]
	s_cmp_eq_f32 s39, 0
	v_lshl_add_u32 v29, v10, 5, 0x400
	s_mov_b32 s11, s35
	v_cmp_gt_i64_e64 s2, s[6:7], v[20:21]
	s_cselect_b32 s40, -1, 0
	s_lshl_b32 s10, s41, 6
	v_add_nc_u64_e32 v[10:11], 16, v[4:5]
	s_lshl_b64 s[26:27], s[26:27], 1
	v_cmp_gt_i64_e64 s3, s[4:5], v[4:5]
	s_add_nc_u64 s[10:11], s[26:27], s[10:11]
	v_cmp_gt_i64_e64 s26, s[36:37], 0
	s_lshl_b64 s[20:21], s[20:21], 1
	v_cmp_gt_i64_e64 s4, s[4:5], v[10:11]
	v_add_nc_u64_e32 v[10:11], 16, v[20:21]
	v_lshl_add_u64 v[12:13], v[14:15], 1, s[10:11]
	s_lshl_b64 s[10:11], s[12:13], 1
	v_dual_mov_b32 v15, v1 :: v_dual_lshlrev_b32 v14, 1, v16
	v_lshl_add_u64 v[16:17], v[18:19], 1, s[10:11]
	v_dual_mov_b32 v19, v1 :: v_dual_lshlrev_b32 v18, 1, v0
	v_cmp_gt_i64_e64 s5, s[6:7], v[10:11]
	s_delay_alu instid0(VALU_DEP_4)
	v_add_nc_u64_e32 v[10:11], v[12:13], v[14:15]
	s_lshl_b64 s[6:7], s[28:29], 4
	s_lshl_b64 s[10:11], s[18:19], 4
	v_add_nc_u64_e32 v[12:13], v[16:17], v[18:19]
	s_lshl_b64 s[12:13], s[24:25], 4
	s_lshl_b64 s[18:19], s[30:31], 1
	s_branch .LBB164_5
.LBB164_2:                              ;   in Loop: Header=BB164_5 Depth=1
	s_or_b32 exec_lo, exec_lo, s25
	flat_store_d16_hi_b16 v[16:17], v15 offset:32
.LBB164_3:                              ;   in Loop: Header=BB164_5 Depth=1
	s_wait_xcnt 0x0
	s_or_b32 exec_lo, exec_lo, s24
.LBB164_4:                              ;   in Loop: Header=BB164_5 Depth=1
	s_add_co_i32 s34, s34, 0x10000
	s_delay_alu instid0(SALU_CYCLE_1)
	s_cmp_lt_i32 s34, s33
	s_cbranch_scc0 .LBB164_74
.LBB164_5:                              ; =>This Loop Header: Depth=1
                                        ;     Child Loop BB164_8 Depth 2
	v_dual_mov_b32 v14, s34 :: v_dual_mov_b32 v17, 0
	v_dual_mov_b32 v16, 0 :: v_dual_mov_b32 v15, 0
	s_and_not1_b32 vcc_lo, exec_lo, s26
	s_clause 0x1
	global_load_b64 v[18:19], v14, s[16:17] scale_offset
	global_load_b64 v[20:21], v14, s[22:23] scale_offset
	s_wait_xcnt 0x0
	v_mov_b32_e32 v14, 0
	s_cbranch_vccnz .LBB164_12
; %bb.6:                                ;   in Loop: Header=BB164_5 Depth=1
	s_lshl_b64 s[24:25], s[34:35], 3
	v_mov_b32_e32 v16, 0
	s_add_nc_u64 s[28:29], s[14:15], s[24:25]
	s_add_nc_u64 s[24:25], s[8:9], s[24:25]
	s_clause 0x1
	global_load_b64 v[14:15], v1, s[28:29]
	global_load_b64 v[24:25], v1, s[24:25]
	s_wait_xcnt 0x0
	s_mov_b64 s[24:25], 0
	v_mov_b32_e32 v17, v16
	s_wait_loadcnt 0x1
	v_add_nc_u64_e32 v[22:23], v[14:15], v[10:11]
	s_wait_loadcnt 0x0
	v_add_nc_u64_e32 v[24:25], v[24:25], v[12:13]
	v_dual_mov_b32 v14, v16 :: v_dual_mov_b32 v15, v16
	s_branch .LBB164_8
.LBB164_7:                              ;   in Loop: Header=BB164_8 Depth=2
	s_wait_xcnt 0x0
	s_or_b32 exec_lo, exec_lo, s27
	ds_store_b32 v27, v31
	s_wait_dscnt 0x0
	s_barrier_signal -1
	s_barrier_wait -1
	ds_load_b128 v[30:33], v29
	ds_load_2addr_b32 v[46:47], v28 offset1:16
	ds_load_b128 v[34:37], v29 offset:512
	ds_load_2addr_b32 v[48:49], v28 offset0:32 offset1:48
	ds_load_2addr_b32 v[50:51], v28 offset0:64 offset1:80
	;; [unrolled: 1-line block ×3, first 2 shown]
	ds_load_b128 v[38:41], v29 offset:16
	ds_load_2addr_b32 v[54:55], v28 offset0:128 offset1:144
	ds_load_b128 v[42:45], v29 offset:528
	s_add_nc_u64 s[24:25], s[24:25], 8
	v_add_nc_u64_e32 v[22:23], s[12:13], v[22:23]
	v_cmp_lt_i64_e64 s27, s[24:25], s[36:37]
	v_add_nc_u64_e32 v[24:25], 16, v[24:25]
	s_and_b32 vcc_lo, exec_lo, s27
	s_wait_dscnt 0x7
	v_pk_fma_f32 v[16:17], v[46:47], v[30:31], v[16:17] op_sel_hi:[1,0,1]
	s_wait_dscnt 0x6
	v_pk_fma_f32 v[14:15], v[46:47], v[34:35], v[14:15] op_sel_hi:[1,0,1]
	ds_load_2addr_b32 v[46:47], v28 offset0:160 offset1:176
	s_wait_dscnt 0x6
	v_pk_fma_f32 v[16:17], v[48:49], v[30:31], v[16:17] op_sel:[0,1,0]
	v_pk_fma_f32 v[14:15], v[48:49], v[34:35], v[14:15] op_sel:[0,1,0]
	ds_load_2addr_b32 v[30:31], v28 offset0:192 offset1:208
	v_dual_mov_b32 v34, v33 :: v_dual_mov_b32 v48, v37
	s_wait_dscnt 0x6
	v_pk_fma_f32 v[16:17], v[50:51], v[32:33], v[16:17] op_sel_hi:[1,0,1]
	v_pk_fma_f32 v[14:15], v[50:51], v[36:37], v[14:15] op_sel_hi:[1,0,1]
	ds_load_2addr_b32 v[32:33], v28 offset0:224 offset1:240
	s_wait_dscnt 0x3
	v_mov_b32_e32 v36, v45
	s_wait_dscnt 0x0
	v_pk_fma_f32 v[16:17], v[52:53], v[34:35], v[16:17] op_sel_hi:[1,0,1]
	v_pk_fma_f32 v[14:15], v[52:53], v[48:49], v[14:15] op_sel_hi:[1,0,1]
	v_mov_b32_e32 v34, v41
	s_barrier_signal -1
	s_barrier_wait -1
	v_pk_fma_f32 v[16:17], v[54:55], v[38:39], v[16:17] op_sel_hi:[1,0,1]
	v_pk_fma_f32 v[14:15], v[54:55], v[42:43], v[14:15] op_sel_hi:[1,0,1]
	s_delay_alu instid0(VALU_DEP_2) | instskip(NEXT) | instid1(VALU_DEP_2)
	v_pk_fma_f32 v[16:17], v[46:47], v[38:39], v[16:17] op_sel:[0,1,0]
	v_pk_fma_f32 v[14:15], v[46:47], v[42:43], v[14:15] op_sel:[0,1,0]
	s_delay_alu instid0(VALU_DEP_2) | instskip(NEXT) | instid1(VALU_DEP_2)
	v_pk_fma_f32 v[16:17], v[30:31], v[40:41], v[16:17] op_sel_hi:[1,0,1]
	v_pk_fma_f32 v[14:15], v[30:31], v[44:45], v[14:15] op_sel_hi:[1,0,1]
	s_delay_alu instid0(VALU_DEP_2) | instskip(NEXT) | instid1(VALU_DEP_2)
	v_pk_fma_f32 v[16:17], v[32:33], v[34:35], v[16:17] op_sel_hi:[1,0,1]
	v_pk_fma_f32 v[14:15], v[32:33], v[36:37], v[14:15] op_sel_hi:[1,0,1]
	s_cbranch_vccz .LBB164_12
.LBB164_8:                              ;   Parent Loop BB164_5 Depth=1
                                        ; =>  This Inner Loop Header: Depth=2
	v_add_nc_u64_e32 v[30:31], s[24:25], v[0:1]
	s_delay_alu instid0(VALU_DEP_1) | instskip(SKIP_2) | instid1(SALU_CYCLE_1)
	v_cmp_gt_i64_e32 vcc_lo, s[36:37], v[30:31]
	v_mov_b32_e32 v30, 0
	s_and_b32 s28, s0, vcc_lo
	s_and_saveexec_b32 s27, s28
	s_cbranch_execz .LBB164_10
; %bb.9:                                ;   in Loop: Header=BB164_8 Depth=2
	flat_load_u16 v30, v[24:25]
	s_wait_loadcnt_dscnt 0x0
	v_lshlrev_b32_e32 v30, 16, v30
.LBB164_10:                             ;   in Loop: Header=BB164_8 Depth=2
	s_wait_xcnt 0x0
	s_or_b32 exec_lo, exec_lo, s27
	v_add_nc_u64_e32 v[32:33], s[24:25], v[2:3]
	v_mov_b32_e32 v31, 0
	ds_store_b32 v26, v30
	v_cmp_gt_i64_e32 vcc_lo, s[36:37], v[32:33]
	s_and_b32 s28, vcc_lo, s1
	s_delay_alu instid0(SALU_CYCLE_1)
	s_and_saveexec_b32 s27, s28
	s_cbranch_execz .LBB164_7
; %bb.11:                               ;   in Loop: Header=BB164_8 Depth=2
	flat_load_u16 v30, v[22:23]
	s_wait_loadcnt_dscnt 0x0
	v_lshlrev_b32_e32 v31, 16, v30
	s_branch .LBB164_7
.LBB164_12:                             ;   in Loop: Header=BB164_5 Depth=1
	s_wait_loadcnt 0x0
	v_add_nc_u64_e32 v[20:21], s[18:19], v[20:21]
	s_and_not1_b32 vcc_lo, exec_lo, s40
	s_cbranch_vccnz .LBB164_17
; %bb.13:                               ;   in Loop: Header=BB164_5 Depth=1
	s_and_saveexec_b32 s24, s2
	s_cbranch_execz .LBB164_32
; %bb.14:                               ;   in Loop: Header=BB164_5 Depth=1
	s_delay_alu instid0(VALU_DEP_1)
	v_lshl_add_u64 v[22:23], v[6:7], 1, v[20:21]
	s_and_saveexec_b32 s25, s3
	s_cbranch_execnz .LBB164_18
; %bb.15:                               ;   in Loop: Header=BB164_5 Depth=1
	s_or_b32 exec_lo, exec_lo, s25
	s_and_saveexec_b32 s25, s4
	s_cbranch_execnz .LBB164_23
.LBB164_16:                             ;   in Loop: Header=BB164_5 Depth=1
	s_or_b32 exec_lo, exec_lo, s25
	s_delay_alu instid0(SALU_CYCLE_1)
	s_and_b32 exec_lo, exec_lo, s5
	s_cbranch_execnz .LBB164_28
	s_branch .LBB164_32
.LBB164_17:                             ;   in Loop: Header=BB164_5 Depth=1
	s_branch .LBB164_33
.LBB164_18:                             ;   in Loop: Header=BB164_5 Depth=1
	v_mul_f32_e32 v24, s38, v16
	s_delay_alu instid0(VALU_DEP_1) | instskip(NEXT) | instid1(VALU_DEP_1)
	v_and_b32_e32 v25, 0x7f800000, v24
	v_cmp_ne_u32_e32 vcc_lo, 0x7f800000, v25
                                        ; implicit-def: $vgpr25
	s_and_saveexec_b32 s27, vcc_lo
	s_delay_alu instid0(SALU_CYCLE_1)
	s_xor_b32 s27, exec_lo, s27
; %bb.19:                               ;   in Loop: Header=BB164_5 Depth=1
	v_bfe_u32 v25, v24, 16, 1
	s_delay_alu instid0(VALU_DEP_1)
	v_add3_u32 v25, v24, v25, 0x7fff
                                        ; implicit-def: $vgpr24
; %bb.20:                               ;   in Loop: Header=BB164_5 Depth=1
	s_and_not1_saveexec_b32 s27, s27
; %bb.21:                               ;   in Loop: Header=BB164_5 Depth=1
	v_and_b32_e32 v25, 0xffff, v24
	v_or_b32_e32 v30, 0x10000, v24
	s_delay_alu instid0(VALU_DEP_2) | instskip(NEXT) | instid1(VALU_DEP_2)
	v_cmp_eq_u32_e32 vcc_lo, 0, v25
	v_cndmask_b32_e32 v25, v30, v24, vcc_lo
; %bb.22:                               ;   in Loop: Header=BB164_5 Depth=1
	s_or_b32 exec_lo, exec_lo, s27
	v_lshl_add_u64 v[30:31], v[4:5], 1, v[22:23]
	flat_store_d16_hi_b16 v[30:31], v25
	s_wait_xcnt 0x0
	s_or_b32 exec_lo, exec_lo, s25
	s_and_saveexec_b32 s25, s4
	s_cbranch_execz .LBB164_16
.LBB164_23:                             ;   in Loop: Header=BB164_5 Depth=1
	v_mul_f32_e32 v24, s38, v17
	s_delay_alu instid0(VALU_DEP_1) | instskip(NEXT) | instid1(VALU_DEP_1)
	v_and_b32_e32 v25, 0x7f800000, v24
	v_cmp_ne_u32_e32 vcc_lo, 0x7f800000, v25
                                        ; implicit-def: $vgpr25
	s_and_saveexec_b32 s27, vcc_lo
	s_delay_alu instid0(SALU_CYCLE_1)
	s_xor_b32 s27, exec_lo, s27
; %bb.24:                               ;   in Loop: Header=BB164_5 Depth=1
	v_bfe_u32 v25, v24, 16, 1
	s_delay_alu instid0(VALU_DEP_1)
	v_add3_u32 v25, v24, v25, 0x7fff
                                        ; implicit-def: $vgpr24
; %bb.25:                               ;   in Loop: Header=BB164_5 Depth=1
	s_and_not1_saveexec_b32 s27, s27
; %bb.26:                               ;   in Loop: Header=BB164_5 Depth=1
	v_and_b32_e32 v25, 0xffff, v24
	v_or_b32_e32 v30, 0x10000, v24
	s_delay_alu instid0(VALU_DEP_2) | instskip(NEXT) | instid1(VALU_DEP_2)
	v_cmp_eq_u32_e32 vcc_lo, 0, v25
	v_cndmask_b32_e32 v25, v30, v24, vcc_lo
; %bb.27:                               ;   in Loop: Header=BB164_5 Depth=1
	s_or_b32 exec_lo, exec_lo, s27
	v_lshl_add_u64 v[30:31], v[4:5], 1, v[22:23]
	flat_store_d16_hi_b16 v[30:31], v25 offset:32
	s_wait_xcnt 0x0
	s_or_b32 exec_lo, exec_lo, s25
	s_delay_alu instid0(SALU_CYCLE_1)
	s_and_b32 exec_lo, exec_lo, s5
	s_cbranch_execz .LBB164_32
.LBB164_28:                             ;   in Loop: Header=BB164_5 Depth=1
	v_lshl_add_u64 v[22:23], s[6:7], 1, v[22:23]
	s_delay_alu instid0(VALU_DEP_1)
	v_lshl_add_u64 v[22:23], v[4:5], 1, v[22:23]
	s_and_saveexec_b32 s25, s3
	s_cbranch_execz .LBB164_30
; %bb.29:                               ;   in Loop: Header=BB164_5 Depth=1
	v_mul_f32_e32 v24, s38, v14
	s_delay_alu instid0(VALU_DEP_1) | instskip(SKIP_3) | instid1(VALU_DEP_4)
	v_and_b32_e32 v30, 0xffff, v24
	v_bfe_u32 v25, v24, 16, 1
	v_or_b32_e32 v31, 0x10000, v24
	v_and_b32_e32 v32, 0x7f800000, v24
	v_cmp_eq_u32_e32 vcc_lo, 0, v30
	s_delay_alu instid0(VALU_DEP_4) | instskip(NEXT) | instid1(VALU_DEP_4)
	v_add3_u32 v25, v24, v25, 0x7fff
	v_cndmask_b32_e32 v24, v31, v24, vcc_lo
	s_delay_alu instid0(VALU_DEP_4) | instskip(NEXT) | instid1(VALU_DEP_2)
	v_cmp_eq_u32_e32 vcc_lo, 0x7f800000, v32
	v_cndmask_b32_e32 v24, v25, v24, vcc_lo
	flat_store_d16_hi_b16 v[22:23], v24
.LBB164_30:                             ;   in Loop: Header=BB164_5 Depth=1
	s_wait_xcnt 0x0
	s_or_b32 exec_lo, exec_lo, s25
	s_delay_alu instid0(SALU_CYCLE_1)
	s_and_b32 exec_lo, exec_lo, s4
	s_cbranch_execz .LBB164_32
; %bb.31:                               ;   in Loop: Header=BB164_5 Depth=1
	v_mul_f32_e32 v24, s38, v15
	s_delay_alu instid0(VALU_DEP_1) | instskip(SKIP_3) | instid1(VALU_DEP_4)
	v_and_b32_e32 v30, 0xffff, v24
	v_bfe_u32 v25, v24, 16, 1
	v_or_b32_e32 v31, 0x10000, v24
	v_and_b32_e32 v32, 0x7f800000, v24
	v_cmp_eq_u32_e32 vcc_lo, 0, v30
	s_delay_alu instid0(VALU_DEP_4) | instskip(NEXT) | instid1(VALU_DEP_4)
	v_add3_u32 v25, v24, v25, 0x7fff
	v_cndmask_b32_e32 v24, v31, v24, vcc_lo
	s_delay_alu instid0(VALU_DEP_4) | instskip(NEXT) | instid1(VALU_DEP_2)
	v_cmp_eq_u32_e32 vcc_lo, 0x7f800000, v32
	v_cndmask_b32_e32 v24, v25, v24, vcc_lo
	flat_store_d16_hi_b16 v[22:23], v24 offset:32
.LBB164_32:                             ;   in Loop: Header=BB164_5 Depth=1
	s_wait_xcnt 0x0
	s_or_b32 exec_lo, exec_lo, s24
	s_cbranch_execnz .LBB164_4
.LBB164_33:                             ;   in Loop: Header=BB164_5 Depth=1
	s_and_saveexec_b32 s24, s2
	s_cbranch_execz .LBB164_3
; %bb.34:                               ;   in Loop: Header=BB164_5 Depth=1
	v_add_nc_u64_e32 v[18:19], s[20:21], v[18:19]
	v_lshl_add_u64 v[20:21], v[6:7], 1, v[20:21]
	s_delay_alu instid0(VALU_DEP_2) | instskip(NEXT) | instid1(VALU_DEP_1)
	v_lshl_add_u64 v[18:19], v[8:9], 1, v[18:19]
	v_lshl_add_u64 v[22:23], v[4:5], 1, v[18:19]
	s_and_saveexec_b32 s25, s3
	s_cbranch_execnz .LBB164_37
; %bb.35:                               ;   in Loop: Header=BB164_5 Depth=1
	s_or_b32 exec_lo, exec_lo, s25
	s_and_saveexec_b32 s25, s4
	s_cbranch_execnz .LBB164_46
.LBB164_36:                             ;   in Loop: Header=BB164_5 Depth=1
	s_or_b32 exec_lo, exec_lo, s25
	s_delay_alu instid0(SALU_CYCLE_1)
	s_and_b32 exec_lo, exec_lo, s5
	s_cbranch_execz .LBB164_3
	s_branch .LBB164_55
.LBB164_37:                             ;   in Loop: Header=BB164_5 Depth=1
	flat_load_u16 v24, v[22:23]
	s_wait_loadcnt_dscnt 0x0
	v_lshlrev_b32_e32 v24, 16, v24
	s_delay_alu instid0(VALU_DEP_1) | instskip(NEXT) | instid1(VALU_DEP_1)
	v_mul_f32_e32 v24, s39, v24
	v_and_b32_e32 v25, 0x7f800000, v24
	s_delay_alu instid0(VALU_DEP_1) | instskip(SKIP_2) | instid1(SALU_CYCLE_1)
	v_cmp_ne_u32_e32 vcc_lo, 0x7f800000, v25
                                        ; implicit-def: $vgpr25
	s_wait_xcnt 0x0
	s_and_saveexec_b32 s27, vcc_lo
	s_xor_b32 s27, exec_lo, s27
; %bb.38:                               ;   in Loop: Header=BB164_5 Depth=1
	v_bfe_u32 v25, v24, 16, 1
	s_delay_alu instid0(VALU_DEP_1)
	v_add3_u32 v25, v24, v25, 0x7fff
                                        ; implicit-def: $vgpr24
; %bb.39:                               ;   in Loop: Header=BB164_5 Depth=1
	s_and_not1_saveexec_b32 s27, s27
; %bb.40:                               ;   in Loop: Header=BB164_5 Depth=1
	v_and_b32_e32 v25, 0xffff, v24
	v_or_b32_e32 v30, 0x10000, v24
	s_delay_alu instid0(VALU_DEP_2) | instskip(NEXT) | instid1(VALU_DEP_2)
	v_cmp_eq_u32_e32 vcc_lo, 0, v25
	v_cndmask_b32_e32 v25, v30, v24, vcc_lo
; %bb.41:                               ;   in Loop: Header=BB164_5 Depth=1
	s_or_b32 exec_lo, exec_lo, s27
	s_delay_alu instid0(VALU_DEP_1) | instskip(NEXT) | instid1(VALU_DEP_1)
	v_fma_mix_f32_bf16 v16, s38, v16, v25 op_sel:[0,0,1] op_sel_hi:[0,0,1]
	v_and_b32_e32 v24, 0x7f800000, v16
	s_delay_alu instid0(VALU_DEP_1) | instskip(SKIP_1) | instid1(SALU_CYCLE_1)
	v_cmp_ne_u32_e32 vcc_lo, 0x7f800000, v24
                                        ; implicit-def: $vgpr24
	s_and_saveexec_b32 s27, vcc_lo
	s_xor_b32 s27, exec_lo, s27
; %bb.42:                               ;   in Loop: Header=BB164_5 Depth=1
	v_bfe_u32 v24, v16, 16, 1
	s_delay_alu instid0(VALU_DEP_1)
	v_add3_u32 v24, v16, v24, 0x7fff
                                        ; implicit-def: $vgpr16
; %bb.43:                               ;   in Loop: Header=BB164_5 Depth=1
	s_and_not1_saveexec_b32 s27, s27
; %bb.44:                               ;   in Loop: Header=BB164_5 Depth=1
	v_and_b32_e32 v24, 0xffff, v16
	v_or_b32_e32 v25, 0x10000, v16
	s_delay_alu instid0(VALU_DEP_2) | instskip(NEXT) | instid1(VALU_DEP_2)
	v_cmp_eq_u32_e32 vcc_lo, 0, v24
	v_cndmask_b32_e32 v24, v25, v16, vcc_lo
; %bb.45:                               ;   in Loop: Header=BB164_5 Depth=1
	s_or_b32 exec_lo, exec_lo, s27
	v_lshl_add_u64 v[30:31], v[4:5], 1, v[20:21]
	flat_store_d16_hi_b16 v[30:31], v24
	s_wait_xcnt 0x0
	s_or_b32 exec_lo, exec_lo, s25
	s_and_saveexec_b32 s25, s4
	s_cbranch_execz .LBB164_36
.LBB164_46:                             ;   in Loop: Header=BB164_5 Depth=1
	flat_load_u16 v16, v[22:23] offset:32
	s_wait_loadcnt_dscnt 0x0
	v_lshlrev_b32_e32 v16, 16, v16
	s_delay_alu instid0(VALU_DEP_1) | instskip(SKIP_1) | instid1(VALU_DEP_1)
	v_mul_f32_e32 v16, s39, v16
	s_wait_xcnt 0x0
	v_and_b32_e32 v22, 0x7f800000, v16
	s_delay_alu instid0(VALU_DEP_1) | instskip(SKIP_1) | instid1(SALU_CYCLE_1)
	v_cmp_ne_u32_e32 vcc_lo, 0x7f800000, v22
                                        ; implicit-def: $vgpr22
	s_and_saveexec_b32 s27, vcc_lo
	s_xor_b32 s27, exec_lo, s27
; %bb.47:                               ;   in Loop: Header=BB164_5 Depth=1
	v_bfe_u32 v22, v16, 16, 1
	s_delay_alu instid0(VALU_DEP_1)
	v_add3_u32 v22, v16, v22, 0x7fff
                                        ; implicit-def: $vgpr16
; %bb.48:                               ;   in Loop: Header=BB164_5 Depth=1
	s_and_not1_saveexec_b32 s27, s27
; %bb.49:                               ;   in Loop: Header=BB164_5 Depth=1
	v_and_b32_e32 v22, 0xffff, v16
	v_or_b32_e32 v23, 0x10000, v16
	s_delay_alu instid0(VALU_DEP_2) | instskip(NEXT) | instid1(VALU_DEP_2)
	v_cmp_eq_u32_e32 vcc_lo, 0, v22
	v_cndmask_b32_e32 v22, v23, v16, vcc_lo
; %bb.50:                               ;   in Loop: Header=BB164_5 Depth=1
	s_or_b32 exec_lo, exec_lo, s27
	s_delay_alu instid0(VALU_DEP_1) | instskip(NEXT) | instid1(VALU_DEP_1)
	v_fma_mix_f32_bf16 v16, s38, v17, v22 op_sel:[0,0,1] op_sel_hi:[0,0,1]
	v_and_b32_e32 v17, 0x7f800000, v16
	s_delay_alu instid0(VALU_DEP_1) | instskip(SKIP_1) | instid1(SALU_CYCLE_1)
	v_cmp_ne_u32_e32 vcc_lo, 0x7f800000, v17
                                        ; implicit-def: $vgpr17
	s_and_saveexec_b32 s27, vcc_lo
	s_xor_b32 s27, exec_lo, s27
; %bb.51:                               ;   in Loop: Header=BB164_5 Depth=1
	v_bfe_u32 v17, v16, 16, 1
	s_delay_alu instid0(VALU_DEP_1)
	v_add3_u32 v17, v16, v17, 0x7fff
                                        ; implicit-def: $vgpr16
; %bb.52:                               ;   in Loop: Header=BB164_5 Depth=1
	s_and_not1_saveexec_b32 s27, s27
; %bb.53:                               ;   in Loop: Header=BB164_5 Depth=1
	v_and_b32_e32 v17, 0xffff, v16
	v_or_b32_e32 v22, 0x10000, v16
	s_delay_alu instid0(VALU_DEP_2) | instskip(NEXT) | instid1(VALU_DEP_2)
	v_cmp_eq_u32_e32 vcc_lo, 0, v17
	v_cndmask_b32_e32 v17, v22, v16, vcc_lo
; %bb.54:                               ;   in Loop: Header=BB164_5 Depth=1
	s_or_b32 exec_lo, exec_lo, s27
	v_lshl_add_u64 v[22:23], v[4:5], 1, v[20:21]
	flat_store_d16_hi_b16 v[22:23], v17 offset:32
	s_wait_xcnt 0x0
	s_or_b32 exec_lo, exec_lo, s25
	s_delay_alu instid0(SALU_CYCLE_1)
	s_and_b32 exec_lo, exec_lo, s5
	s_cbranch_execz .LBB164_3
.LBB164_55:                             ;   in Loop: Header=BB164_5 Depth=1
	v_lshlrev_b64_e32 v[16:17], 1, v[4:5]
	v_lshl_add_u64 v[18:19], s[10:11], 1, v[18:19]
	v_lshl_add_u64 v[20:21], s[6:7], 1, v[20:21]
	s_delay_alu instid0(VALU_DEP_2) | instskip(NEXT) | instid1(VALU_DEP_2)
	v_add_nc_u64_e32 v[18:19], v[18:19], v[16:17]
	v_add_nc_u64_e32 v[16:17], v[20:21], v[16:17]
	s_and_saveexec_b32 s25, s3
	s_cbranch_execz .LBB164_65
; %bb.56:                               ;   in Loop: Header=BB164_5 Depth=1
	flat_load_u16 v20, v[18:19]
	s_wait_loadcnt_dscnt 0x0
	v_lshlrev_b32_e32 v20, 16, v20
	s_delay_alu instid0(VALU_DEP_1) | instskip(NEXT) | instid1(VALU_DEP_1)
	v_mul_f32_e32 v20, s39, v20
	v_and_b32_e32 v21, 0x7f800000, v20
	s_delay_alu instid0(VALU_DEP_1) | instskip(SKIP_2) | instid1(SALU_CYCLE_1)
	v_cmp_ne_u32_e32 vcc_lo, 0x7f800000, v21
                                        ; implicit-def: $vgpr21
	s_wait_xcnt 0x0
	s_and_saveexec_b32 s27, vcc_lo
	s_xor_b32 s27, exec_lo, s27
; %bb.57:                               ;   in Loop: Header=BB164_5 Depth=1
	v_bfe_u32 v21, v20, 16, 1
	s_delay_alu instid0(VALU_DEP_1)
	v_add3_u32 v21, v20, v21, 0x7fff
                                        ; implicit-def: $vgpr20
; %bb.58:                               ;   in Loop: Header=BB164_5 Depth=1
	s_and_not1_saveexec_b32 s27, s27
; %bb.59:                               ;   in Loop: Header=BB164_5 Depth=1
	v_and_b32_e32 v21, 0xffff, v20
	v_or_b32_e32 v22, 0x10000, v20
	s_delay_alu instid0(VALU_DEP_2) | instskip(NEXT) | instid1(VALU_DEP_2)
	v_cmp_eq_u32_e32 vcc_lo, 0, v21
	v_cndmask_b32_e32 v21, v22, v20, vcc_lo
; %bb.60:                               ;   in Loop: Header=BB164_5 Depth=1
	s_or_b32 exec_lo, exec_lo, s27
	s_delay_alu instid0(VALU_DEP_1) | instskip(NEXT) | instid1(VALU_DEP_1)
	v_fma_mix_f32_bf16 v14, s38, v14, v21 op_sel:[0,0,1] op_sel_hi:[0,0,1]
	v_and_b32_e32 v20, 0x7f800000, v14
	s_delay_alu instid0(VALU_DEP_1) | instskip(SKIP_1) | instid1(SALU_CYCLE_1)
	v_cmp_ne_u32_e32 vcc_lo, 0x7f800000, v20
                                        ; implicit-def: $vgpr20
	s_and_saveexec_b32 s27, vcc_lo
	s_xor_b32 s27, exec_lo, s27
; %bb.61:                               ;   in Loop: Header=BB164_5 Depth=1
	v_bfe_u32 v20, v14, 16, 1
	s_delay_alu instid0(VALU_DEP_1)
	v_add3_u32 v20, v14, v20, 0x7fff
                                        ; implicit-def: $vgpr14
; %bb.62:                               ;   in Loop: Header=BB164_5 Depth=1
	s_and_not1_saveexec_b32 s27, s27
; %bb.63:                               ;   in Loop: Header=BB164_5 Depth=1
	v_and_b32_e32 v20, 0xffff, v14
	v_or_b32_e32 v21, 0x10000, v14
	s_delay_alu instid0(VALU_DEP_2) | instskip(NEXT) | instid1(VALU_DEP_2)
	v_cmp_eq_u32_e32 vcc_lo, 0, v20
	v_cndmask_b32_e32 v20, v21, v14, vcc_lo
; %bb.64:                               ;   in Loop: Header=BB164_5 Depth=1
	s_or_b32 exec_lo, exec_lo, s27
	flat_store_d16_hi_b16 v[16:17], v20
.LBB164_65:                             ;   in Loop: Header=BB164_5 Depth=1
	s_wait_xcnt 0x0
	s_or_b32 exec_lo, exec_lo, s25
	s_delay_alu instid0(SALU_CYCLE_1)
	s_and_b32 exec_lo, exec_lo, s4
	s_cbranch_execz .LBB164_3
; %bb.66:                               ;   in Loop: Header=BB164_5 Depth=1
	flat_load_u16 v14, v[18:19] offset:32
	s_wait_loadcnt_dscnt 0x0
	v_lshlrev_b32_e32 v14, 16, v14
	s_delay_alu instid0(VALU_DEP_1) | instskip(SKIP_1) | instid1(VALU_DEP_1)
	v_mul_f32_e32 v14, s39, v14
	s_wait_xcnt 0x0
	v_and_b32_e32 v18, 0x7f800000, v14
	s_delay_alu instid0(VALU_DEP_1) | instskip(SKIP_1) | instid1(SALU_CYCLE_1)
	v_cmp_ne_u32_e32 vcc_lo, 0x7f800000, v18
                                        ; implicit-def: $vgpr18
	s_and_saveexec_b32 s25, vcc_lo
	s_xor_b32 s25, exec_lo, s25
; %bb.67:                               ;   in Loop: Header=BB164_5 Depth=1
	v_bfe_u32 v18, v14, 16, 1
	s_delay_alu instid0(VALU_DEP_1)
	v_add3_u32 v18, v14, v18, 0x7fff
                                        ; implicit-def: $vgpr14
; %bb.68:                               ;   in Loop: Header=BB164_5 Depth=1
	s_and_not1_saveexec_b32 s25, s25
; %bb.69:                               ;   in Loop: Header=BB164_5 Depth=1
	v_and_b32_e32 v18, 0xffff, v14
	v_or_b32_e32 v19, 0x10000, v14
	s_delay_alu instid0(VALU_DEP_2) | instskip(NEXT) | instid1(VALU_DEP_2)
	v_cmp_eq_u32_e32 vcc_lo, 0, v18
	v_cndmask_b32_e32 v18, v19, v14, vcc_lo
; %bb.70:                               ;   in Loop: Header=BB164_5 Depth=1
	s_or_b32 exec_lo, exec_lo, s25
	s_delay_alu instid0(VALU_DEP_1) | instskip(NEXT) | instid1(VALU_DEP_1)
	v_fma_mix_f32_bf16 v14, s38, v15, v18 op_sel:[0,0,1] op_sel_hi:[0,0,1]
	v_and_b32_e32 v15, 0x7f800000, v14
	s_delay_alu instid0(VALU_DEP_1) | instskip(SKIP_1) | instid1(SALU_CYCLE_1)
	v_cmp_ne_u32_e32 vcc_lo, 0x7f800000, v15
                                        ; implicit-def: $vgpr15
	s_and_saveexec_b32 s25, vcc_lo
	s_xor_b32 s25, exec_lo, s25
; %bb.71:                               ;   in Loop: Header=BB164_5 Depth=1
	v_bfe_u32 v15, v14, 16, 1
	s_delay_alu instid0(VALU_DEP_1)
	v_add3_u32 v15, v14, v15, 0x7fff
                                        ; implicit-def: $vgpr14
; %bb.72:                               ;   in Loop: Header=BB164_5 Depth=1
	s_and_not1_saveexec_b32 s25, s25
	s_cbranch_execz .LBB164_2
; %bb.73:                               ;   in Loop: Header=BB164_5 Depth=1
	v_and_b32_e32 v15, 0xffff, v14
	v_or_b32_e32 v18, 0x10000, v14
	s_delay_alu instid0(VALU_DEP_2) | instskip(NEXT) | instid1(VALU_DEP_2)
	v_cmp_eq_u32_e32 vcc_lo, 0, v15
	v_cndmask_b32_e32 v15, v18, v14, vcc_lo
	s_branch .LBB164_2
.LBB164_74:
	s_endpgm
	.section	.rodata,"a",@progbits
	.p2align	6, 0x0
	.amdhsa_kernel _ZN12_GLOBAL__N_135rocblas_gemm_batched_general_kernelIfLi16ELi16ELi32ELi32ELi8ELi32ELi8ELi8ELi32ELc67ELc84EKPK16rocblas_bfloat16S4_KPS1_EEvlllT_PT11_llS9_llS7_PT12_llPT13_lli
		.amdhsa_group_segment_fixed_size 2048
		.amdhsa_private_segment_fixed_size 0
		.amdhsa_kernarg_size 140
		.amdhsa_user_sgpr_count 2
		.amdhsa_user_sgpr_dispatch_ptr 0
		.amdhsa_user_sgpr_queue_ptr 0
		.amdhsa_user_sgpr_kernarg_segment_ptr 1
		.amdhsa_user_sgpr_dispatch_id 0
		.amdhsa_user_sgpr_kernarg_preload_length 0
		.amdhsa_user_sgpr_kernarg_preload_offset 0
		.amdhsa_user_sgpr_private_segment_size 0
		.amdhsa_wavefront_size32 1
		.amdhsa_uses_dynamic_stack 0
		.amdhsa_enable_private_segment 0
		.amdhsa_system_sgpr_workgroup_id_x 1
		.amdhsa_system_sgpr_workgroup_id_y 1
		.amdhsa_system_sgpr_workgroup_id_z 1
		.amdhsa_system_sgpr_workgroup_info 0
		.amdhsa_system_vgpr_workitem_id 1
		.amdhsa_next_free_vgpr 56
		.amdhsa_next_free_sgpr 42
		.amdhsa_named_barrier_count 0
		.amdhsa_reserve_vcc 1
		.amdhsa_float_round_mode_32 0
		.amdhsa_float_round_mode_16_64 0
		.amdhsa_float_denorm_mode_32 3
		.amdhsa_float_denorm_mode_16_64 3
		.amdhsa_fp16_overflow 0
		.amdhsa_memory_ordered 1
		.amdhsa_forward_progress 1
		.amdhsa_inst_pref_size 23
		.amdhsa_round_robin_scheduling 0
		.amdhsa_exception_fp_ieee_invalid_op 0
		.amdhsa_exception_fp_denorm_src 0
		.amdhsa_exception_fp_ieee_div_zero 0
		.amdhsa_exception_fp_ieee_overflow 0
		.amdhsa_exception_fp_ieee_underflow 0
		.amdhsa_exception_fp_ieee_inexact 0
		.amdhsa_exception_int_div_zero 0
	.end_amdhsa_kernel
	.section	.text._ZN12_GLOBAL__N_135rocblas_gemm_batched_general_kernelIfLi16ELi16ELi32ELi32ELi8ELi32ELi8ELi8ELi32ELc67ELc84EKPK16rocblas_bfloat16S4_KPS1_EEvlllT_PT11_llS9_llS7_PT12_llPT13_lli,"axG",@progbits,_ZN12_GLOBAL__N_135rocblas_gemm_batched_general_kernelIfLi16ELi16ELi32ELi32ELi8ELi32ELi8ELi8ELi32ELc67ELc84EKPK16rocblas_bfloat16S4_KPS1_EEvlllT_PT11_llS9_llS7_PT12_llPT13_lli,comdat
.Lfunc_end164:
	.size	_ZN12_GLOBAL__N_135rocblas_gemm_batched_general_kernelIfLi16ELi16ELi32ELi32ELi8ELi32ELi8ELi8ELi32ELc67ELc84EKPK16rocblas_bfloat16S4_KPS1_EEvlllT_PT11_llS9_llS7_PT12_llPT13_lli, .Lfunc_end164-_ZN12_GLOBAL__N_135rocblas_gemm_batched_general_kernelIfLi16ELi16ELi32ELi32ELi8ELi32ELi8ELi8ELi32ELc67ELc84EKPK16rocblas_bfloat16S4_KPS1_EEvlllT_PT11_llS9_llS7_PT12_llPT13_lli
                                        ; -- End function
	.set _ZN12_GLOBAL__N_135rocblas_gemm_batched_general_kernelIfLi16ELi16ELi32ELi32ELi8ELi32ELi8ELi8ELi32ELc67ELc84EKPK16rocblas_bfloat16S4_KPS1_EEvlllT_PT11_llS9_llS7_PT12_llPT13_lli.num_vgpr, 56
	.set _ZN12_GLOBAL__N_135rocblas_gemm_batched_general_kernelIfLi16ELi16ELi32ELi32ELi8ELi32ELi8ELi8ELi32ELc67ELc84EKPK16rocblas_bfloat16S4_KPS1_EEvlllT_PT11_llS9_llS7_PT12_llPT13_lli.num_agpr, 0
	.set _ZN12_GLOBAL__N_135rocblas_gemm_batched_general_kernelIfLi16ELi16ELi32ELi32ELi8ELi32ELi8ELi8ELi32ELc67ELc84EKPK16rocblas_bfloat16S4_KPS1_EEvlllT_PT11_llS9_llS7_PT12_llPT13_lli.numbered_sgpr, 42
	.set _ZN12_GLOBAL__N_135rocblas_gemm_batched_general_kernelIfLi16ELi16ELi32ELi32ELi8ELi32ELi8ELi8ELi32ELc67ELc84EKPK16rocblas_bfloat16S4_KPS1_EEvlllT_PT11_llS9_llS7_PT12_llPT13_lli.num_named_barrier, 0
	.set _ZN12_GLOBAL__N_135rocblas_gemm_batched_general_kernelIfLi16ELi16ELi32ELi32ELi8ELi32ELi8ELi8ELi32ELc67ELc84EKPK16rocblas_bfloat16S4_KPS1_EEvlllT_PT11_llS9_llS7_PT12_llPT13_lli.private_seg_size, 0
	.set _ZN12_GLOBAL__N_135rocblas_gemm_batched_general_kernelIfLi16ELi16ELi32ELi32ELi8ELi32ELi8ELi8ELi32ELc67ELc84EKPK16rocblas_bfloat16S4_KPS1_EEvlllT_PT11_llS9_llS7_PT12_llPT13_lli.uses_vcc, 1
	.set _ZN12_GLOBAL__N_135rocblas_gemm_batched_general_kernelIfLi16ELi16ELi32ELi32ELi8ELi32ELi8ELi8ELi32ELc67ELc84EKPK16rocblas_bfloat16S4_KPS1_EEvlllT_PT11_llS9_llS7_PT12_llPT13_lli.uses_flat_scratch, 0
	.set _ZN12_GLOBAL__N_135rocblas_gemm_batched_general_kernelIfLi16ELi16ELi32ELi32ELi8ELi32ELi8ELi8ELi32ELc67ELc84EKPK16rocblas_bfloat16S4_KPS1_EEvlllT_PT11_llS9_llS7_PT12_llPT13_lli.has_dyn_sized_stack, 0
	.set _ZN12_GLOBAL__N_135rocblas_gemm_batched_general_kernelIfLi16ELi16ELi32ELi32ELi8ELi32ELi8ELi8ELi32ELc67ELc84EKPK16rocblas_bfloat16S4_KPS1_EEvlllT_PT11_llS9_llS7_PT12_llPT13_lli.has_recursion, 0
	.set _ZN12_GLOBAL__N_135rocblas_gemm_batched_general_kernelIfLi16ELi16ELi32ELi32ELi8ELi32ELi8ELi8ELi32ELc67ELc84EKPK16rocblas_bfloat16S4_KPS1_EEvlllT_PT11_llS9_llS7_PT12_llPT13_lli.has_indirect_call, 0
	.section	.AMDGPU.csdata,"",@progbits
; Kernel info:
; codeLenInByte = 2908
; TotalNumSgprs: 44
; NumVgprs: 56
; ScratchSize: 0
; MemoryBound: 0
; FloatMode: 240
; IeeeMode: 1
; LDSByteSize: 2048 bytes/workgroup (compile time only)
; SGPRBlocks: 0
; VGPRBlocks: 3
; NumSGPRsForWavesPerEU: 44
; NumVGPRsForWavesPerEU: 56
; NamedBarCnt: 0
; Occupancy: 16
; WaveLimiterHint : 1
; COMPUTE_PGM_RSRC2:SCRATCH_EN: 0
; COMPUTE_PGM_RSRC2:USER_SGPR: 2
; COMPUTE_PGM_RSRC2:TRAP_HANDLER: 0
; COMPUTE_PGM_RSRC2:TGID_X_EN: 1
; COMPUTE_PGM_RSRC2:TGID_Y_EN: 1
; COMPUTE_PGM_RSRC2:TGID_Z_EN: 1
; COMPUTE_PGM_RSRC2:TIDIG_COMP_CNT: 1
	.section	.text._ZN12_GLOBAL__N_135rocblas_gemm_batched_general_kernelIfLi16ELi16ELi32ELi32ELi8ELi32ELi8ELi8ELi32ELc78ELc67EKPK16rocblas_bfloat16S4_KPS1_EEvlllT_PT11_llS9_llS7_PT12_llPT13_lli,"axG",@progbits,_ZN12_GLOBAL__N_135rocblas_gemm_batched_general_kernelIfLi16ELi16ELi32ELi32ELi8ELi32ELi8ELi8ELi32ELc78ELc67EKPK16rocblas_bfloat16S4_KPS1_EEvlllT_PT11_llS9_llS7_PT12_llPT13_lli,comdat
	.globl	_ZN12_GLOBAL__N_135rocblas_gemm_batched_general_kernelIfLi16ELi16ELi32ELi32ELi8ELi32ELi8ELi8ELi32ELc78ELc67EKPK16rocblas_bfloat16S4_KPS1_EEvlllT_PT11_llS9_llS7_PT12_llPT13_lli ; -- Begin function _ZN12_GLOBAL__N_135rocblas_gemm_batched_general_kernelIfLi16ELi16ELi32ELi32ELi8ELi32ELi8ELi8ELi32ELc78ELc67EKPK16rocblas_bfloat16S4_KPS1_EEvlllT_PT11_llS9_llS7_PT12_llPT13_lli
	.p2align	8
	.type	_ZN12_GLOBAL__N_135rocblas_gemm_batched_general_kernelIfLi16ELi16ELi32ELi32ELi8ELi32ELi8ELi8ELi32ELc78ELc67EKPK16rocblas_bfloat16S4_KPS1_EEvlllT_PT11_llS9_llS7_PT12_llPT13_lli,@function
_ZN12_GLOBAL__N_135rocblas_gemm_batched_general_kernelIfLi16ELi16ELi32ELi32ELi8ELi32ELi8ELi8ELi32ELc78ELc67EKPK16rocblas_bfloat16S4_KPS1_EEvlllT_PT11_llS9_llS7_PT12_llPT13_lli: ; @_ZN12_GLOBAL__N_135rocblas_gemm_batched_general_kernelIfLi16ELi16ELi32ELi32ELi8ELi32ELi8ELi8ELi32ELc78ELc67EKPK16rocblas_bfloat16S4_KPS1_EEvlllT_PT11_llS9_llS7_PT12_llPT13_lli
; %bb.0:
	s_load_b32 s33, s[0:1], 0x88
	s_bfe_u32 s2, ttmp6, 0x40014
	s_lshr_b32 s3, ttmp7, 16
	s_add_co_i32 s2, s2, 1
	s_bfe_u32 s5, ttmp6, 0x40008
	s_mul_i32 s4, s3, s2
	s_getreg_b32 s2, hwreg(HW_REG_IB_STS2, 6, 4)
	s_add_co_i32 s5, s5, s4
	s_cmp_eq_u32 s2, 0
	s_mov_b32 s35, 0
	s_cselect_b32 s34, s3, s5
	s_wait_kmcnt 0x0
	s_cmp_ge_i32 s34, s33
	s_cbranch_scc1 .LBB165_74
; %bb.1:
	s_clause 0x6
	s_load_b128 s[4:7], s[0:1], 0x0
	s_load_b96 s[36:38], s[0:1], 0x10
	s_load_b256 s[8:15], s[0:1], 0x20
	s_load_b128 s[28:31], s[0:1], 0x40
	s_load_b32 s39, s[0:1], 0x50
	s_load_b128 s[24:27], s[0:1], 0x78
	s_load_b256 s[16:23], s[0:1], 0x58
	v_bfe_u32 v6, v0, 10, 10
	v_and_b32_e32 v8, 0x3ff, v0
	s_wait_xcnt 0x0
	s_bfe_u32 s0, ttmp6, 0x4000c
	s_bfe_u32 s3, ttmp6, 0x40010
	s_add_co_i32 s0, s0, 1
	s_and_b32 s40, ttmp7, 0xffff
	v_lshl_add_u32 v1, v6, 4, v8
	v_mov_b32_e32 v3, 0
	s_add_co_i32 s3, s3, 1
	v_and_b32_e32 v0, 7, v0
	s_and_b32 s1, ttmp6, 15
	v_dual_lshrrev_b32 v2, 5, v1 :: v_dual_bitop2_b32 v20, 31, v1 bitop3:0x40
	v_dual_mov_b32 v1, v3 :: v_dual_lshrrev_b32 v10, 3, v1
	s_mul_i32 s0, ttmp9, s0
	s_mul_i32 s3, s40, s3
	s_bfe_u32 s41, ttmp6, 0x40004
	s_add_co_i32 s1, s1, s0
	s_add_co_i32 s41, s41, s3
	s_cmp_eq_u32 s2, 0
	s_wait_kmcnt 0x0
	v_mul_u64_e32 v[12:13], s[28:29], v[0:1]
	v_dual_mov_b32 v7, v3 :: v_dual_lshlrev_b32 v18, 2, v20
	v_mul_u64_e32 v[16:17], s[10:11], v[2:3]
	s_cselect_b32 s42, ttmp9, s1
	s_cselect_b32 s44, s40, s41
	s_ashr_i32 s43, s42, 31
	s_lshl_b32 s40, s44, 5
	s_mov_b32 s41, s35
	s_lshl_b64 s[2:3], s[42:43], 5
	v_lshl_or_b32 v26, v2, 7, v18
	v_add_nc_u64_e32 v[18:19], s[40:41], v[6:7]
	v_dual_mov_b32 v11, v3 :: v_dual_bitop2_b32 v4, s2, v20 bitop3:0x54
	v_dual_mov_b32 v5, s3 :: v_dual_mov_b32 v9, v3
	v_lshlrev_b32_e32 v28, 2, v8
	s_delay_alu instid0(VALU_DEP_3) | instskip(SKIP_1) | instid1(VALU_DEP_4)
	v_add_nc_u64_e32 v[14:15], s[40:41], v[10:11]
	v_lshlrev_b32_e32 v11, 2, v0
	v_cmp_gt_i64_e64 s0, s[4:5], v[4:5]
	v_add_nc_u64_e32 v[4:5], s[2:3], v[8:9]
	v_lshl_add_u32 v29, v6, 5, 0x400
	v_mul_u64_e32 v[6:7], s[24:25], v[18:19]
	v_mul_u64_e32 v[8:9], s[18:19], v[18:19]
	v_cmp_gt_i64_e64 s1, s[6:7], v[14:15]
	v_cmp_gt_i64_e64 s2, s[6:7], v[18:19]
	v_add_nc_u64_e32 v[18:19], 16, v[18:19]
	v_add_nc_u64_e32 v[14:15], 16, v[4:5]
	s_cmp_eq_f32 s39, 0
	v_lshl_or_b32 v11, v10, 5, v11
	v_cmp_gt_i64_e64 s3, s[4:5], v[4:5]
	s_mov_b32 s45, s35
	s_cselect_b32 s40, -1, 0
	s_lshl_b32 s44, s44, 6
	s_lshl_b64 s[30:31], s[30:31], 1
	v_cmp_gt_i64_e64 s4, s[4:5], v[14:15]
	v_cmp_gt_i64_e64 s5, s[6:7], v[18:19]
	s_lshl_b64 s[6:7], s[42:43], 6
	s_lshl_b64 s[12:13], s[12:13], 1
	s_add_nc_u64 s[30:31], s[30:31], s[44:45]
	s_add_nc_u64 s[6:7], s[12:13], s[6:7]
	v_add_nc_u32_e32 v27, 0x400, v11
	v_lshl_add_u64 v[12:13], v[12:13], 1, s[30:31]
	v_dual_mov_b32 v11, v3 :: v_dual_lshlrev_b32 v10, 1, v10
	v_lshl_add_u64 v[14:15], v[16:17], 1, s[6:7]
	v_dual_mov_b32 v17, v3 :: v_dual_lshlrev_b32 v16, 1, v20
	s_lshl_b64 s[12:13], s[18:19], 4
	s_delay_alu instid0(VALU_DEP_3)
	v_add_nc_u64_e32 v[10:11], v[12:13], v[10:11]
	s_lshl_b64 s[18:19], s[28:29], 4
	v_cmp_gt_i64_e64 s28, s[36:37], 0
	v_add_nc_u64_e32 v[12:13], v[14:15], v[16:17]
	s_lshl_b64 s[6:7], s[24:25], 4
	s_lshl_b64 s[10:11], s[10:11], 4
	;; [unrolled: 1-line block ×4, first 2 shown]
	s_branch .LBB165_5
.LBB165_2:                              ;   in Loop: Header=BB165_5 Depth=1
	s_or_b32 exec_lo, exec_lo, s27
	flat_store_d16_hi_b16 v[16:17], v15 offset:32
.LBB165_3:                              ;   in Loop: Header=BB165_5 Depth=1
	s_wait_xcnt 0x0
	s_or_b32 exec_lo, exec_lo, s26
.LBB165_4:                              ;   in Loop: Header=BB165_5 Depth=1
	s_add_co_i32 s34, s34, 0x10000
	s_delay_alu instid0(SALU_CYCLE_1)
	s_cmp_lt_i32 s34, s33
	s_cbranch_scc0 .LBB165_74
.LBB165_5:                              ; =>This Loop Header: Depth=1
                                        ;     Child Loop BB165_8 Depth 2
	v_dual_mov_b32 v14, s34 :: v_dual_mov_b32 v17, 0
	v_dual_mov_b32 v16, 0 :: v_dual_mov_b32 v15, 0
	s_and_not1_b32 vcc_lo, exec_lo, s28
	s_clause 0x1
	global_load_b64 v[18:19], v14, s[16:17] scale_offset
	global_load_b64 v[20:21], v14, s[22:23] scale_offset
	s_wait_xcnt 0x0
	v_mov_b32_e32 v14, 0
	s_cbranch_vccnz .LBB165_12
; %bb.6:                                ;   in Loop: Header=BB165_5 Depth=1
	s_lshl_b64 s[26:27], s[34:35], 3
	v_mov_b32_e32 v16, 0
	s_add_nc_u64 s[30:31], s[14:15], s[26:27]
	s_add_nc_u64 s[26:27], s[8:9], s[26:27]
	s_clause 0x1
	global_load_b64 v[14:15], v3, s[30:31]
	global_load_b64 v[24:25], v3, s[26:27]
	s_wait_xcnt 0x0
	s_mov_b64 s[26:27], 0
	v_mov_b32_e32 v17, v16
	s_wait_loadcnt 0x1
	v_add_nc_u64_e32 v[22:23], v[14:15], v[10:11]
	s_wait_loadcnt 0x0
	v_add_nc_u64_e32 v[24:25], v[24:25], v[12:13]
	v_dual_mov_b32 v14, v16 :: v_dual_mov_b32 v15, v16
	s_branch .LBB165_8
.LBB165_7:                              ;   in Loop: Header=BB165_8 Depth=2
	s_wait_xcnt 0x0
	s_or_b32 exec_lo, exec_lo, s29
	ds_store_b32 v27, v31
	s_wait_dscnt 0x0
	s_barrier_signal -1
	s_barrier_wait -1
	ds_load_b128 v[30:33], v29
	ds_load_2addr_b32 v[46:47], v28 offset1:16
	ds_load_b128 v[34:37], v29 offset:512
	ds_load_2addr_b32 v[48:49], v28 offset0:32 offset1:48
	ds_load_2addr_b32 v[50:51], v28 offset0:64 offset1:80
	;; [unrolled: 1-line block ×3, first 2 shown]
	ds_load_b128 v[38:41], v29 offset:16
	ds_load_2addr_b32 v[54:55], v28 offset0:128 offset1:144
	ds_load_b128 v[42:45], v29 offset:528
	s_add_nc_u64 s[26:27], s[26:27], 8
	v_add_nc_u64_e32 v[22:23], s[18:19], v[22:23]
	v_cmp_lt_i64_e64 s29, s[26:27], s[36:37]
	v_add_nc_u64_e32 v[24:25], s[10:11], v[24:25]
	s_and_b32 vcc_lo, exec_lo, s29
	s_wait_dscnt 0x7
	v_pk_fma_f32 v[16:17], v[46:47], v[30:31], v[16:17] op_sel_hi:[1,0,1]
	s_wait_dscnt 0x6
	v_pk_fma_f32 v[14:15], v[46:47], v[34:35], v[14:15] op_sel_hi:[1,0,1]
	ds_load_2addr_b32 v[46:47], v28 offset0:160 offset1:176
	s_wait_dscnt 0x6
	v_pk_fma_f32 v[16:17], v[48:49], v[30:31], v[16:17] op_sel:[0,1,0]
	v_pk_fma_f32 v[14:15], v[48:49], v[34:35], v[14:15] op_sel:[0,1,0]
	ds_load_2addr_b32 v[30:31], v28 offset0:192 offset1:208
	v_dual_mov_b32 v34, v33 :: v_dual_mov_b32 v48, v37
	s_wait_dscnt 0x6
	v_pk_fma_f32 v[16:17], v[50:51], v[32:33], v[16:17] op_sel_hi:[1,0,1]
	v_pk_fma_f32 v[14:15], v[50:51], v[36:37], v[14:15] op_sel_hi:[1,0,1]
	ds_load_2addr_b32 v[32:33], v28 offset0:224 offset1:240
	s_wait_dscnt 0x3
	v_mov_b32_e32 v36, v45
	s_wait_dscnt 0x0
	v_pk_fma_f32 v[16:17], v[52:53], v[34:35], v[16:17] op_sel_hi:[1,0,1]
	v_pk_fma_f32 v[14:15], v[52:53], v[48:49], v[14:15] op_sel_hi:[1,0,1]
	v_mov_b32_e32 v34, v41
	s_barrier_signal -1
	s_barrier_wait -1
	v_pk_fma_f32 v[16:17], v[54:55], v[38:39], v[16:17] op_sel_hi:[1,0,1]
	v_pk_fma_f32 v[14:15], v[54:55], v[42:43], v[14:15] op_sel_hi:[1,0,1]
	s_delay_alu instid0(VALU_DEP_2) | instskip(NEXT) | instid1(VALU_DEP_2)
	v_pk_fma_f32 v[16:17], v[46:47], v[38:39], v[16:17] op_sel:[0,1,0]
	v_pk_fma_f32 v[14:15], v[46:47], v[42:43], v[14:15] op_sel:[0,1,0]
	s_delay_alu instid0(VALU_DEP_2) | instskip(NEXT) | instid1(VALU_DEP_2)
	v_pk_fma_f32 v[16:17], v[30:31], v[40:41], v[16:17] op_sel_hi:[1,0,1]
	v_pk_fma_f32 v[14:15], v[30:31], v[44:45], v[14:15] op_sel_hi:[1,0,1]
	s_delay_alu instid0(VALU_DEP_2) | instskip(NEXT) | instid1(VALU_DEP_2)
	v_pk_fma_f32 v[16:17], v[32:33], v[34:35], v[16:17] op_sel_hi:[1,0,1]
	v_pk_fma_f32 v[14:15], v[32:33], v[36:37], v[14:15] op_sel_hi:[1,0,1]
	s_cbranch_vccz .LBB165_12
.LBB165_8:                              ;   Parent Loop BB165_5 Depth=1
                                        ; =>  This Inner Loop Header: Depth=2
	v_add_nc_u64_e32 v[30:31], s[26:27], v[2:3]
	s_delay_alu instid0(VALU_DEP_1) | instskip(SKIP_2) | instid1(SALU_CYCLE_1)
	v_cmp_gt_i64_e32 vcc_lo, s[36:37], v[30:31]
	v_mov_b32_e32 v30, 0
	s_and_b32 s30, s0, vcc_lo
	s_and_saveexec_b32 s29, s30
	s_cbranch_execz .LBB165_10
; %bb.9:                                ;   in Loop: Header=BB165_8 Depth=2
	flat_load_u16 v30, v[24:25]
	s_wait_loadcnt_dscnt 0x0
	v_lshlrev_b32_e32 v30, 16, v30
.LBB165_10:                             ;   in Loop: Header=BB165_8 Depth=2
	s_wait_xcnt 0x0
	s_or_b32 exec_lo, exec_lo, s29
	v_add_nc_u64_e32 v[32:33], s[26:27], v[0:1]
	v_mov_b32_e32 v31, 0
	ds_store_b32 v26, v30
	v_cmp_gt_i64_e32 vcc_lo, s[36:37], v[32:33]
	s_and_b32 s30, vcc_lo, s1
	s_delay_alu instid0(SALU_CYCLE_1)
	s_and_saveexec_b32 s29, s30
	s_cbranch_execz .LBB165_7
; %bb.11:                               ;   in Loop: Header=BB165_8 Depth=2
	flat_load_u16 v30, v[22:23]
	s_wait_loadcnt_dscnt 0x0
	v_lshlrev_b32_e32 v31, 16, v30
	s_branch .LBB165_7
.LBB165_12:                             ;   in Loop: Header=BB165_5 Depth=1
	s_wait_loadcnt 0x0
	v_add_nc_u64_e32 v[20:21], s[24:25], v[20:21]
	s_and_not1_b32 vcc_lo, exec_lo, s40
	s_cbranch_vccnz .LBB165_17
; %bb.13:                               ;   in Loop: Header=BB165_5 Depth=1
	s_and_saveexec_b32 s26, s2
	s_cbranch_execz .LBB165_32
; %bb.14:                               ;   in Loop: Header=BB165_5 Depth=1
	s_delay_alu instid0(VALU_DEP_1)
	v_lshl_add_u64 v[22:23], v[6:7], 1, v[20:21]
	s_and_saveexec_b32 s27, s3
	s_cbranch_execnz .LBB165_18
; %bb.15:                               ;   in Loop: Header=BB165_5 Depth=1
	s_or_b32 exec_lo, exec_lo, s27
	s_and_saveexec_b32 s27, s4
	s_cbranch_execnz .LBB165_23
.LBB165_16:                             ;   in Loop: Header=BB165_5 Depth=1
	s_or_b32 exec_lo, exec_lo, s27
	s_delay_alu instid0(SALU_CYCLE_1)
	s_and_b32 exec_lo, exec_lo, s5
	s_cbranch_execnz .LBB165_28
	s_branch .LBB165_32
.LBB165_17:                             ;   in Loop: Header=BB165_5 Depth=1
	s_branch .LBB165_33
.LBB165_18:                             ;   in Loop: Header=BB165_5 Depth=1
	v_mul_f32_e32 v24, s38, v16
	s_delay_alu instid0(VALU_DEP_1) | instskip(NEXT) | instid1(VALU_DEP_1)
	v_and_b32_e32 v25, 0x7f800000, v24
	v_cmp_ne_u32_e32 vcc_lo, 0x7f800000, v25
                                        ; implicit-def: $vgpr25
	s_and_saveexec_b32 s29, vcc_lo
	s_delay_alu instid0(SALU_CYCLE_1)
	s_xor_b32 s29, exec_lo, s29
; %bb.19:                               ;   in Loop: Header=BB165_5 Depth=1
	v_bfe_u32 v25, v24, 16, 1
	s_delay_alu instid0(VALU_DEP_1)
	v_add3_u32 v25, v24, v25, 0x7fff
                                        ; implicit-def: $vgpr24
; %bb.20:                               ;   in Loop: Header=BB165_5 Depth=1
	s_and_not1_saveexec_b32 s29, s29
; %bb.21:                               ;   in Loop: Header=BB165_5 Depth=1
	v_and_b32_e32 v25, 0xffff, v24
	v_or_b32_e32 v30, 0x10000, v24
	s_delay_alu instid0(VALU_DEP_2) | instskip(NEXT) | instid1(VALU_DEP_2)
	v_cmp_eq_u32_e32 vcc_lo, 0, v25
	v_cndmask_b32_e32 v25, v30, v24, vcc_lo
; %bb.22:                               ;   in Loop: Header=BB165_5 Depth=1
	s_or_b32 exec_lo, exec_lo, s29
	v_lshl_add_u64 v[30:31], v[4:5], 1, v[22:23]
	flat_store_d16_hi_b16 v[30:31], v25
	s_wait_xcnt 0x0
	s_or_b32 exec_lo, exec_lo, s27
	s_and_saveexec_b32 s27, s4
	s_cbranch_execz .LBB165_16
.LBB165_23:                             ;   in Loop: Header=BB165_5 Depth=1
	v_mul_f32_e32 v24, s38, v17
	s_delay_alu instid0(VALU_DEP_1) | instskip(NEXT) | instid1(VALU_DEP_1)
	v_and_b32_e32 v25, 0x7f800000, v24
	v_cmp_ne_u32_e32 vcc_lo, 0x7f800000, v25
                                        ; implicit-def: $vgpr25
	s_and_saveexec_b32 s29, vcc_lo
	s_delay_alu instid0(SALU_CYCLE_1)
	s_xor_b32 s29, exec_lo, s29
; %bb.24:                               ;   in Loop: Header=BB165_5 Depth=1
	v_bfe_u32 v25, v24, 16, 1
	s_delay_alu instid0(VALU_DEP_1)
	v_add3_u32 v25, v24, v25, 0x7fff
                                        ; implicit-def: $vgpr24
; %bb.25:                               ;   in Loop: Header=BB165_5 Depth=1
	s_and_not1_saveexec_b32 s29, s29
; %bb.26:                               ;   in Loop: Header=BB165_5 Depth=1
	v_and_b32_e32 v25, 0xffff, v24
	v_or_b32_e32 v30, 0x10000, v24
	s_delay_alu instid0(VALU_DEP_2) | instskip(NEXT) | instid1(VALU_DEP_2)
	v_cmp_eq_u32_e32 vcc_lo, 0, v25
	v_cndmask_b32_e32 v25, v30, v24, vcc_lo
; %bb.27:                               ;   in Loop: Header=BB165_5 Depth=1
	s_or_b32 exec_lo, exec_lo, s29
	v_lshl_add_u64 v[30:31], v[4:5], 1, v[22:23]
	flat_store_d16_hi_b16 v[30:31], v25 offset:32
	s_wait_xcnt 0x0
	s_or_b32 exec_lo, exec_lo, s27
	s_delay_alu instid0(SALU_CYCLE_1)
	s_and_b32 exec_lo, exec_lo, s5
	s_cbranch_execz .LBB165_32
.LBB165_28:                             ;   in Loop: Header=BB165_5 Depth=1
	v_lshl_add_u64 v[22:23], s[6:7], 1, v[22:23]
	s_delay_alu instid0(VALU_DEP_1)
	v_lshl_add_u64 v[22:23], v[4:5], 1, v[22:23]
	s_and_saveexec_b32 s27, s3
	s_cbranch_execz .LBB165_30
; %bb.29:                               ;   in Loop: Header=BB165_5 Depth=1
	v_mul_f32_e32 v24, s38, v14
	s_delay_alu instid0(VALU_DEP_1) | instskip(SKIP_3) | instid1(VALU_DEP_4)
	v_and_b32_e32 v30, 0xffff, v24
	v_bfe_u32 v25, v24, 16, 1
	v_or_b32_e32 v31, 0x10000, v24
	v_and_b32_e32 v32, 0x7f800000, v24
	v_cmp_eq_u32_e32 vcc_lo, 0, v30
	s_delay_alu instid0(VALU_DEP_4) | instskip(NEXT) | instid1(VALU_DEP_4)
	v_add3_u32 v25, v24, v25, 0x7fff
	v_cndmask_b32_e32 v24, v31, v24, vcc_lo
	s_delay_alu instid0(VALU_DEP_4) | instskip(NEXT) | instid1(VALU_DEP_2)
	v_cmp_eq_u32_e32 vcc_lo, 0x7f800000, v32
	v_cndmask_b32_e32 v24, v25, v24, vcc_lo
	flat_store_d16_hi_b16 v[22:23], v24
.LBB165_30:                             ;   in Loop: Header=BB165_5 Depth=1
	s_wait_xcnt 0x0
	s_or_b32 exec_lo, exec_lo, s27
	s_delay_alu instid0(SALU_CYCLE_1)
	s_and_b32 exec_lo, exec_lo, s4
	s_cbranch_execz .LBB165_32
; %bb.31:                               ;   in Loop: Header=BB165_5 Depth=1
	v_mul_f32_e32 v24, s38, v15
	s_delay_alu instid0(VALU_DEP_1) | instskip(SKIP_3) | instid1(VALU_DEP_4)
	v_and_b32_e32 v30, 0xffff, v24
	v_bfe_u32 v25, v24, 16, 1
	v_or_b32_e32 v31, 0x10000, v24
	v_and_b32_e32 v32, 0x7f800000, v24
	v_cmp_eq_u32_e32 vcc_lo, 0, v30
	s_delay_alu instid0(VALU_DEP_4) | instskip(NEXT) | instid1(VALU_DEP_4)
	v_add3_u32 v25, v24, v25, 0x7fff
	v_cndmask_b32_e32 v24, v31, v24, vcc_lo
	s_delay_alu instid0(VALU_DEP_4) | instskip(NEXT) | instid1(VALU_DEP_2)
	v_cmp_eq_u32_e32 vcc_lo, 0x7f800000, v32
	v_cndmask_b32_e32 v24, v25, v24, vcc_lo
	flat_store_d16_hi_b16 v[22:23], v24 offset:32
.LBB165_32:                             ;   in Loop: Header=BB165_5 Depth=1
	s_wait_xcnt 0x0
	s_or_b32 exec_lo, exec_lo, s26
	s_cbranch_execnz .LBB165_4
.LBB165_33:                             ;   in Loop: Header=BB165_5 Depth=1
	s_and_saveexec_b32 s26, s2
	s_cbranch_execz .LBB165_3
; %bb.34:                               ;   in Loop: Header=BB165_5 Depth=1
	v_add_nc_u64_e32 v[18:19], s[20:21], v[18:19]
	v_lshl_add_u64 v[20:21], v[6:7], 1, v[20:21]
	s_delay_alu instid0(VALU_DEP_2) | instskip(NEXT) | instid1(VALU_DEP_1)
	v_lshl_add_u64 v[18:19], v[8:9], 1, v[18:19]
	v_lshl_add_u64 v[22:23], v[4:5], 1, v[18:19]
	s_and_saveexec_b32 s27, s3
	s_cbranch_execnz .LBB165_37
; %bb.35:                               ;   in Loop: Header=BB165_5 Depth=1
	s_or_b32 exec_lo, exec_lo, s27
	s_and_saveexec_b32 s27, s4
	s_cbranch_execnz .LBB165_46
.LBB165_36:                             ;   in Loop: Header=BB165_5 Depth=1
	s_or_b32 exec_lo, exec_lo, s27
	s_delay_alu instid0(SALU_CYCLE_1)
	s_and_b32 exec_lo, exec_lo, s5
	s_cbranch_execz .LBB165_3
	s_branch .LBB165_55
.LBB165_37:                             ;   in Loop: Header=BB165_5 Depth=1
	flat_load_u16 v24, v[22:23]
	s_wait_loadcnt_dscnt 0x0
	v_lshlrev_b32_e32 v24, 16, v24
	s_delay_alu instid0(VALU_DEP_1) | instskip(NEXT) | instid1(VALU_DEP_1)
	v_mul_f32_e32 v24, s39, v24
	v_and_b32_e32 v25, 0x7f800000, v24
	s_delay_alu instid0(VALU_DEP_1) | instskip(SKIP_2) | instid1(SALU_CYCLE_1)
	v_cmp_ne_u32_e32 vcc_lo, 0x7f800000, v25
                                        ; implicit-def: $vgpr25
	s_wait_xcnt 0x0
	s_and_saveexec_b32 s29, vcc_lo
	s_xor_b32 s29, exec_lo, s29
; %bb.38:                               ;   in Loop: Header=BB165_5 Depth=1
	v_bfe_u32 v25, v24, 16, 1
	s_delay_alu instid0(VALU_DEP_1)
	v_add3_u32 v25, v24, v25, 0x7fff
                                        ; implicit-def: $vgpr24
; %bb.39:                               ;   in Loop: Header=BB165_5 Depth=1
	s_and_not1_saveexec_b32 s29, s29
; %bb.40:                               ;   in Loop: Header=BB165_5 Depth=1
	v_and_b32_e32 v25, 0xffff, v24
	v_or_b32_e32 v30, 0x10000, v24
	s_delay_alu instid0(VALU_DEP_2) | instskip(NEXT) | instid1(VALU_DEP_2)
	v_cmp_eq_u32_e32 vcc_lo, 0, v25
	v_cndmask_b32_e32 v25, v30, v24, vcc_lo
; %bb.41:                               ;   in Loop: Header=BB165_5 Depth=1
	s_or_b32 exec_lo, exec_lo, s29
	s_delay_alu instid0(VALU_DEP_1) | instskip(NEXT) | instid1(VALU_DEP_1)
	v_fma_mix_f32_bf16 v16, s38, v16, v25 op_sel:[0,0,1] op_sel_hi:[0,0,1]
	v_and_b32_e32 v24, 0x7f800000, v16
	s_delay_alu instid0(VALU_DEP_1) | instskip(SKIP_1) | instid1(SALU_CYCLE_1)
	v_cmp_ne_u32_e32 vcc_lo, 0x7f800000, v24
                                        ; implicit-def: $vgpr24
	s_and_saveexec_b32 s29, vcc_lo
	s_xor_b32 s29, exec_lo, s29
; %bb.42:                               ;   in Loop: Header=BB165_5 Depth=1
	v_bfe_u32 v24, v16, 16, 1
	s_delay_alu instid0(VALU_DEP_1)
	v_add3_u32 v24, v16, v24, 0x7fff
                                        ; implicit-def: $vgpr16
; %bb.43:                               ;   in Loop: Header=BB165_5 Depth=1
	s_and_not1_saveexec_b32 s29, s29
; %bb.44:                               ;   in Loop: Header=BB165_5 Depth=1
	v_and_b32_e32 v24, 0xffff, v16
	v_or_b32_e32 v25, 0x10000, v16
	s_delay_alu instid0(VALU_DEP_2) | instskip(NEXT) | instid1(VALU_DEP_2)
	v_cmp_eq_u32_e32 vcc_lo, 0, v24
	v_cndmask_b32_e32 v24, v25, v16, vcc_lo
; %bb.45:                               ;   in Loop: Header=BB165_5 Depth=1
	s_or_b32 exec_lo, exec_lo, s29
	v_lshl_add_u64 v[30:31], v[4:5], 1, v[20:21]
	flat_store_d16_hi_b16 v[30:31], v24
	s_wait_xcnt 0x0
	s_or_b32 exec_lo, exec_lo, s27
	s_and_saveexec_b32 s27, s4
	s_cbranch_execz .LBB165_36
.LBB165_46:                             ;   in Loop: Header=BB165_5 Depth=1
	flat_load_u16 v16, v[22:23] offset:32
	s_wait_loadcnt_dscnt 0x0
	v_lshlrev_b32_e32 v16, 16, v16
	s_delay_alu instid0(VALU_DEP_1) | instskip(SKIP_1) | instid1(VALU_DEP_1)
	v_mul_f32_e32 v16, s39, v16
	s_wait_xcnt 0x0
	v_and_b32_e32 v22, 0x7f800000, v16
	s_delay_alu instid0(VALU_DEP_1) | instskip(SKIP_1) | instid1(SALU_CYCLE_1)
	v_cmp_ne_u32_e32 vcc_lo, 0x7f800000, v22
                                        ; implicit-def: $vgpr22
	s_and_saveexec_b32 s29, vcc_lo
	s_xor_b32 s29, exec_lo, s29
; %bb.47:                               ;   in Loop: Header=BB165_5 Depth=1
	v_bfe_u32 v22, v16, 16, 1
	s_delay_alu instid0(VALU_DEP_1)
	v_add3_u32 v22, v16, v22, 0x7fff
                                        ; implicit-def: $vgpr16
; %bb.48:                               ;   in Loop: Header=BB165_5 Depth=1
	s_and_not1_saveexec_b32 s29, s29
; %bb.49:                               ;   in Loop: Header=BB165_5 Depth=1
	v_and_b32_e32 v22, 0xffff, v16
	v_or_b32_e32 v23, 0x10000, v16
	s_delay_alu instid0(VALU_DEP_2) | instskip(NEXT) | instid1(VALU_DEP_2)
	v_cmp_eq_u32_e32 vcc_lo, 0, v22
	v_cndmask_b32_e32 v22, v23, v16, vcc_lo
; %bb.50:                               ;   in Loop: Header=BB165_5 Depth=1
	s_or_b32 exec_lo, exec_lo, s29
	s_delay_alu instid0(VALU_DEP_1) | instskip(NEXT) | instid1(VALU_DEP_1)
	v_fma_mix_f32_bf16 v16, s38, v17, v22 op_sel:[0,0,1] op_sel_hi:[0,0,1]
	v_and_b32_e32 v17, 0x7f800000, v16
	s_delay_alu instid0(VALU_DEP_1) | instskip(SKIP_1) | instid1(SALU_CYCLE_1)
	v_cmp_ne_u32_e32 vcc_lo, 0x7f800000, v17
                                        ; implicit-def: $vgpr17
	s_and_saveexec_b32 s29, vcc_lo
	s_xor_b32 s29, exec_lo, s29
; %bb.51:                               ;   in Loop: Header=BB165_5 Depth=1
	v_bfe_u32 v17, v16, 16, 1
	s_delay_alu instid0(VALU_DEP_1)
	v_add3_u32 v17, v16, v17, 0x7fff
                                        ; implicit-def: $vgpr16
; %bb.52:                               ;   in Loop: Header=BB165_5 Depth=1
	s_and_not1_saveexec_b32 s29, s29
; %bb.53:                               ;   in Loop: Header=BB165_5 Depth=1
	v_and_b32_e32 v17, 0xffff, v16
	v_or_b32_e32 v22, 0x10000, v16
	s_delay_alu instid0(VALU_DEP_2) | instskip(NEXT) | instid1(VALU_DEP_2)
	v_cmp_eq_u32_e32 vcc_lo, 0, v17
	v_cndmask_b32_e32 v17, v22, v16, vcc_lo
; %bb.54:                               ;   in Loop: Header=BB165_5 Depth=1
	s_or_b32 exec_lo, exec_lo, s29
	v_lshl_add_u64 v[22:23], v[4:5], 1, v[20:21]
	flat_store_d16_hi_b16 v[22:23], v17 offset:32
	s_wait_xcnt 0x0
	s_or_b32 exec_lo, exec_lo, s27
	s_delay_alu instid0(SALU_CYCLE_1)
	s_and_b32 exec_lo, exec_lo, s5
	s_cbranch_execz .LBB165_3
.LBB165_55:                             ;   in Loop: Header=BB165_5 Depth=1
	v_lshlrev_b64_e32 v[16:17], 1, v[4:5]
	v_lshl_add_u64 v[18:19], s[12:13], 1, v[18:19]
	v_lshl_add_u64 v[20:21], s[6:7], 1, v[20:21]
	s_delay_alu instid0(VALU_DEP_2) | instskip(NEXT) | instid1(VALU_DEP_2)
	v_add_nc_u64_e32 v[18:19], v[18:19], v[16:17]
	v_add_nc_u64_e32 v[16:17], v[20:21], v[16:17]
	s_and_saveexec_b32 s27, s3
	s_cbranch_execz .LBB165_65
; %bb.56:                               ;   in Loop: Header=BB165_5 Depth=1
	flat_load_u16 v20, v[18:19]
	s_wait_loadcnt_dscnt 0x0
	v_lshlrev_b32_e32 v20, 16, v20
	s_delay_alu instid0(VALU_DEP_1) | instskip(NEXT) | instid1(VALU_DEP_1)
	v_mul_f32_e32 v20, s39, v20
	v_and_b32_e32 v21, 0x7f800000, v20
	s_delay_alu instid0(VALU_DEP_1) | instskip(SKIP_2) | instid1(SALU_CYCLE_1)
	v_cmp_ne_u32_e32 vcc_lo, 0x7f800000, v21
                                        ; implicit-def: $vgpr21
	s_wait_xcnt 0x0
	s_and_saveexec_b32 s29, vcc_lo
	s_xor_b32 s29, exec_lo, s29
; %bb.57:                               ;   in Loop: Header=BB165_5 Depth=1
	v_bfe_u32 v21, v20, 16, 1
	s_delay_alu instid0(VALU_DEP_1)
	v_add3_u32 v21, v20, v21, 0x7fff
                                        ; implicit-def: $vgpr20
; %bb.58:                               ;   in Loop: Header=BB165_5 Depth=1
	s_and_not1_saveexec_b32 s29, s29
; %bb.59:                               ;   in Loop: Header=BB165_5 Depth=1
	v_and_b32_e32 v21, 0xffff, v20
	v_or_b32_e32 v22, 0x10000, v20
	s_delay_alu instid0(VALU_DEP_2) | instskip(NEXT) | instid1(VALU_DEP_2)
	v_cmp_eq_u32_e32 vcc_lo, 0, v21
	v_cndmask_b32_e32 v21, v22, v20, vcc_lo
; %bb.60:                               ;   in Loop: Header=BB165_5 Depth=1
	s_or_b32 exec_lo, exec_lo, s29
	s_delay_alu instid0(VALU_DEP_1) | instskip(NEXT) | instid1(VALU_DEP_1)
	v_fma_mix_f32_bf16 v14, s38, v14, v21 op_sel:[0,0,1] op_sel_hi:[0,0,1]
	v_and_b32_e32 v20, 0x7f800000, v14
	s_delay_alu instid0(VALU_DEP_1) | instskip(SKIP_1) | instid1(SALU_CYCLE_1)
	v_cmp_ne_u32_e32 vcc_lo, 0x7f800000, v20
                                        ; implicit-def: $vgpr20
	s_and_saveexec_b32 s29, vcc_lo
	s_xor_b32 s29, exec_lo, s29
; %bb.61:                               ;   in Loop: Header=BB165_5 Depth=1
	v_bfe_u32 v20, v14, 16, 1
	s_delay_alu instid0(VALU_DEP_1)
	v_add3_u32 v20, v14, v20, 0x7fff
                                        ; implicit-def: $vgpr14
; %bb.62:                               ;   in Loop: Header=BB165_5 Depth=1
	s_and_not1_saveexec_b32 s29, s29
; %bb.63:                               ;   in Loop: Header=BB165_5 Depth=1
	v_and_b32_e32 v20, 0xffff, v14
	v_or_b32_e32 v21, 0x10000, v14
	s_delay_alu instid0(VALU_DEP_2) | instskip(NEXT) | instid1(VALU_DEP_2)
	v_cmp_eq_u32_e32 vcc_lo, 0, v20
	v_cndmask_b32_e32 v20, v21, v14, vcc_lo
; %bb.64:                               ;   in Loop: Header=BB165_5 Depth=1
	s_or_b32 exec_lo, exec_lo, s29
	flat_store_d16_hi_b16 v[16:17], v20
.LBB165_65:                             ;   in Loop: Header=BB165_5 Depth=1
	s_wait_xcnt 0x0
	s_or_b32 exec_lo, exec_lo, s27
	s_delay_alu instid0(SALU_CYCLE_1)
	s_and_b32 exec_lo, exec_lo, s4
	s_cbranch_execz .LBB165_3
; %bb.66:                               ;   in Loop: Header=BB165_5 Depth=1
	flat_load_u16 v14, v[18:19] offset:32
	s_wait_loadcnt_dscnt 0x0
	v_lshlrev_b32_e32 v14, 16, v14
	s_delay_alu instid0(VALU_DEP_1) | instskip(SKIP_1) | instid1(VALU_DEP_1)
	v_mul_f32_e32 v14, s39, v14
	s_wait_xcnt 0x0
	v_and_b32_e32 v18, 0x7f800000, v14
	s_delay_alu instid0(VALU_DEP_1) | instskip(SKIP_1) | instid1(SALU_CYCLE_1)
	v_cmp_ne_u32_e32 vcc_lo, 0x7f800000, v18
                                        ; implicit-def: $vgpr18
	s_and_saveexec_b32 s27, vcc_lo
	s_xor_b32 s27, exec_lo, s27
; %bb.67:                               ;   in Loop: Header=BB165_5 Depth=1
	v_bfe_u32 v18, v14, 16, 1
	s_delay_alu instid0(VALU_DEP_1)
	v_add3_u32 v18, v14, v18, 0x7fff
                                        ; implicit-def: $vgpr14
; %bb.68:                               ;   in Loop: Header=BB165_5 Depth=1
	s_and_not1_saveexec_b32 s27, s27
; %bb.69:                               ;   in Loop: Header=BB165_5 Depth=1
	v_and_b32_e32 v18, 0xffff, v14
	v_or_b32_e32 v19, 0x10000, v14
	s_delay_alu instid0(VALU_DEP_2) | instskip(NEXT) | instid1(VALU_DEP_2)
	v_cmp_eq_u32_e32 vcc_lo, 0, v18
	v_cndmask_b32_e32 v18, v19, v14, vcc_lo
; %bb.70:                               ;   in Loop: Header=BB165_5 Depth=1
	s_or_b32 exec_lo, exec_lo, s27
	s_delay_alu instid0(VALU_DEP_1) | instskip(NEXT) | instid1(VALU_DEP_1)
	v_fma_mix_f32_bf16 v14, s38, v15, v18 op_sel:[0,0,1] op_sel_hi:[0,0,1]
	v_and_b32_e32 v15, 0x7f800000, v14
	s_delay_alu instid0(VALU_DEP_1) | instskip(SKIP_1) | instid1(SALU_CYCLE_1)
	v_cmp_ne_u32_e32 vcc_lo, 0x7f800000, v15
                                        ; implicit-def: $vgpr15
	s_and_saveexec_b32 s27, vcc_lo
	s_xor_b32 s27, exec_lo, s27
; %bb.71:                               ;   in Loop: Header=BB165_5 Depth=1
	v_bfe_u32 v15, v14, 16, 1
	s_delay_alu instid0(VALU_DEP_1)
	v_add3_u32 v15, v14, v15, 0x7fff
                                        ; implicit-def: $vgpr14
; %bb.72:                               ;   in Loop: Header=BB165_5 Depth=1
	s_and_not1_saveexec_b32 s27, s27
	s_cbranch_execz .LBB165_2
; %bb.73:                               ;   in Loop: Header=BB165_5 Depth=1
	v_and_b32_e32 v15, 0xffff, v14
	v_or_b32_e32 v18, 0x10000, v14
	s_delay_alu instid0(VALU_DEP_2) | instskip(NEXT) | instid1(VALU_DEP_2)
	v_cmp_eq_u32_e32 vcc_lo, 0, v15
	v_cndmask_b32_e32 v15, v18, v14, vcc_lo
	s_branch .LBB165_2
.LBB165_74:
	s_endpgm
	.section	.rodata,"a",@progbits
	.p2align	6, 0x0
	.amdhsa_kernel _ZN12_GLOBAL__N_135rocblas_gemm_batched_general_kernelIfLi16ELi16ELi32ELi32ELi8ELi32ELi8ELi8ELi32ELc78ELc67EKPK16rocblas_bfloat16S4_KPS1_EEvlllT_PT11_llS9_llS7_PT12_llPT13_lli
		.amdhsa_group_segment_fixed_size 2048
		.amdhsa_private_segment_fixed_size 0
		.amdhsa_kernarg_size 140
		.amdhsa_user_sgpr_count 2
		.amdhsa_user_sgpr_dispatch_ptr 0
		.amdhsa_user_sgpr_queue_ptr 0
		.amdhsa_user_sgpr_kernarg_segment_ptr 1
		.amdhsa_user_sgpr_dispatch_id 0
		.amdhsa_user_sgpr_kernarg_preload_length 0
		.amdhsa_user_sgpr_kernarg_preload_offset 0
		.amdhsa_user_sgpr_private_segment_size 0
		.amdhsa_wavefront_size32 1
		.amdhsa_uses_dynamic_stack 0
		.amdhsa_enable_private_segment 0
		.amdhsa_system_sgpr_workgroup_id_x 1
		.amdhsa_system_sgpr_workgroup_id_y 1
		.amdhsa_system_sgpr_workgroup_id_z 1
		.amdhsa_system_sgpr_workgroup_info 0
		.amdhsa_system_vgpr_workitem_id 1
		.amdhsa_next_free_vgpr 56
		.amdhsa_next_free_sgpr 46
		.amdhsa_named_barrier_count 0
		.amdhsa_reserve_vcc 1
		.amdhsa_float_round_mode_32 0
		.amdhsa_float_round_mode_16_64 0
		.amdhsa_float_denorm_mode_32 3
		.amdhsa_float_denorm_mode_16_64 3
		.amdhsa_fp16_overflow 0
		.amdhsa_memory_ordered 1
		.amdhsa_forward_progress 1
		.amdhsa_inst_pref_size 23
		.amdhsa_round_robin_scheduling 0
		.amdhsa_exception_fp_ieee_invalid_op 0
		.amdhsa_exception_fp_denorm_src 0
		.amdhsa_exception_fp_ieee_div_zero 0
		.amdhsa_exception_fp_ieee_overflow 0
		.amdhsa_exception_fp_ieee_underflow 0
		.amdhsa_exception_fp_ieee_inexact 0
		.amdhsa_exception_int_div_zero 0
	.end_amdhsa_kernel
	.section	.text._ZN12_GLOBAL__N_135rocblas_gemm_batched_general_kernelIfLi16ELi16ELi32ELi32ELi8ELi32ELi8ELi8ELi32ELc78ELc67EKPK16rocblas_bfloat16S4_KPS1_EEvlllT_PT11_llS9_llS7_PT12_llPT13_lli,"axG",@progbits,_ZN12_GLOBAL__N_135rocblas_gemm_batched_general_kernelIfLi16ELi16ELi32ELi32ELi8ELi32ELi8ELi8ELi32ELc78ELc67EKPK16rocblas_bfloat16S4_KPS1_EEvlllT_PT11_llS9_llS7_PT12_llPT13_lli,comdat
.Lfunc_end165:
	.size	_ZN12_GLOBAL__N_135rocblas_gemm_batched_general_kernelIfLi16ELi16ELi32ELi32ELi8ELi32ELi8ELi8ELi32ELc78ELc67EKPK16rocblas_bfloat16S4_KPS1_EEvlllT_PT11_llS9_llS7_PT12_llPT13_lli, .Lfunc_end165-_ZN12_GLOBAL__N_135rocblas_gemm_batched_general_kernelIfLi16ELi16ELi32ELi32ELi8ELi32ELi8ELi8ELi32ELc78ELc67EKPK16rocblas_bfloat16S4_KPS1_EEvlllT_PT11_llS9_llS7_PT12_llPT13_lli
                                        ; -- End function
	.set _ZN12_GLOBAL__N_135rocblas_gemm_batched_general_kernelIfLi16ELi16ELi32ELi32ELi8ELi32ELi8ELi8ELi32ELc78ELc67EKPK16rocblas_bfloat16S4_KPS1_EEvlllT_PT11_llS9_llS7_PT12_llPT13_lli.num_vgpr, 56
	.set _ZN12_GLOBAL__N_135rocblas_gemm_batched_general_kernelIfLi16ELi16ELi32ELi32ELi8ELi32ELi8ELi8ELi32ELc78ELc67EKPK16rocblas_bfloat16S4_KPS1_EEvlllT_PT11_llS9_llS7_PT12_llPT13_lli.num_agpr, 0
	.set _ZN12_GLOBAL__N_135rocblas_gemm_batched_general_kernelIfLi16ELi16ELi32ELi32ELi8ELi32ELi8ELi8ELi32ELc78ELc67EKPK16rocblas_bfloat16S4_KPS1_EEvlllT_PT11_llS9_llS7_PT12_llPT13_lli.numbered_sgpr, 46
	.set _ZN12_GLOBAL__N_135rocblas_gemm_batched_general_kernelIfLi16ELi16ELi32ELi32ELi8ELi32ELi8ELi8ELi32ELc78ELc67EKPK16rocblas_bfloat16S4_KPS1_EEvlllT_PT11_llS9_llS7_PT12_llPT13_lli.num_named_barrier, 0
	.set _ZN12_GLOBAL__N_135rocblas_gemm_batched_general_kernelIfLi16ELi16ELi32ELi32ELi8ELi32ELi8ELi8ELi32ELc78ELc67EKPK16rocblas_bfloat16S4_KPS1_EEvlllT_PT11_llS9_llS7_PT12_llPT13_lli.private_seg_size, 0
	.set _ZN12_GLOBAL__N_135rocblas_gemm_batched_general_kernelIfLi16ELi16ELi32ELi32ELi8ELi32ELi8ELi8ELi32ELc78ELc67EKPK16rocblas_bfloat16S4_KPS1_EEvlllT_PT11_llS9_llS7_PT12_llPT13_lli.uses_vcc, 1
	.set _ZN12_GLOBAL__N_135rocblas_gemm_batched_general_kernelIfLi16ELi16ELi32ELi32ELi8ELi32ELi8ELi8ELi32ELc78ELc67EKPK16rocblas_bfloat16S4_KPS1_EEvlllT_PT11_llS9_llS7_PT12_llPT13_lli.uses_flat_scratch, 0
	.set _ZN12_GLOBAL__N_135rocblas_gemm_batched_general_kernelIfLi16ELi16ELi32ELi32ELi8ELi32ELi8ELi8ELi32ELc78ELc67EKPK16rocblas_bfloat16S4_KPS1_EEvlllT_PT11_llS9_llS7_PT12_llPT13_lli.has_dyn_sized_stack, 0
	.set _ZN12_GLOBAL__N_135rocblas_gemm_batched_general_kernelIfLi16ELi16ELi32ELi32ELi8ELi32ELi8ELi8ELi32ELc78ELc67EKPK16rocblas_bfloat16S4_KPS1_EEvlllT_PT11_llS9_llS7_PT12_llPT13_lli.has_recursion, 0
	.set _ZN12_GLOBAL__N_135rocblas_gemm_batched_general_kernelIfLi16ELi16ELi32ELi32ELi8ELi32ELi8ELi8ELi32ELc78ELc67EKPK16rocblas_bfloat16S4_KPS1_EEvlllT_PT11_llS9_llS7_PT12_llPT13_lli.has_indirect_call, 0
	.section	.AMDGPU.csdata,"",@progbits
; Kernel info:
; codeLenInByte = 2912
; TotalNumSgprs: 48
; NumVgprs: 56
; ScratchSize: 0
; MemoryBound: 0
; FloatMode: 240
; IeeeMode: 1
; LDSByteSize: 2048 bytes/workgroup (compile time only)
; SGPRBlocks: 0
; VGPRBlocks: 3
; NumSGPRsForWavesPerEU: 48
; NumVGPRsForWavesPerEU: 56
; NamedBarCnt: 0
; Occupancy: 16
; WaveLimiterHint : 1
; COMPUTE_PGM_RSRC2:SCRATCH_EN: 0
; COMPUTE_PGM_RSRC2:USER_SGPR: 2
; COMPUTE_PGM_RSRC2:TRAP_HANDLER: 0
; COMPUTE_PGM_RSRC2:TGID_X_EN: 1
; COMPUTE_PGM_RSRC2:TGID_Y_EN: 1
; COMPUTE_PGM_RSRC2:TGID_Z_EN: 1
; COMPUTE_PGM_RSRC2:TIDIG_COMP_CNT: 1
	.section	.text._ZN12_GLOBAL__N_135rocblas_gemm_batched_general_kernelIfLi16ELi16ELi32ELi32ELi8ELi32ELi8ELi8ELi32ELc84ELc67EKPK16rocblas_bfloat16S4_KPS1_EEvlllT_PT11_llS9_llS7_PT12_llPT13_lli,"axG",@progbits,_ZN12_GLOBAL__N_135rocblas_gemm_batched_general_kernelIfLi16ELi16ELi32ELi32ELi8ELi32ELi8ELi8ELi32ELc84ELc67EKPK16rocblas_bfloat16S4_KPS1_EEvlllT_PT11_llS9_llS7_PT12_llPT13_lli,comdat
	.globl	_ZN12_GLOBAL__N_135rocblas_gemm_batched_general_kernelIfLi16ELi16ELi32ELi32ELi8ELi32ELi8ELi8ELi32ELc84ELc67EKPK16rocblas_bfloat16S4_KPS1_EEvlllT_PT11_llS9_llS7_PT12_llPT13_lli ; -- Begin function _ZN12_GLOBAL__N_135rocblas_gemm_batched_general_kernelIfLi16ELi16ELi32ELi32ELi8ELi32ELi8ELi8ELi32ELc84ELc67EKPK16rocblas_bfloat16S4_KPS1_EEvlllT_PT11_llS9_llS7_PT12_llPT13_lli
	.p2align	8
	.type	_ZN12_GLOBAL__N_135rocblas_gemm_batched_general_kernelIfLi16ELi16ELi32ELi32ELi8ELi32ELi8ELi8ELi32ELc84ELc67EKPK16rocblas_bfloat16S4_KPS1_EEvlllT_PT11_llS9_llS7_PT12_llPT13_lli,@function
_ZN12_GLOBAL__N_135rocblas_gemm_batched_general_kernelIfLi16ELi16ELi32ELi32ELi8ELi32ELi8ELi8ELi32ELc84ELc67EKPK16rocblas_bfloat16S4_KPS1_EEvlllT_PT11_llS9_llS7_PT12_llPT13_lli: ; @_ZN12_GLOBAL__N_135rocblas_gemm_batched_general_kernelIfLi16ELi16ELi32ELi32ELi8ELi32ELi8ELi8ELi32ELc84ELc67EKPK16rocblas_bfloat16S4_KPS1_EEvlllT_PT11_llS9_llS7_PT12_llPT13_lli
; %bb.0:
	s_load_b32 s33, s[0:1], 0x88
	s_bfe_u32 s2, ttmp6, 0x40014
	s_lshr_b32 s3, ttmp7, 16
	s_add_co_i32 s2, s2, 1
	s_bfe_u32 s5, ttmp6, 0x40008
	s_mul_i32 s4, s3, s2
	s_getreg_b32 s2, hwreg(HW_REG_IB_STS2, 6, 4)
	s_add_co_i32 s5, s5, s4
	s_cmp_eq_u32 s2, 0
	s_mov_b32 s35, 0
	s_cselect_b32 s34, s3, s5
	s_wait_kmcnt 0x0
	s_cmp_ge_i32 s34, s33
	s_cbranch_scc1 .LBB166_74
; %bb.1:
	v_bfe_u32 v10, v0, 10, 10
	v_and_b32_e32 v12, 0x3ff, v0
	s_clause 0x6
	s_load_b128 s[4:7], s[0:1], 0x0
	s_load_b96 s[36:38], s[0:1], 0x10
	s_load_b256 s[8:15], s[0:1], 0x20
	s_load_b128 s[24:27], s[0:1], 0x40
	s_load_b32 s39, s[0:1], 0x50
	s_load_b128 s[28:31], s[0:1], 0x78
	s_load_b256 s[16:23], s[0:1], 0x58
	s_wait_xcnt 0x0
	s_bfe_u32 s0, ttmp6, 0x4000c
	s_bfe_u32 s3, ttmp6, 0x40010
	s_add_co_i32 s0, s0, 1
	s_and_b32 s40, ttmp7, 0xffff
	s_add_co_i32 s3, s3, 1
	s_and_b32 s1, ttmp6, 15
	s_mul_i32 s0, ttmp9, s0
	s_mul_i32 s3, s40, s3
	s_bfe_u32 s41, ttmp6, 0x40004
	v_lshl_add_u32 v6, v10, 4, v12
	s_add_co_i32 s1, s1, s0
	s_add_co_i32 s41, s41, s3
	s_cmp_eq_u32 s2, 0
	s_delay_alu instid0(VALU_DEP_1) | instskip(SKIP_3) | instid1(VALU_DEP_1)
	v_dual_mov_b32 v1, 0 :: v_dual_bitop2_b32 v8, 31, v6 bitop3:0x40
	s_cselect_b32 s0, ttmp9, s1
	s_cselect_b32 s41, s40, s41
	s_ashr_i32 s1, s0, 31
	v_dual_mov_b32 v11, v1 :: v_dual_bitop2_b32 v2, 7, v0 bitop3:0x40
	v_dual_mov_b32 v3, v1 :: v_dual_lshrrev_b32 v0, 5, v6
	s_lshl_b64 s[2:3], s[0:1], 5
	v_dual_mov_b32 v17, v1 :: v_dual_lshrrev_b32 v16, 3, v6
	v_dual_mov_b32 v5, s3 :: v_dual_bitop2_b32 v4, s2, v8 bitop3:0x54
	s_wait_kmcnt 0x0
	v_mul_u64_e32 v[14:15], s[24:25], v[2:3]
	v_dual_lshlrev_b32 v9, 2, v2 :: v_dual_lshlrev_b32 v8, 2, v8
	s_lshl_b32 s0, s41, 5
	v_mul_u64_e32 v[18:19], s[10:11], v[4:5]
	s_mov_b32 s1, s35
	s_delay_alu instid0(VALU_DEP_2)
	v_lshl_or_b32 v9, v16, 5, v9
	v_add_nc_u64_e32 v[6:7], s[0:1], v[16:17]
	v_add_nc_u64_e32 v[20:21], s[0:1], v[10:11]
	v_dual_mov_b32 v13, v1 :: v_dual_lshlrev_b32 v28, 2, v12
	v_lshl_or_b32 v26, v0, 7, v8
	v_add_nc_u32_e32 v27, 0x400, v9
	v_cmp_gt_i64_e64 s0, s[4:5], v[4:5]
	v_cmp_gt_i64_e64 s1, s[6:7], v[6:7]
	v_mul_u64_e32 v[6:7], s[28:29], v[20:21]
	v_mul_u64_e32 v[8:9], s[18:19], v[20:21]
	v_add_nc_u64_e32 v[4:5], s[2:3], v[12:13]
	s_cmp_eq_f32 s39, 0
	v_lshl_add_u32 v29, v10, 5, 0x400
	s_mov_b32 s11, s35
	v_cmp_gt_i64_e64 s2, s[6:7], v[20:21]
	s_cselect_b32 s40, -1, 0
	s_lshl_b32 s10, s41, 6
	v_add_nc_u64_e32 v[10:11], 16, v[4:5]
	s_lshl_b64 s[26:27], s[26:27], 1
	v_cmp_gt_i64_e64 s3, s[4:5], v[4:5]
	s_add_nc_u64 s[10:11], s[26:27], s[10:11]
	v_cmp_gt_i64_e64 s26, s[36:37], 0
	s_lshl_b64 s[20:21], s[20:21], 1
	v_cmp_gt_i64_e64 s4, s[4:5], v[10:11]
	v_add_nc_u64_e32 v[10:11], 16, v[20:21]
	v_lshl_add_u64 v[12:13], v[14:15], 1, s[10:11]
	s_lshl_b64 s[10:11], s[12:13], 1
	v_dual_mov_b32 v15, v1 :: v_dual_lshlrev_b32 v14, 1, v16
	v_lshl_add_u64 v[16:17], v[18:19], 1, s[10:11]
	v_dual_mov_b32 v19, v1 :: v_dual_lshlrev_b32 v18, 1, v0
	v_cmp_gt_i64_e64 s5, s[6:7], v[10:11]
	s_delay_alu instid0(VALU_DEP_4)
	v_add_nc_u64_e32 v[10:11], v[12:13], v[14:15]
	s_lshl_b64 s[6:7], s[28:29], 4
	s_lshl_b64 s[10:11], s[18:19], 4
	v_add_nc_u64_e32 v[12:13], v[16:17], v[18:19]
	s_lshl_b64 s[12:13], s[24:25], 4
	s_lshl_b64 s[18:19], s[30:31], 1
	s_branch .LBB166_5
.LBB166_2:                              ;   in Loop: Header=BB166_5 Depth=1
	s_or_b32 exec_lo, exec_lo, s25
	flat_store_d16_hi_b16 v[16:17], v15 offset:32
.LBB166_3:                              ;   in Loop: Header=BB166_5 Depth=1
	s_wait_xcnt 0x0
	s_or_b32 exec_lo, exec_lo, s24
.LBB166_4:                              ;   in Loop: Header=BB166_5 Depth=1
	s_add_co_i32 s34, s34, 0x10000
	s_delay_alu instid0(SALU_CYCLE_1)
	s_cmp_lt_i32 s34, s33
	s_cbranch_scc0 .LBB166_74
.LBB166_5:                              ; =>This Loop Header: Depth=1
                                        ;     Child Loop BB166_8 Depth 2
	v_dual_mov_b32 v14, s34 :: v_dual_mov_b32 v17, 0
	v_dual_mov_b32 v16, 0 :: v_dual_mov_b32 v15, 0
	s_and_not1_b32 vcc_lo, exec_lo, s26
	s_clause 0x1
	global_load_b64 v[18:19], v14, s[16:17] scale_offset
	global_load_b64 v[20:21], v14, s[22:23] scale_offset
	s_wait_xcnt 0x0
	v_mov_b32_e32 v14, 0
	s_cbranch_vccnz .LBB166_12
; %bb.6:                                ;   in Loop: Header=BB166_5 Depth=1
	s_lshl_b64 s[24:25], s[34:35], 3
	v_mov_b32_e32 v16, 0
	s_add_nc_u64 s[28:29], s[14:15], s[24:25]
	s_add_nc_u64 s[24:25], s[8:9], s[24:25]
	s_clause 0x1
	global_load_b64 v[14:15], v1, s[28:29]
	global_load_b64 v[24:25], v1, s[24:25]
	s_wait_xcnt 0x0
	s_mov_b64 s[24:25], 0
	v_mov_b32_e32 v17, v16
	s_wait_loadcnt 0x1
	v_add_nc_u64_e32 v[22:23], v[14:15], v[10:11]
	s_wait_loadcnt 0x0
	v_add_nc_u64_e32 v[24:25], v[24:25], v[12:13]
	v_dual_mov_b32 v14, v16 :: v_dual_mov_b32 v15, v16
	s_branch .LBB166_8
.LBB166_7:                              ;   in Loop: Header=BB166_8 Depth=2
	s_wait_xcnt 0x0
	s_or_b32 exec_lo, exec_lo, s27
	ds_store_b32 v27, v31
	s_wait_dscnt 0x0
	s_barrier_signal -1
	s_barrier_wait -1
	ds_load_b128 v[30:33], v29
	ds_load_2addr_b32 v[46:47], v28 offset1:16
	ds_load_b128 v[34:37], v29 offset:512
	ds_load_2addr_b32 v[48:49], v28 offset0:32 offset1:48
	ds_load_2addr_b32 v[50:51], v28 offset0:64 offset1:80
	;; [unrolled: 1-line block ×3, first 2 shown]
	ds_load_b128 v[38:41], v29 offset:16
	ds_load_2addr_b32 v[54:55], v28 offset0:128 offset1:144
	ds_load_b128 v[42:45], v29 offset:528
	s_add_nc_u64 s[24:25], s[24:25], 8
	v_add_nc_u64_e32 v[22:23], s[12:13], v[22:23]
	v_cmp_lt_i64_e64 s27, s[24:25], s[36:37]
	v_add_nc_u64_e32 v[24:25], 16, v[24:25]
	s_and_b32 vcc_lo, exec_lo, s27
	s_wait_dscnt 0x7
	v_pk_fma_f32 v[16:17], v[46:47], v[30:31], v[16:17] op_sel_hi:[1,0,1]
	s_wait_dscnt 0x6
	v_pk_fma_f32 v[14:15], v[46:47], v[34:35], v[14:15] op_sel_hi:[1,0,1]
	ds_load_2addr_b32 v[46:47], v28 offset0:160 offset1:176
	s_wait_dscnt 0x6
	v_pk_fma_f32 v[16:17], v[48:49], v[30:31], v[16:17] op_sel:[0,1,0]
	v_pk_fma_f32 v[14:15], v[48:49], v[34:35], v[14:15] op_sel:[0,1,0]
	ds_load_2addr_b32 v[30:31], v28 offset0:192 offset1:208
	v_dual_mov_b32 v34, v33 :: v_dual_mov_b32 v48, v37
	s_wait_dscnt 0x6
	v_pk_fma_f32 v[16:17], v[50:51], v[32:33], v[16:17] op_sel_hi:[1,0,1]
	v_pk_fma_f32 v[14:15], v[50:51], v[36:37], v[14:15] op_sel_hi:[1,0,1]
	ds_load_2addr_b32 v[32:33], v28 offset0:224 offset1:240
	s_wait_dscnt 0x3
	v_mov_b32_e32 v36, v45
	s_wait_dscnt 0x0
	v_pk_fma_f32 v[16:17], v[52:53], v[34:35], v[16:17] op_sel_hi:[1,0,1]
	v_pk_fma_f32 v[14:15], v[52:53], v[48:49], v[14:15] op_sel_hi:[1,0,1]
	v_mov_b32_e32 v34, v41
	s_barrier_signal -1
	s_barrier_wait -1
	v_pk_fma_f32 v[16:17], v[54:55], v[38:39], v[16:17] op_sel_hi:[1,0,1]
	v_pk_fma_f32 v[14:15], v[54:55], v[42:43], v[14:15] op_sel_hi:[1,0,1]
	s_delay_alu instid0(VALU_DEP_2) | instskip(NEXT) | instid1(VALU_DEP_2)
	v_pk_fma_f32 v[16:17], v[46:47], v[38:39], v[16:17] op_sel:[0,1,0]
	v_pk_fma_f32 v[14:15], v[46:47], v[42:43], v[14:15] op_sel:[0,1,0]
	s_delay_alu instid0(VALU_DEP_2) | instskip(NEXT) | instid1(VALU_DEP_2)
	v_pk_fma_f32 v[16:17], v[30:31], v[40:41], v[16:17] op_sel_hi:[1,0,1]
	v_pk_fma_f32 v[14:15], v[30:31], v[44:45], v[14:15] op_sel_hi:[1,0,1]
	s_delay_alu instid0(VALU_DEP_2) | instskip(NEXT) | instid1(VALU_DEP_2)
	v_pk_fma_f32 v[16:17], v[32:33], v[34:35], v[16:17] op_sel_hi:[1,0,1]
	v_pk_fma_f32 v[14:15], v[32:33], v[36:37], v[14:15] op_sel_hi:[1,0,1]
	s_cbranch_vccz .LBB166_12
.LBB166_8:                              ;   Parent Loop BB166_5 Depth=1
                                        ; =>  This Inner Loop Header: Depth=2
	v_add_nc_u64_e32 v[30:31], s[24:25], v[0:1]
	s_delay_alu instid0(VALU_DEP_1) | instskip(SKIP_2) | instid1(SALU_CYCLE_1)
	v_cmp_gt_i64_e32 vcc_lo, s[36:37], v[30:31]
	v_mov_b32_e32 v30, 0
	s_and_b32 s28, s0, vcc_lo
	s_and_saveexec_b32 s27, s28
	s_cbranch_execz .LBB166_10
; %bb.9:                                ;   in Loop: Header=BB166_8 Depth=2
	flat_load_u16 v30, v[24:25]
	s_wait_loadcnt_dscnt 0x0
	v_lshlrev_b32_e32 v30, 16, v30
.LBB166_10:                             ;   in Loop: Header=BB166_8 Depth=2
	s_wait_xcnt 0x0
	s_or_b32 exec_lo, exec_lo, s27
	v_add_nc_u64_e32 v[32:33], s[24:25], v[2:3]
	v_mov_b32_e32 v31, 0
	ds_store_b32 v26, v30
	v_cmp_gt_i64_e32 vcc_lo, s[36:37], v[32:33]
	s_and_b32 s28, vcc_lo, s1
	s_delay_alu instid0(SALU_CYCLE_1)
	s_and_saveexec_b32 s27, s28
	s_cbranch_execz .LBB166_7
; %bb.11:                               ;   in Loop: Header=BB166_8 Depth=2
	flat_load_u16 v30, v[22:23]
	s_wait_loadcnt_dscnt 0x0
	v_lshlrev_b32_e32 v31, 16, v30
	s_branch .LBB166_7
.LBB166_12:                             ;   in Loop: Header=BB166_5 Depth=1
	s_wait_loadcnt 0x0
	v_add_nc_u64_e32 v[20:21], s[18:19], v[20:21]
	s_and_not1_b32 vcc_lo, exec_lo, s40
	s_cbranch_vccnz .LBB166_17
; %bb.13:                               ;   in Loop: Header=BB166_5 Depth=1
	s_and_saveexec_b32 s24, s2
	s_cbranch_execz .LBB166_32
; %bb.14:                               ;   in Loop: Header=BB166_5 Depth=1
	s_delay_alu instid0(VALU_DEP_1)
	v_lshl_add_u64 v[22:23], v[6:7], 1, v[20:21]
	s_and_saveexec_b32 s25, s3
	s_cbranch_execnz .LBB166_18
; %bb.15:                               ;   in Loop: Header=BB166_5 Depth=1
	s_or_b32 exec_lo, exec_lo, s25
	s_and_saveexec_b32 s25, s4
	s_cbranch_execnz .LBB166_23
.LBB166_16:                             ;   in Loop: Header=BB166_5 Depth=1
	s_or_b32 exec_lo, exec_lo, s25
	s_delay_alu instid0(SALU_CYCLE_1)
	s_and_b32 exec_lo, exec_lo, s5
	s_cbranch_execnz .LBB166_28
	s_branch .LBB166_32
.LBB166_17:                             ;   in Loop: Header=BB166_5 Depth=1
	s_branch .LBB166_33
.LBB166_18:                             ;   in Loop: Header=BB166_5 Depth=1
	v_mul_f32_e32 v24, s38, v16
	s_delay_alu instid0(VALU_DEP_1) | instskip(NEXT) | instid1(VALU_DEP_1)
	v_and_b32_e32 v25, 0x7f800000, v24
	v_cmp_ne_u32_e32 vcc_lo, 0x7f800000, v25
                                        ; implicit-def: $vgpr25
	s_and_saveexec_b32 s27, vcc_lo
	s_delay_alu instid0(SALU_CYCLE_1)
	s_xor_b32 s27, exec_lo, s27
; %bb.19:                               ;   in Loop: Header=BB166_5 Depth=1
	v_bfe_u32 v25, v24, 16, 1
	s_delay_alu instid0(VALU_DEP_1)
	v_add3_u32 v25, v24, v25, 0x7fff
                                        ; implicit-def: $vgpr24
; %bb.20:                               ;   in Loop: Header=BB166_5 Depth=1
	s_and_not1_saveexec_b32 s27, s27
; %bb.21:                               ;   in Loop: Header=BB166_5 Depth=1
	v_and_b32_e32 v25, 0xffff, v24
	v_or_b32_e32 v30, 0x10000, v24
	s_delay_alu instid0(VALU_DEP_2) | instskip(NEXT) | instid1(VALU_DEP_2)
	v_cmp_eq_u32_e32 vcc_lo, 0, v25
	v_cndmask_b32_e32 v25, v30, v24, vcc_lo
; %bb.22:                               ;   in Loop: Header=BB166_5 Depth=1
	s_or_b32 exec_lo, exec_lo, s27
	v_lshl_add_u64 v[30:31], v[4:5], 1, v[22:23]
	flat_store_d16_hi_b16 v[30:31], v25
	s_wait_xcnt 0x0
	s_or_b32 exec_lo, exec_lo, s25
	s_and_saveexec_b32 s25, s4
	s_cbranch_execz .LBB166_16
.LBB166_23:                             ;   in Loop: Header=BB166_5 Depth=1
	v_mul_f32_e32 v24, s38, v17
	s_delay_alu instid0(VALU_DEP_1) | instskip(NEXT) | instid1(VALU_DEP_1)
	v_and_b32_e32 v25, 0x7f800000, v24
	v_cmp_ne_u32_e32 vcc_lo, 0x7f800000, v25
                                        ; implicit-def: $vgpr25
	s_and_saveexec_b32 s27, vcc_lo
	s_delay_alu instid0(SALU_CYCLE_1)
	s_xor_b32 s27, exec_lo, s27
; %bb.24:                               ;   in Loop: Header=BB166_5 Depth=1
	v_bfe_u32 v25, v24, 16, 1
	s_delay_alu instid0(VALU_DEP_1)
	v_add3_u32 v25, v24, v25, 0x7fff
                                        ; implicit-def: $vgpr24
; %bb.25:                               ;   in Loop: Header=BB166_5 Depth=1
	s_and_not1_saveexec_b32 s27, s27
; %bb.26:                               ;   in Loop: Header=BB166_5 Depth=1
	v_and_b32_e32 v25, 0xffff, v24
	v_or_b32_e32 v30, 0x10000, v24
	s_delay_alu instid0(VALU_DEP_2) | instskip(NEXT) | instid1(VALU_DEP_2)
	v_cmp_eq_u32_e32 vcc_lo, 0, v25
	v_cndmask_b32_e32 v25, v30, v24, vcc_lo
; %bb.27:                               ;   in Loop: Header=BB166_5 Depth=1
	s_or_b32 exec_lo, exec_lo, s27
	v_lshl_add_u64 v[30:31], v[4:5], 1, v[22:23]
	flat_store_d16_hi_b16 v[30:31], v25 offset:32
	s_wait_xcnt 0x0
	s_or_b32 exec_lo, exec_lo, s25
	s_delay_alu instid0(SALU_CYCLE_1)
	s_and_b32 exec_lo, exec_lo, s5
	s_cbranch_execz .LBB166_32
.LBB166_28:                             ;   in Loop: Header=BB166_5 Depth=1
	v_lshl_add_u64 v[22:23], s[6:7], 1, v[22:23]
	s_delay_alu instid0(VALU_DEP_1)
	v_lshl_add_u64 v[22:23], v[4:5], 1, v[22:23]
	s_and_saveexec_b32 s25, s3
	s_cbranch_execz .LBB166_30
; %bb.29:                               ;   in Loop: Header=BB166_5 Depth=1
	v_mul_f32_e32 v24, s38, v14
	s_delay_alu instid0(VALU_DEP_1) | instskip(SKIP_3) | instid1(VALU_DEP_4)
	v_and_b32_e32 v30, 0xffff, v24
	v_bfe_u32 v25, v24, 16, 1
	v_or_b32_e32 v31, 0x10000, v24
	v_and_b32_e32 v32, 0x7f800000, v24
	v_cmp_eq_u32_e32 vcc_lo, 0, v30
	s_delay_alu instid0(VALU_DEP_4) | instskip(NEXT) | instid1(VALU_DEP_4)
	v_add3_u32 v25, v24, v25, 0x7fff
	v_cndmask_b32_e32 v24, v31, v24, vcc_lo
	s_delay_alu instid0(VALU_DEP_4) | instskip(NEXT) | instid1(VALU_DEP_2)
	v_cmp_eq_u32_e32 vcc_lo, 0x7f800000, v32
	v_cndmask_b32_e32 v24, v25, v24, vcc_lo
	flat_store_d16_hi_b16 v[22:23], v24
.LBB166_30:                             ;   in Loop: Header=BB166_5 Depth=1
	s_wait_xcnt 0x0
	s_or_b32 exec_lo, exec_lo, s25
	s_delay_alu instid0(SALU_CYCLE_1)
	s_and_b32 exec_lo, exec_lo, s4
	s_cbranch_execz .LBB166_32
; %bb.31:                               ;   in Loop: Header=BB166_5 Depth=1
	v_mul_f32_e32 v24, s38, v15
	s_delay_alu instid0(VALU_DEP_1) | instskip(SKIP_3) | instid1(VALU_DEP_4)
	v_and_b32_e32 v30, 0xffff, v24
	v_bfe_u32 v25, v24, 16, 1
	v_or_b32_e32 v31, 0x10000, v24
	v_and_b32_e32 v32, 0x7f800000, v24
	v_cmp_eq_u32_e32 vcc_lo, 0, v30
	s_delay_alu instid0(VALU_DEP_4) | instskip(NEXT) | instid1(VALU_DEP_4)
	v_add3_u32 v25, v24, v25, 0x7fff
	v_cndmask_b32_e32 v24, v31, v24, vcc_lo
	s_delay_alu instid0(VALU_DEP_4) | instskip(NEXT) | instid1(VALU_DEP_2)
	v_cmp_eq_u32_e32 vcc_lo, 0x7f800000, v32
	v_cndmask_b32_e32 v24, v25, v24, vcc_lo
	flat_store_d16_hi_b16 v[22:23], v24 offset:32
.LBB166_32:                             ;   in Loop: Header=BB166_5 Depth=1
	s_wait_xcnt 0x0
	s_or_b32 exec_lo, exec_lo, s24
	s_cbranch_execnz .LBB166_4
.LBB166_33:                             ;   in Loop: Header=BB166_5 Depth=1
	s_and_saveexec_b32 s24, s2
	s_cbranch_execz .LBB166_3
; %bb.34:                               ;   in Loop: Header=BB166_5 Depth=1
	v_add_nc_u64_e32 v[18:19], s[20:21], v[18:19]
	v_lshl_add_u64 v[20:21], v[6:7], 1, v[20:21]
	s_delay_alu instid0(VALU_DEP_2) | instskip(NEXT) | instid1(VALU_DEP_1)
	v_lshl_add_u64 v[18:19], v[8:9], 1, v[18:19]
	v_lshl_add_u64 v[22:23], v[4:5], 1, v[18:19]
	s_and_saveexec_b32 s25, s3
	s_cbranch_execnz .LBB166_37
; %bb.35:                               ;   in Loop: Header=BB166_5 Depth=1
	s_or_b32 exec_lo, exec_lo, s25
	s_and_saveexec_b32 s25, s4
	s_cbranch_execnz .LBB166_46
.LBB166_36:                             ;   in Loop: Header=BB166_5 Depth=1
	s_or_b32 exec_lo, exec_lo, s25
	s_delay_alu instid0(SALU_CYCLE_1)
	s_and_b32 exec_lo, exec_lo, s5
	s_cbranch_execz .LBB166_3
	s_branch .LBB166_55
.LBB166_37:                             ;   in Loop: Header=BB166_5 Depth=1
	flat_load_u16 v24, v[22:23]
	s_wait_loadcnt_dscnt 0x0
	v_lshlrev_b32_e32 v24, 16, v24
	s_delay_alu instid0(VALU_DEP_1) | instskip(NEXT) | instid1(VALU_DEP_1)
	v_mul_f32_e32 v24, s39, v24
	v_and_b32_e32 v25, 0x7f800000, v24
	s_delay_alu instid0(VALU_DEP_1) | instskip(SKIP_2) | instid1(SALU_CYCLE_1)
	v_cmp_ne_u32_e32 vcc_lo, 0x7f800000, v25
                                        ; implicit-def: $vgpr25
	s_wait_xcnt 0x0
	s_and_saveexec_b32 s27, vcc_lo
	s_xor_b32 s27, exec_lo, s27
; %bb.38:                               ;   in Loop: Header=BB166_5 Depth=1
	v_bfe_u32 v25, v24, 16, 1
	s_delay_alu instid0(VALU_DEP_1)
	v_add3_u32 v25, v24, v25, 0x7fff
                                        ; implicit-def: $vgpr24
; %bb.39:                               ;   in Loop: Header=BB166_5 Depth=1
	s_and_not1_saveexec_b32 s27, s27
; %bb.40:                               ;   in Loop: Header=BB166_5 Depth=1
	v_and_b32_e32 v25, 0xffff, v24
	v_or_b32_e32 v30, 0x10000, v24
	s_delay_alu instid0(VALU_DEP_2) | instskip(NEXT) | instid1(VALU_DEP_2)
	v_cmp_eq_u32_e32 vcc_lo, 0, v25
	v_cndmask_b32_e32 v25, v30, v24, vcc_lo
; %bb.41:                               ;   in Loop: Header=BB166_5 Depth=1
	s_or_b32 exec_lo, exec_lo, s27
	s_delay_alu instid0(VALU_DEP_1) | instskip(NEXT) | instid1(VALU_DEP_1)
	v_fma_mix_f32_bf16 v16, s38, v16, v25 op_sel:[0,0,1] op_sel_hi:[0,0,1]
	v_and_b32_e32 v24, 0x7f800000, v16
	s_delay_alu instid0(VALU_DEP_1) | instskip(SKIP_1) | instid1(SALU_CYCLE_1)
	v_cmp_ne_u32_e32 vcc_lo, 0x7f800000, v24
                                        ; implicit-def: $vgpr24
	s_and_saveexec_b32 s27, vcc_lo
	s_xor_b32 s27, exec_lo, s27
; %bb.42:                               ;   in Loop: Header=BB166_5 Depth=1
	v_bfe_u32 v24, v16, 16, 1
	s_delay_alu instid0(VALU_DEP_1)
	v_add3_u32 v24, v16, v24, 0x7fff
                                        ; implicit-def: $vgpr16
; %bb.43:                               ;   in Loop: Header=BB166_5 Depth=1
	s_and_not1_saveexec_b32 s27, s27
; %bb.44:                               ;   in Loop: Header=BB166_5 Depth=1
	v_and_b32_e32 v24, 0xffff, v16
	v_or_b32_e32 v25, 0x10000, v16
	s_delay_alu instid0(VALU_DEP_2) | instskip(NEXT) | instid1(VALU_DEP_2)
	v_cmp_eq_u32_e32 vcc_lo, 0, v24
	v_cndmask_b32_e32 v24, v25, v16, vcc_lo
; %bb.45:                               ;   in Loop: Header=BB166_5 Depth=1
	s_or_b32 exec_lo, exec_lo, s27
	v_lshl_add_u64 v[30:31], v[4:5], 1, v[20:21]
	flat_store_d16_hi_b16 v[30:31], v24
	s_wait_xcnt 0x0
	s_or_b32 exec_lo, exec_lo, s25
	s_and_saveexec_b32 s25, s4
	s_cbranch_execz .LBB166_36
.LBB166_46:                             ;   in Loop: Header=BB166_5 Depth=1
	flat_load_u16 v16, v[22:23] offset:32
	s_wait_loadcnt_dscnt 0x0
	v_lshlrev_b32_e32 v16, 16, v16
	s_delay_alu instid0(VALU_DEP_1) | instskip(SKIP_1) | instid1(VALU_DEP_1)
	v_mul_f32_e32 v16, s39, v16
	s_wait_xcnt 0x0
	v_and_b32_e32 v22, 0x7f800000, v16
	s_delay_alu instid0(VALU_DEP_1) | instskip(SKIP_1) | instid1(SALU_CYCLE_1)
	v_cmp_ne_u32_e32 vcc_lo, 0x7f800000, v22
                                        ; implicit-def: $vgpr22
	s_and_saveexec_b32 s27, vcc_lo
	s_xor_b32 s27, exec_lo, s27
; %bb.47:                               ;   in Loop: Header=BB166_5 Depth=1
	v_bfe_u32 v22, v16, 16, 1
	s_delay_alu instid0(VALU_DEP_1)
	v_add3_u32 v22, v16, v22, 0x7fff
                                        ; implicit-def: $vgpr16
; %bb.48:                               ;   in Loop: Header=BB166_5 Depth=1
	s_and_not1_saveexec_b32 s27, s27
; %bb.49:                               ;   in Loop: Header=BB166_5 Depth=1
	v_and_b32_e32 v22, 0xffff, v16
	v_or_b32_e32 v23, 0x10000, v16
	s_delay_alu instid0(VALU_DEP_2) | instskip(NEXT) | instid1(VALU_DEP_2)
	v_cmp_eq_u32_e32 vcc_lo, 0, v22
	v_cndmask_b32_e32 v22, v23, v16, vcc_lo
; %bb.50:                               ;   in Loop: Header=BB166_5 Depth=1
	s_or_b32 exec_lo, exec_lo, s27
	s_delay_alu instid0(VALU_DEP_1) | instskip(NEXT) | instid1(VALU_DEP_1)
	v_fma_mix_f32_bf16 v16, s38, v17, v22 op_sel:[0,0,1] op_sel_hi:[0,0,1]
	v_and_b32_e32 v17, 0x7f800000, v16
	s_delay_alu instid0(VALU_DEP_1) | instskip(SKIP_1) | instid1(SALU_CYCLE_1)
	v_cmp_ne_u32_e32 vcc_lo, 0x7f800000, v17
                                        ; implicit-def: $vgpr17
	s_and_saveexec_b32 s27, vcc_lo
	s_xor_b32 s27, exec_lo, s27
; %bb.51:                               ;   in Loop: Header=BB166_5 Depth=1
	v_bfe_u32 v17, v16, 16, 1
	s_delay_alu instid0(VALU_DEP_1)
	v_add3_u32 v17, v16, v17, 0x7fff
                                        ; implicit-def: $vgpr16
; %bb.52:                               ;   in Loop: Header=BB166_5 Depth=1
	s_and_not1_saveexec_b32 s27, s27
; %bb.53:                               ;   in Loop: Header=BB166_5 Depth=1
	v_and_b32_e32 v17, 0xffff, v16
	v_or_b32_e32 v22, 0x10000, v16
	s_delay_alu instid0(VALU_DEP_2) | instskip(NEXT) | instid1(VALU_DEP_2)
	v_cmp_eq_u32_e32 vcc_lo, 0, v17
	v_cndmask_b32_e32 v17, v22, v16, vcc_lo
; %bb.54:                               ;   in Loop: Header=BB166_5 Depth=1
	s_or_b32 exec_lo, exec_lo, s27
	v_lshl_add_u64 v[22:23], v[4:5], 1, v[20:21]
	flat_store_d16_hi_b16 v[22:23], v17 offset:32
	s_wait_xcnt 0x0
	s_or_b32 exec_lo, exec_lo, s25
	s_delay_alu instid0(SALU_CYCLE_1)
	s_and_b32 exec_lo, exec_lo, s5
	s_cbranch_execz .LBB166_3
.LBB166_55:                             ;   in Loop: Header=BB166_5 Depth=1
	v_lshlrev_b64_e32 v[16:17], 1, v[4:5]
	v_lshl_add_u64 v[18:19], s[10:11], 1, v[18:19]
	v_lshl_add_u64 v[20:21], s[6:7], 1, v[20:21]
	s_delay_alu instid0(VALU_DEP_2) | instskip(NEXT) | instid1(VALU_DEP_2)
	v_add_nc_u64_e32 v[18:19], v[18:19], v[16:17]
	v_add_nc_u64_e32 v[16:17], v[20:21], v[16:17]
	s_and_saveexec_b32 s25, s3
	s_cbranch_execz .LBB166_65
; %bb.56:                               ;   in Loop: Header=BB166_5 Depth=1
	flat_load_u16 v20, v[18:19]
	s_wait_loadcnt_dscnt 0x0
	v_lshlrev_b32_e32 v20, 16, v20
	s_delay_alu instid0(VALU_DEP_1) | instskip(NEXT) | instid1(VALU_DEP_1)
	v_mul_f32_e32 v20, s39, v20
	v_and_b32_e32 v21, 0x7f800000, v20
	s_delay_alu instid0(VALU_DEP_1) | instskip(SKIP_2) | instid1(SALU_CYCLE_1)
	v_cmp_ne_u32_e32 vcc_lo, 0x7f800000, v21
                                        ; implicit-def: $vgpr21
	s_wait_xcnt 0x0
	s_and_saveexec_b32 s27, vcc_lo
	s_xor_b32 s27, exec_lo, s27
; %bb.57:                               ;   in Loop: Header=BB166_5 Depth=1
	v_bfe_u32 v21, v20, 16, 1
	s_delay_alu instid0(VALU_DEP_1)
	v_add3_u32 v21, v20, v21, 0x7fff
                                        ; implicit-def: $vgpr20
; %bb.58:                               ;   in Loop: Header=BB166_5 Depth=1
	s_and_not1_saveexec_b32 s27, s27
; %bb.59:                               ;   in Loop: Header=BB166_5 Depth=1
	v_and_b32_e32 v21, 0xffff, v20
	v_or_b32_e32 v22, 0x10000, v20
	s_delay_alu instid0(VALU_DEP_2) | instskip(NEXT) | instid1(VALU_DEP_2)
	v_cmp_eq_u32_e32 vcc_lo, 0, v21
	v_cndmask_b32_e32 v21, v22, v20, vcc_lo
; %bb.60:                               ;   in Loop: Header=BB166_5 Depth=1
	s_or_b32 exec_lo, exec_lo, s27
	s_delay_alu instid0(VALU_DEP_1) | instskip(NEXT) | instid1(VALU_DEP_1)
	v_fma_mix_f32_bf16 v14, s38, v14, v21 op_sel:[0,0,1] op_sel_hi:[0,0,1]
	v_and_b32_e32 v20, 0x7f800000, v14
	s_delay_alu instid0(VALU_DEP_1) | instskip(SKIP_1) | instid1(SALU_CYCLE_1)
	v_cmp_ne_u32_e32 vcc_lo, 0x7f800000, v20
                                        ; implicit-def: $vgpr20
	s_and_saveexec_b32 s27, vcc_lo
	s_xor_b32 s27, exec_lo, s27
; %bb.61:                               ;   in Loop: Header=BB166_5 Depth=1
	v_bfe_u32 v20, v14, 16, 1
	s_delay_alu instid0(VALU_DEP_1)
	v_add3_u32 v20, v14, v20, 0x7fff
                                        ; implicit-def: $vgpr14
; %bb.62:                               ;   in Loop: Header=BB166_5 Depth=1
	s_and_not1_saveexec_b32 s27, s27
; %bb.63:                               ;   in Loop: Header=BB166_5 Depth=1
	v_and_b32_e32 v20, 0xffff, v14
	v_or_b32_e32 v21, 0x10000, v14
	s_delay_alu instid0(VALU_DEP_2) | instskip(NEXT) | instid1(VALU_DEP_2)
	v_cmp_eq_u32_e32 vcc_lo, 0, v20
	v_cndmask_b32_e32 v20, v21, v14, vcc_lo
; %bb.64:                               ;   in Loop: Header=BB166_5 Depth=1
	s_or_b32 exec_lo, exec_lo, s27
	flat_store_d16_hi_b16 v[16:17], v20
.LBB166_65:                             ;   in Loop: Header=BB166_5 Depth=1
	s_wait_xcnt 0x0
	s_or_b32 exec_lo, exec_lo, s25
	s_delay_alu instid0(SALU_CYCLE_1)
	s_and_b32 exec_lo, exec_lo, s4
	s_cbranch_execz .LBB166_3
; %bb.66:                               ;   in Loop: Header=BB166_5 Depth=1
	flat_load_u16 v14, v[18:19] offset:32
	s_wait_loadcnt_dscnt 0x0
	v_lshlrev_b32_e32 v14, 16, v14
	s_delay_alu instid0(VALU_DEP_1) | instskip(SKIP_1) | instid1(VALU_DEP_1)
	v_mul_f32_e32 v14, s39, v14
	s_wait_xcnt 0x0
	v_and_b32_e32 v18, 0x7f800000, v14
	s_delay_alu instid0(VALU_DEP_1) | instskip(SKIP_1) | instid1(SALU_CYCLE_1)
	v_cmp_ne_u32_e32 vcc_lo, 0x7f800000, v18
                                        ; implicit-def: $vgpr18
	s_and_saveexec_b32 s25, vcc_lo
	s_xor_b32 s25, exec_lo, s25
; %bb.67:                               ;   in Loop: Header=BB166_5 Depth=1
	v_bfe_u32 v18, v14, 16, 1
	s_delay_alu instid0(VALU_DEP_1)
	v_add3_u32 v18, v14, v18, 0x7fff
                                        ; implicit-def: $vgpr14
; %bb.68:                               ;   in Loop: Header=BB166_5 Depth=1
	s_and_not1_saveexec_b32 s25, s25
; %bb.69:                               ;   in Loop: Header=BB166_5 Depth=1
	v_and_b32_e32 v18, 0xffff, v14
	v_or_b32_e32 v19, 0x10000, v14
	s_delay_alu instid0(VALU_DEP_2) | instskip(NEXT) | instid1(VALU_DEP_2)
	v_cmp_eq_u32_e32 vcc_lo, 0, v18
	v_cndmask_b32_e32 v18, v19, v14, vcc_lo
; %bb.70:                               ;   in Loop: Header=BB166_5 Depth=1
	s_or_b32 exec_lo, exec_lo, s25
	s_delay_alu instid0(VALU_DEP_1) | instskip(NEXT) | instid1(VALU_DEP_1)
	v_fma_mix_f32_bf16 v14, s38, v15, v18 op_sel:[0,0,1] op_sel_hi:[0,0,1]
	v_and_b32_e32 v15, 0x7f800000, v14
	s_delay_alu instid0(VALU_DEP_1) | instskip(SKIP_1) | instid1(SALU_CYCLE_1)
	v_cmp_ne_u32_e32 vcc_lo, 0x7f800000, v15
                                        ; implicit-def: $vgpr15
	s_and_saveexec_b32 s25, vcc_lo
	s_xor_b32 s25, exec_lo, s25
; %bb.71:                               ;   in Loop: Header=BB166_5 Depth=1
	v_bfe_u32 v15, v14, 16, 1
	s_delay_alu instid0(VALU_DEP_1)
	v_add3_u32 v15, v14, v15, 0x7fff
                                        ; implicit-def: $vgpr14
; %bb.72:                               ;   in Loop: Header=BB166_5 Depth=1
	s_and_not1_saveexec_b32 s25, s25
	s_cbranch_execz .LBB166_2
; %bb.73:                               ;   in Loop: Header=BB166_5 Depth=1
	v_and_b32_e32 v15, 0xffff, v14
	v_or_b32_e32 v18, 0x10000, v14
	s_delay_alu instid0(VALU_DEP_2) | instskip(NEXT) | instid1(VALU_DEP_2)
	v_cmp_eq_u32_e32 vcc_lo, 0, v15
	v_cndmask_b32_e32 v15, v18, v14, vcc_lo
	s_branch .LBB166_2
.LBB166_74:
	s_endpgm
	.section	.rodata,"a",@progbits
	.p2align	6, 0x0
	.amdhsa_kernel _ZN12_GLOBAL__N_135rocblas_gemm_batched_general_kernelIfLi16ELi16ELi32ELi32ELi8ELi32ELi8ELi8ELi32ELc84ELc67EKPK16rocblas_bfloat16S4_KPS1_EEvlllT_PT11_llS9_llS7_PT12_llPT13_lli
		.amdhsa_group_segment_fixed_size 2048
		.amdhsa_private_segment_fixed_size 0
		.amdhsa_kernarg_size 140
		.amdhsa_user_sgpr_count 2
		.amdhsa_user_sgpr_dispatch_ptr 0
		.amdhsa_user_sgpr_queue_ptr 0
		.amdhsa_user_sgpr_kernarg_segment_ptr 1
		.amdhsa_user_sgpr_dispatch_id 0
		.amdhsa_user_sgpr_kernarg_preload_length 0
		.amdhsa_user_sgpr_kernarg_preload_offset 0
		.amdhsa_user_sgpr_private_segment_size 0
		.amdhsa_wavefront_size32 1
		.amdhsa_uses_dynamic_stack 0
		.amdhsa_enable_private_segment 0
		.amdhsa_system_sgpr_workgroup_id_x 1
		.amdhsa_system_sgpr_workgroup_id_y 1
		.amdhsa_system_sgpr_workgroup_id_z 1
		.amdhsa_system_sgpr_workgroup_info 0
		.amdhsa_system_vgpr_workitem_id 1
		.amdhsa_next_free_vgpr 56
		.amdhsa_next_free_sgpr 42
		.amdhsa_named_barrier_count 0
		.amdhsa_reserve_vcc 1
		.amdhsa_float_round_mode_32 0
		.amdhsa_float_round_mode_16_64 0
		.amdhsa_float_denorm_mode_32 3
		.amdhsa_float_denorm_mode_16_64 3
		.amdhsa_fp16_overflow 0
		.amdhsa_memory_ordered 1
		.amdhsa_forward_progress 1
		.amdhsa_inst_pref_size 23
		.amdhsa_round_robin_scheduling 0
		.amdhsa_exception_fp_ieee_invalid_op 0
		.amdhsa_exception_fp_denorm_src 0
		.amdhsa_exception_fp_ieee_div_zero 0
		.amdhsa_exception_fp_ieee_overflow 0
		.amdhsa_exception_fp_ieee_underflow 0
		.amdhsa_exception_fp_ieee_inexact 0
		.amdhsa_exception_int_div_zero 0
	.end_amdhsa_kernel
	.section	.text._ZN12_GLOBAL__N_135rocblas_gemm_batched_general_kernelIfLi16ELi16ELi32ELi32ELi8ELi32ELi8ELi8ELi32ELc84ELc67EKPK16rocblas_bfloat16S4_KPS1_EEvlllT_PT11_llS9_llS7_PT12_llPT13_lli,"axG",@progbits,_ZN12_GLOBAL__N_135rocblas_gemm_batched_general_kernelIfLi16ELi16ELi32ELi32ELi8ELi32ELi8ELi8ELi32ELc84ELc67EKPK16rocblas_bfloat16S4_KPS1_EEvlllT_PT11_llS9_llS7_PT12_llPT13_lli,comdat
.Lfunc_end166:
	.size	_ZN12_GLOBAL__N_135rocblas_gemm_batched_general_kernelIfLi16ELi16ELi32ELi32ELi8ELi32ELi8ELi8ELi32ELc84ELc67EKPK16rocblas_bfloat16S4_KPS1_EEvlllT_PT11_llS9_llS7_PT12_llPT13_lli, .Lfunc_end166-_ZN12_GLOBAL__N_135rocblas_gemm_batched_general_kernelIfLi16ELi16ELi32ELi32ELi8ELi32ELi8ELi8ELi32ELc84ELc67EKPK16rocblas_bfloat16S4_KPS1_EEvlllT_PT11_llS9_llS7_PT12_llPT13_lli
                                        ; -- End function
	.set _ZN12_GLOBAL__N_135rocblas_gemm_batched_general_kernelIfLi16ELi16ELi32ELi32ELi8ELi32ELi8ELi8ELi32ELc84ELc67EKPK16rocblas_bfloat16S4_KPS1_EEvlllT_PT11_llS9_llS7_PT12_llPT13_lli.num_vgpr, 56
	.set _ZN12_GLOBAL__N_135rocblas_gemm_batched_general_kernelIfLi16ELi16ELi32ELi32ELi8ELi32ELi8ELi8ELi32ELc84ELc67EKPK16rocblas_bfloat16S4_KPS1_EEvlllT_PT11_llS9_llS7_PT12_llPT13_lli.num_agpr, 0
	.set _ZN12_GLOBAL__N_135rocblas_gemm_batched_general_kernelIfLi16ELi16ELi32ELi32ELi8ELi32ELi8ELi8ELi32ELc84ELc67EKPK16rocblas_bfloat16S4_KPS1_EEvlllT_PT11_llS9_llS7_PT12_llPT13_lli.numbered_sgpr, 42
	.set _ZN12_GLOBAL__N_135rocblas_gemm_batched_general_kernelIfLi16ELi16ELi32ELi32ELi8ELi32ELi8ELi8ELi32ELc84ELc67EKPK16rocblas_bfloat16S4_KPS1_EEvlllT_PT11_llS9_llS7_PT12_llPT13_lli.num_named_barrier, 0
	.set _ZN12_GLOBAL__N_135rocblas_gemm_batched_general_kernelIfLi16ELi16ELi32ELi32ELi8ELi32ELi8ELi8ELi32ELc84ELc67EKPK16rocblas_bfloat16S4_KPS1_EEvlllT_PT11_llS9_llS7_PT12_llPT13_lli.private_seg_size, 0
	.set _ZN12_GLOBAL__N_135rocblas_gemm_batched_general_kernelIfLi16ELi16ELi32ELi32ELi8ELi32ELi8ELi8ELi32ELc84ELc67EKPK16rocblas_bfloat16S4_KPS1_EEvlllT_PT11_llS9_llS7_PT12_llPT13_lli.uses_vcc, 1
	.set _ZN12_GLOBAL__N_135rocblas_gemm_batched_general_kernelIfLi16ELi16ELi32ELi32ELi8ELi32ELi8ELi8ELi32ELc84ELc67EKPK16rocblas_bfloat16S4_KPS1_EEvlllT_PT11_llS9_llS7_PT12_llPT13_lli.uses_flat_scratch, 0
	.set _ZN12_GLOBAL__N_135rocblas_gemm_batched_general_kernelIfLi16ELi16ELi32ELi32ELi8ELi32ELi8ELi8ELi32ELc84ELc67EKPK16rocblas_bfloat16S4_KPS1_EEvlllT_PT11_llS9_llS7_PT12_llPT13_lli.has_dyn_sized_stack, 0
	.set _ZN12_GLOBAL__N_135rocblas_gemm_batched_general_kernelIfLi16ELi16ELi32ELi32ELi8ELi32ELi8ELi8ELi32ELc84ELc67EKPK16rocblas_bfloat16S4_KPS1_EEvlllT_PT11_llS9_llS7_PT12_llPT13_lli.has_recursion, 0
	.set _ZN12_GLOBAL__N_135rocblas_gemm_batched_general_kernelIfLi16ELi16ELi32ELi32ELi8ELi32ELi8ELi8ELi32ELc84ELc67EKPK16rocblas_bfloat16S4_KPS1_EEvlllT_PT11_llS9_llS7_PT12_llPT13_lli.has_indirect_call, 0
	.section	.AMDGPU.csdata,"",@progbits
; Kernel info:
; codeLenInByte = 2908
; TotalNumSgprs: 44
; NumVgprs: 56
; ScratchSize: 0
; MemoryBound: 0
; FloatMode: 240
; IeeeMode: 1
; LDSByteSize: 2048 bytes/workgroup (compile time only)
; SGPRBlocks: 0
; VGPRBlocks: 3
; NumSGPRsForWavesPerEU: 44
; NumVGPRsForWavesPerEU: 56
; NamedBarCnt: 0
; Occupancy: 16
; WaveLimiterHint : 1
; COMPUTE_PGM_RSRC2:SCRATCH_EN: 0
; COMPUTE_PGM_RSRC2:USER_SGPR: 2
; COMPUTE_PGM_RSRC2:TRAP_HANDLER: 0
; COMPUTE_PGM_RSRC2:TGID_X_EN: 1
; COMPUTE_PGM_RSRC2:TGID_Y_EN: 1
; COMPUTE_PGM_RSRC2:TGID_Z_EN: 1
; COMPUTE_PGM_RSRC2:TIDIG_COMP_CNT: 1
	.section	.text._ZN12_GLOBAL__N_127rocblas_gemm_batched_kernelIfLi16ELi16ELi64ELi64ELi4ELi64ELi4ELi4ELi64ELc78ELc78EKPK16rocblas_bfloat16KPKfKPfEEvlllT_PT11_llSC_llSA_PT12_llPT13_lli,"axG",@progbits,_ZN12_GLOBAL__N_127rocblas_gemm_batched_kernelIfLi16ELi16ELi64ELi64ELi4ELi64ELi4ELi4ELi64ELc78ELc78EKPK16rocblas_bfloat16KPKfKPfEEvlllT_PT11_llSC_llSA_PT12_llPT13_lli,comdat
	.globl	_ZN12_GLOBAL__N_127rocblas_gemm_batched_kernelIfLi16ELi16ELi64ELi64ELi4ELi64ELi4ELi4ELi64ELc78ELc78EKPK16rocblas_bfloat16KPKfKPfEEvlllT_PT11_llSC_llSA_PT12_llPT13_lli ; -- Begin function _ZN12_GLOBAL__N_127rocblas_gemm_batched_kernelIfLi16ELi16ELi64ELi64ELi4ELi64ELi4ELi4ELi64ELc78ELc78EKPK16rocblas_bfloat16KPKfKPfEEvlllT_PT11_llSC_llSA_PT12_llPT13_lli
	.p2align	8
	.type	_ZN12_GLOBAL__N_127rocblas_gemm_batched_kernelIfLi16ELi16ELi64ELi64ELi4ELi64ELi4ELi4ELi64ELc78ELc78EKPK16rocblas_bfloat16KPKfKPfEEvlllT_PT11_llSC_llSA_PT12_llPT13_lli,@function
_ZN12_GLOBAL__N_127rocblas_gemm_batched_kernelIfLi16ELi16ELi64ELi64ELi4ELi64ELi4ELi4ELi64ELc78ELc78EKPK16rocblas_bfloat16KPKfKPfEEvlllT_PT11_llSC_llSA_PT12_llPT13_lli: ; @_ZN12_GLOBAL__N_127rocblas_gemm_batched_kernelIfLi16ELi16ELi64ELi64ELi4ELi64ELi4ELi4ELi64ELc78ELc78EKPK16rocblas_bfloat16KPKfKPfEEvlllT_PT11_llSC_llSA_PT12_llPT13_lli
; %bb.0:
	s_load_b32 s31, s[0:1], 0x88
	s_bfe_u32 s2, ttmp6, 0x40014
	s_lshr_b32 s3, ttmp7, 16
	s_add_co_i32 s2, s2, 1
	s_bfe_u32 s4, ttmp6, 0x40008
	s_mul_i32 s2, s3, s2
	s_getreg_b32 s12, hwreg(HW_REG_IB_STS2, 6, 4)
	s_add_co_i32 s4, s4, s2
	s_cmp_eq_u32 s12, 0
	s_cselect_b32 s2, s3, s4
	s_mov_b32 s3, 0
	s_wait_kmcnt 0x0
	s_cmp_ge_i32 s2, s31
	s_cbranch_scc1 .LBB167_10
; %bb.1:
	v_bfe_u32 v2, v0, 10, 10
	v_mov_b32_e32 v3, 0
	v_and_b32_e32 v6, 0x3ff, v0
	s_clause 0x1
	s_load_b256 s[4:11], s[0:1], 0x20
	s_load_b128 s[20:23], s[0:1], 0x40
	s_bfe_u32 s14, ttmp6, 0x4000c
	v_lshlrev_b32_e32 v16, 4, v2
	s_bfe_u32 s16, ttmp6, 0x40010
	s_and_b32 s15, ttmp7, 0xffff
	s_add_co_i32 s14, s14, 1
	s_add_co_i32 s16, s16, 1
	v_dual_mov_b32 v9, v3 :: v_dual_add_nc_u32 v14, v16, v6
	s_and_b32 s13, ttmp6, 15
	s_mul_i32 s14, ttmp9, s14
	s_mul_i32 s16, s15, s16
	s_bfe_u32 s17, ttmp6, 0x40004
	s_add_co_i32 s13, s13, s14
	s_add_co_i32 s17, s17, s16
	s_cmp_eq_u32 s12, 0
	v_dual_lshrrev_b32 v8, 2, v14 :: v_dual_lshrrev_b32 v18, 6, v14
	s_cselect_b32 s12, s15, s17
	s_cselect_b32 s28, ttmp9, s13
	s_lshl_b32 s34, s12, 6
	s_mov_b32 s35, s3
	s_clause 0x1
	s_load_b128 s[24:27], s[0:1], 0x78
	s_load_b256 s[12:19], s[0:1], 0x58
	v_add_nc_u64_e32 v[4:5], s[34:35], v[8:9]
	s_ashr_i32 s29, s28, 31
	s_load_b32 s33, s[0:1], 0x50
	s_lshl_b64 s[36:37], s[28:29], 6
	s_load_b96 s[28:30], s[0:1], 0x10
	s_wait_kmcnt 0x0
	v_mad_nc_u64_u32 v[12:13], s6, v18, s[36:37]
	v_mov_b32_e32 v7, v3
	v_mul_u64_e32 v[10:11], s[20:21], v[4:5]
	v_add_nc_u64_e32 v[4:5], s[34:35], v[2:3]
	v_dual_mov_b32 v15, v3 :: v_dual_bitop2_b32 v2, 3, v0 bitop3:0x40
	v_and_b32_e32 v14, 63, v14
	v_lshlrev_b32_e32 v36, 2, v6
	v_add_nc_u32_e32 v37, 0x400, v16
	s_delay_alu instid0(VALU_DEP_4)
	v_lshlrev_b32_e32 v9, 2, v2
	v_add_nc_u64_e32 v[16:17], s[36:37], v[6:7]
	v_mad_u32 v13, s7, v18, v13
	v_lshlrev_b32_e32 v2, 1, v2
	v_mul_u64_e32 v[0:1], s[24:25], v[4:5]
	v_mul_u64_e32 v[4:5], s[14:15], v[4:5]
	v_lshlrev_b32_e32 v19, 2, v14
	s_cmp_eq_f32 s33, 0
	v_cmp_gt_i64_e64 s0, s[28:29], 0
	s_delay_alu instid0(VALU_DEP_2)
	v_lshl_or_b32 v38, v18, 8, v19
	s_cselect_b32 s1, -1, 0
	v_add_nc_u64_e32 v[6:7], v[12:13], v[14:15]
	s_lshl_b64 s[22:23], s[22:23], 1
	v_lshl_or_b32 v12, v8, 4, v9
	s_lshl_b64 s[20:21], s[24:25], 4
	v_cndmask_b32_e64 v13, 0, 1, s0
	s_lshl_b64 s[24:25], s[14:15], 4
	s_lshl_b64 s[6:7], s[6:7], 3
	v_lshlrev_b64_e32 v[6:7], 1, v[6:7]
	v_add_nc_u32_e32 v39, 0x400, v12
	v_cmp_ne_u32_e64 s0, 1, v13
	s_lshl_b64 s[14:15], s[20:21], 2
	s_lshl_b64 s[16:17], s[16:17], 2
	v_lshl_add_u64 v[8:9], v[10:11], 1, s[22:23]
	v_lshlrev_b64_e32 v[10:11], 2, v[16:17]
	v_lshl_add_u64 v[6:7], s[8:9], 1, v[6:7]
	s_lshl_b64 s[8:9], s[26:27], 2
	s_lshl_b64 s[20:21], s[24:25], 2
	v_add_nc_u64_e32 v[8:9], v[8:9], v[2:3]
	s_branch .LBB167_3
.LBB167_2:                              ;   in Loop: Header=BB167_3 Depth=1
	s_add_co_i32 s2, s2, 0x10000
	s_delay_alu instid0(SALU_CYCLE_1)
	s_cmp_lt_i32 s2, s31
	s_cbranch_scc0 .LBB167_10
.LBB167_3:                              ; =>This Loop Header: Depth=1
                                        ;     Child Loop BB167_5 Depth 2
	s_wait_xcnt 0x0
	v_dual_mov_b32 v2, s2 :: v_dual_mov_b32 v29, 0
	v_dual_mov_b32 v28, 0 :: v_dual_mov_b32 v27, 0
	;; [unrolled: 1-line block ×3, first 2 shown]
	s_clause 0x1
	global_load_b64 v[20:21], v2, s[12:13] scale_offset
	global_load_b64 v[30:31], v2, s[18:19] scale_offset
	v_dual_mov_b32 v24, 0 :: v_dual_mov_b32 v23, 0
	v_dual_mov_b32 v22, 0 :: v_dual_mov_b32 v19, 0
	;; [unrolled: 1-line block ×5, first 2 shown]
	v_mov_b32_e32 v12, 0
	s_and_b32 vcc_lo, exec_lo, s0
	s_cbranch_vccnz .LBB167_6
; %bb.4:                                ;   in Loop: Header=BB167_3 Depth=1
	s_lshl_b64 s[22:23], s[2:3], 3
	v_mov_b32_e32 v12, 0
	s_add_nc_u64 s[24:25], s[10:11], s[22:23]
	s_add_nc_u64 s[22:23], s[4:5], s[22:23]
	s_clause 0x1
	global_load_b64 v[28:29], v3, s[24:25]
	global_load_b64 v[34:35], v3, s[22:23]
	s_wait_xcnt 0x0
	s_mov_b64 s[22:23], 0
	v_dual_mov_b32 v13, v12 :: v_dual_mov_b32 v14, v12
	v_dual_mov_b32 v15, v12 :: v_dual_mov_b32 v16, v12
	;; [unrolled: 1-line block ×6, first 2 shown]
	v_mov_b32_e32 v27, v12
	s_wait_loadcnt 0x1
	v_add_nc_u64_e32 v[32:33], v[28:29], v[8:9]
	s_wait_loadcnt 0x0
	v_add_nc_u64_e32 v[34:35], v[34:35], v[6:7]
	v_dual_mov_b32 v28, v12 :: v_dual_mov_b32 v29, v12
.LBB167_5:                              ;   Parent Loop BB167_3 Depth=1
                                        ; =>  This Inner Loop Header: Depth=2
	flat_load_u16 v2, v[34:35]
	flat_load_u16 v40, v[32:33]
	s_add_nc_u64 s[22:23], s[22:23], 4
	s_wait_xcnt 0x0
	v_add_nc_u64_e32 v[32:33], 8, v[32:33]
	v_cmp_lt_i64_e64 s24, s[22:23], s[28:29]
	v_add_nc_u64_e32 v[34:35], s[6:7], v[34:35]
	s_and_b32 vcc_lo, exec_lo, s24
	s_wait_loadcnt_dscnt 0x0
	v_dual_lshlrev_b32 v2, 16, v2 :: v_dual_lshlrev_b32 v40, 16, v40
	ds_store_b32 v38, v2
	ds_store_b32 v39, v40
	s_wait_dscnt 0x0
	s_barrier_signal -1
	s_barrier_wait -1
	ds_load_2addr_b32 v[56:57], v36 offset1:16
	ds_load_2addr_b32 v[58:59], v36 offset0:64 offset1:80
	ds_load_2addr_b32 v[60:61], v36 offset0:128 offset1:144
	;; [unrolled: 1-line block ×6, first 2 shown]
	ds_load_b128 v[40:43], v37
	ds_load_b128 v[44:47], v37 offset:256
	ds_load_2addr_b32 v[70:71], v36 offset0:224 offset1:240
	ds_load_b128 v[48:51], v37 offset:512
	ds_load_b128 v[52:55], v37 offset:768
	s_wait_dscnt 0x0
	s_barrier_signal -1
	s_barrier_wait -1
	v_dual_mov_b32 v72, v57 :: v_dual_mov_b32 v73, v56
	v_dual_mov_b32 v56, v59 :: v_dual_mov_b32 v57, v58
	;; [unrolled: 1-line block ×6, first 2 shown]
	v_pk_fma_f32 v[28:29], v[72:73], v[40:41], v[28:29] op_sel_hi:[1,0,1]
	v_pk_fma_f32 v[24:25], v[72:73], v[44:45], v[24:25] op_sel_hi:[1,0,1]
	s_delay_alu instid0(VALU_DEP_4)
	v_pk_fma_f32 v[26:27], v[62:63], v[40:41], v[26:27] op_sel_hi:[1,0,1]
	v_pk_fma_f32 v[18:19], v[72:73], v[48:49], v[18:19] op_sel_hi:[1,0,1]
	;; [unrolled: 1-line block ×6, first 2 shown]
	v_dual_mov_b32 v66, v69 :: v_dual_mov_b32 v67, v68
	v_pk_fma_f32 v[28:29], v[56:57], v[40:41], v[28:29] op_sel:[0,1,0]
	v_pk_fma_f32 v[26:27], v[64:65], v[40:41], v[26:27] op_sel:[0,1,0]
	;; [unrolled: 1-line block ×8, first 2 shown]
	v_dual_mov_b32 v2, v43 :: v_dual_mov_b32 v68, v71
	v_dual_mov_b32 v69, v70 :: v_dual_mov_b32 v70, v47
	;; [unrolled: 1-line block ×3, first 2 shown]
	v_pk_fma_f32 v[28:29], v[58:59], v[42:43], v[28:29] op_sel_hi:[1,0,1]
	v_pk_fma_f32 v[26:27], v[66:67], v[42:43], v[26:27] op_sel_hi:[1,0,1]
	;; [unrolled: 1-line block ×16, first 2 shown]
	s_cbranch_vccnz .LBB167_5
.LBB167_6:                              ;   in Loop: Header=BB167_3 Depth=1
	s_wait_loadcnt 0x0
	v_add_nc_u64_e32 v[30:31], s[8:9], v[30:31]
	s_and_not1_b32 vcc_lo, exec_lo, s1
	s_delay_alu instid0(VALU_DEP_1) | instskip(NEXT) | instid1(VALU_DEP_1)
	v_lshl_add_u64 v[30:31], v[0:1], 2, v[30:31]
	v_add_nc_u64_e32 v[32:33], v[30:31], v[10:11]
	v_add_nc_u64_e32 v[30:31], s[14:15], v[30:31]
	s_cbranch_vccnz .LBB167_8
; %bb.7:                                ;   in Loop: Header=BB167_3 Depth=1
	s_wait_xcnt 0x0
	v_dual_mul_f32 v2, s30, v29 :: v_dual_mul_f32 v40, s30, v28
	s_delay_alu instid0(VALU_DEP_2)
	v_add_nc_u64_e32 v[34:35], s[14:15], v[30:31]
	v_dual_mul_f32 v41, s30, v27 :: v_dual_mul_f32 v42, s30, v26
	s_clause 0x3
	flat_store_b32 v[32:33], v2
	flat_store_b32 v[32:33], v40 offset:64
	flat_store_b32 v[32:33], v41 offset:128
	;; [unrolled: 1-line block ×3, first 2 shown]
	s_wait_xcnt 0x1
	v_add_nc_u64_e32 v[40:41], v[30:31], v[10:11]
	v_dual_mul_f32 v2, s30, v25 :: v_dual_mul_f32 v44, s30, v24
	s_wait_xcnt 0x0
	v_add_nc_u64_e32 v[42:43], v[34:35], v[10:11]
	v_add_nc_u64_e32 v[34:35], s[14:15], v[34:35]
	v_dual_mul_f32 v45, s30, v23 :: v_dual_mul_f32 v46, s30, v22
	s_clause 0x3
	flat_store_b32 v[40:41], v2
	flat_store_b32 v[40:41], v44 offset:64
	flat_store_b32 v[40:41], v45 offset:128
	;; [unrolled: 1-line block ×3, first 2 shown]
	s_wait_xcnt 0x0
	v_dual_mul_f32 v2, s30, v19 :: v_dual_mul_f32 v40, s30, v18
	v_dual_mul_f32 v41, s30, v17 :: v_dual_mul_f32 v44, s30, v16
	v_add_nc_u64_e32 v[34:35], v[34:35], v[10:11]
	s_clause 0x3
	flat_store_b32 v[42:43], v2
	flat_store_b32 v[42:43], v40 offset:64
	flat_store_b32 v[42:43], v41 offset:128
	;; [unrolled: 1-line block ×3, first 2 shown]
	s_wait_xcnt 0x2
	v_dual_mul_f32 v2, s30, v15 :: v_dual_mul_f32 v40, s30, v14
	s_wait_xcnt 0x0
	v_dual_mul_f32 v41, s30, v13 :: v_dual_mul_f32 v42, s30, v12
	s_clause 0x3
	flat_store_b32 v[34:35], v2
	flat_store_b32 v[34:35], v40 offset:64
	flat_store_b32 v[34:35], v41 offset:128
	;; [unrolled: 1-line block ×3, first 2 shown]
	s_cbranch_execnz .LBB167_2
	s_branch .LBB167_9
.LBB167_8:                              ;   in Loop: Header=BB167_3 Depth=1
.LBB167_9:                              ;   in Loop: Header=BB167_3 Depth=1
	v_add_nc_u64_e32 v[20:21], s[16:17], v[20:21]
	s_delay_alu instid0(VALU_DEP_1) | instskip(SKIP_1) | instid1(VALU_DEP_1)
	v_lshl_add_u64 v[20:21], v[4:5], 2, v[20:21]
	s_wait_xcnt 0x0
	v_add_nc_u64_e32 v[34:35], v[20:21], v[10:11]
	v_add_nc_u64_e32 v[20:21], s[20:21], v[20:21]
	flat_load_b32 v2, v[34:35]
	s_wait_loadcnt_dscnt 0x0
	v_mul_f32_e32 v2, s33, v2
	s_delay_alu instid0(VALU_DEP_1) | instskip(SKIP_4) | instid1(VALU_DEP_1)
	v_fmac_f32_e32 v2, s30, v29
	flat_store_b32 v[32:33], v2
	flat_load_b32 v2, v[34:35] offset:64
	s_wait_loadcnt_dscnt 0x0
	v_mul_f32_e32 v2, s33, v2
	v_fmac_f32_e32 v2, s30, v28
	v_add_nc_u64_e32 v[28:29], v[20:21], v[10:11]
	v_add_nc_u64_e32 v[20:21], s[20:21], v[20:21]
	flat_store_b32 v[32:33], v2 offset:64
	flat_load_b32 v2, v[34:35] offset:128
	s_wait_loadcnt_dscnt 0x0
	v_mul_f32_e32 v2, s33, v2
	s_delay_alu instid0(VALU_DEP_1) | instskip(SKIP_4) | instid1(VALU_DEP_1)
	v_fmac_f32_e32 v2, s30, v27
	flat_store_b32 v[32:33], v2 offset:128
	flat_load_b32 v2, v[34:35] offset:192
	s_wait_loadcnt_dscnt 0x0
	v_mul_f32_e32 v2, s33, v2
	v_fmac_f32_e32 v2, s30, v26
	v_add_nc_u64_e32 v[26:27], v[30:31], v[10:11]
	flat_store_b32 v[32:33], v2 offset:192
	flat_load_b32 v2, v[28:29]
	s_wait_loadcnt_dscnt 0x0
	v_mul_f32_e32 v2, s33, v2
	s_delay_alu instid0(VALU_DEP_1) | instskip(SKIP_4) | instid1(VALU_DEP_1)
	v_fmac_f32_e32 v2, s30, v25
	flat_store_b32 v[26:27], v2
	flat_load_b32 v2, v[28:29] offset:64
	s_wait_loadcnt_dscnt 0x0
	v_mul_f32_e32 v2, s33, v2
	v_fmac_f32_e32 v2, s30, v24
	v_add_nc_u64_e32 v[24:25], v[20:21], v[10:11]
	flat_store_b32 v[26:27], v2 offset:64
	flat_load_b32 v2, v[28:29] offset:128
	s_wait_loadcnt_dscnt 0x0
	v_mul_f32_e32 v2, s33, v2
	s_delay_alu instid0(VALU_DEP_1) | instskip(SKIP_4) | instid1(VALU_DEP_1)
	v_fmac_f32_e32 v2, s30, v23
	flat_store_b32 v[26:27], v2 offset:128
	flat_load_b32 v2, v[28:29] offset:192
	s_wait_loadcnt_dscnt 0x0
	v_mul_f32_e32 v2, s33, v2
	v_fmac_f32_e32 v2, s30, v22
	v_add_nc_u64_e32 v[22:23], s[14:15], v[30:31]
	flat_store_b32 v[26:27], v2 offset:192
	flat_load_b32 v2, v[24:25]
	v_add_nc_u64_e32 v[26:27], v[22:23], v[10:11]
	s_wait_loadcnt_dscnt 0x0
	v_mul_f32_e32 v2, s33, v2
	s_delay_alu instid0(VALU_DEP_1) | instskip(SKIP_4) | instid1(VALU_DEP_1)
	v_fmac_f32_e32 v2, s30, v19
	flat_store_b32 v[26:27], v2
	flat_load_b32 v2, v[24:25] offset:64
	s_wait_loadcnt_dscnt 0x0
	v_mul_f32_e32 v2, s33, v2
	v_fmac_f32_e32 v2, s30, v18
	v_add_nc_u64_e32 v[18:19], s[20:21], v[20:21]
	flat_store_b32 v[26:27], v2 offset:64
	flat_load_b32 v2, v[24:25] offset:128
	v_add_nc_u64_e32 v[18:19], v[18:19], v[10:11]
	s_wait_loadcnt_dscnt 0x0
	v_mul_f32_e32 v2, s33, v2
	s_delay_alu instid0(VALU_DEP_1) | instskip(SKIP_4) | instid1(VALU_DEP_1)
	v_fmac_f32_e32 v2, s30, v17
	flat_store_b32 v[26:27], v2 offset:128
	flat_load_b32 v2, v[24:25] offset:192
	s_wait_loadcnt_dscnt 0x0
	v_mul_f32_e32 v2, s33, v2
	v_fmac_f32_e32 v2, s30, v16
	v_add_nc_u64_e32 v[16:17], s[14:15], v[22:23]
	flat_store_b32 v[26:27], v2 offset:192
	flat_load_b32 v2, v[18:19]
	v_add_nc_u64_e32 v[16:17], v[16:17], v[10:11]
	s_wait_loadcnt_dscnt 0x0
	v_mul_f32_e32 v2, s33, v2
	s_delay_alu instid0(VALU_DEP_1) | instskip(SKIP_4) | instid1(VALU_DEP_1)
	v_fmac_f32_e32 v2, s30, v15
	flat_store_b32 v[16:17], v2
	flat_load_b32 v2, v[18:19] offset:64
	s_wait_loadcnt_dscnt 0x0
	v_mul_f32_e32 v2, s33, v2
	v_fmac_f32_e32 v2, s30, v14
	flat_store_b32 v[16:17], v2 offset:64
	flat_load_b32 v2, v[18:19] offset:128
	s_wait_loadcnt_dscnt 0x0
	v_mul_f32_e32 v2, s33, v2
	s_delay_alu instid0(VALU_DEP_1) | instskip(SKIP_4) | instid1(VALU_DEP_1)
	v_fmac_f32_e32 v2, s30, v13
	flat_store_b32 v[16:17], v2 offset:128
	flat_load_b32 v2, v[18:19] offset:192
	s_wait_loadcnt_dscnt 0x0
	v_mul_f32_e32 v2, s33, v2
	v_fmac_f32_e32 v2, s30, v12
	flat_store_b32 v[16:17], v2 offset:192
	s_branch .LBB167_2
.LBB167_10:
	s_sendmsg sendmsg(MSG_DEALLOC_VGPRS)
	s_endpgm
	.section	.rodata,"a",@progbits
	.p2align	6, 0x0
	.amdhsa_kernel _ZN12_GLOBAL__N_127rocblas_gemm_batched_kernelIfLi16ELi16ELi64ELi64ELi4ELi64ELi4ELi4ELi64ELc78ELc78EKPK16rocblas_bfloat16KPKfKPfEEvlllT_PT11_llSC_llSA_PT12_llPT13_lli
		.amdhsa_group_segment_fixed_size 2048
		.amdhsa_private_segment_fixed_size 0
		.amdhsa_kernarg_size 140
		.amdhsa_user_sgpr_count 2
		.amdhsa_user_sgpr_dispatch_ptr 0
		.amdhsa_user_sgpr_queue_ptr 0
		.amdhsa_user_sgpr_kernarg_segment_ptr 1
		.amdhsa_user_sgpr_dispatch_id 0
		.amdhsa_user_sgpr_kernarg_preload_length 0
		.amdhsa_user_sgpr_kernarg_preload_offset 0
		.amdhsa_user_sgpr_private_segment_size 0
		.amdhsa_wavefront_size32 1
		.amdhsa_uses_dynamic_stack 0
		.amdhsa_enable_private_segment 0
		.amdhsa_system_sgpr_workgroup_id_x 1
		.amdhsa_system_sgpr_workgroup_id_y 1
		.amdhsa_system_sgpr_workgroup_id_z 1
		.amdhsa_system_sgpr_workgroup_info 0
		.amdhsa_system_vgpr_workitem_id 1
		.amdhsa_next_free_vgpr 78
		.amdhsa_next_free_sgpr 38
		.amdhsa_named_barrier_count 0
		.amdhsa_reserve_vcc 1
		.amdhsa_float_round_mode_32 0
		.amdhsa_float_round_mode_16_64 0
		.amdhsa_float_denorm_mode_32 3
		.amdhsa_float_denorm_mode_16_64 3
		.amdhsa_fp16_overflow 0
		.amdhsa_memory_ordered 1
		.amdhsa_forward_progress 1
		.amdhsa_inst_pref_size 19
		.amdhsa_round_robin_scheduling 0
		.amdhsa_exception_fp_ieee_invalid_op 0
		.amdhsa_exception_fp_denorm_src 0
		.amdhsa_exception_fp_ieee_div_zero 0
		.amdhsa_exception_fp_ieee_overflow 0
		.amdhsa_exception_fp_ieee_underflow 0
		.amdhsa_exception_fp_ieee_inexact 0
		.amdhsa_exception_int_div_zero 0
	.end_amdhsa_kernel
	.section	.text._ZN12_GLOBAL__N_127rocblas_gemm_batched_kernelIfLi16ELi16ELi64ELi64ELi4ELi64ELi4ELi4ELi64ELc78ELc78EKPK16rocblas_bfloat16KPKfKPfEEvlllT_PT11_llSC_llSA_PT12_llPT13_lli,"axG",@progbits,_ZN12_GLOBAL__N_127rocblas_gemm_batched_kernelIfLi16ELi16ELi64ELi64ELi4ELi64ELi4ELi4ELi64ELc78ELc78EKPK16rocblas_bfloat16KPKfKPfEEvlllT_PT11_llSC_llSA_PT12_llPT13_lli,comdat
.Lfunc_end167:
	.size	_ZN12_GLOBAL__N_127rocblas_gemm_batched_kernelIfLi16ELi16ELi64ELi64ELi4ELi64ELi4ELi4ELi64ELc78ELc78EKPK16rocblas_bfloat16KPKfKPfEEvlllT_PT11_llSC_llSA_PT12_llPT13_lli, .Lfunc_end167-_ZN12_GLOBAL__N_127rocblas_gemm_batched_kernelIfLi16ELi16ELi64ELi64ELi4ELi64ELi4ELi4ELi64ELc78ELc78EKPK16rocblas_bfloat16KPKfKPfEEvlllT_PT11_llSC_llSA_PT12_llPT13_lli
                                        ; -- End function
	.set _ZN12_GLOBAL__N_127rocblas_gemm_batched_kernelIfLi16ELi16ELi64ELi64ELi4ELi64ELi4ELi4ELi64ELc78ELc78EKPK16rocblas_bfloat16KPKfKPfEEvlllT_PT11_llSC_llSA_PT12_llPT13_lli.num_vgpr, 78
	.set _ZN12_GLOBAL__N_127rocblas_gemm_batched_kernelIfLi16ELi16ELi64ELi64ELi4ELi64ELi4ELi4ELi64ELc78ELc78EKPK16rocblas_bfloat16KPKfKPfEEvlllT_PT11_llSC_llSA_PT12_llPT13_lli.num_agpr, 0
	.set _ZN12_GLOBAL__N_127rocblas_gemm_batched_kernelIfLi16ELi16ELi64ELi64ELi4ELi64ELi4ELi4ELi64ELc78ELc78EKPK16rocblas_bfloat16KPKfKPfEEvlllT_PT11_llSC_llSA_PT12_llPT13_lli.numbered_sgpr, 38
	.set _ZN12_GLOBAL__N_127rocblas_gemm_batched_kernelIfLi16ELi16ELi64ELi64ELi4ELi64ELi4ELi4ELi64ELc78ELc78EKPK16rocblas_bfloat16KPKfKPfEEvlllT_PT11_llSC_llSA_PT12_llPT13_lli.num_named_barrier, 0
	.set _ZN12_GLOBAL__N_127rocblas_gemm_batched_kernelIfLi16ELi16ELi64ELi64ELi4ELi64ELi4ELi4ELi64ELc78ELc78EKPK16rocblas_bfloat16KPKfKPfEEvlllT_PT11_llSC_llSA_PT12_llPT13_lli.private_seg_size, 0
	.set _ZN12_GLOBAL__N_127rocblas_gemm_batched_kernelIfLi16ELi16ELi64ELi64ELi4ELi64ELi4ELi4ELi64ELc78ELc78EKPK16rocblas_bfloat16KPKfKPfEEvlllT_PT11_llSC_llSA_PT12_llPT13_lli.uses_vcc, 1
	.set _ZN12_GLOBAL__N_127rocblas_gemm_batched_kernelIfLi16ELi16ELi64ELi64ELi4ELi64ELi4ELi4ELi64ELc78ELc78EKPK16rocblas_bfloat16KPKfKPfEEvlllT_PT11_llSC_llSA_PT12_llPT13_lli.uses_flat_scratch, 1
	.set _ZN12_GLOBAL__N_127rocblas_gemm_batched_kernelIfLi16ELi16ELi64ELi64ELi4ELi64ELi4ELi4ELi64ELc78ELc78EKPK16rocblas_bfloat16KPKfKPfEEvlllT_PT11_llSC_llSA_PT12_llPT13_lli.has_dyn_sized_stack, 0
	.set _ZN12_GLOBAL__N_127rocblas_gemm_batched_kernelIfLi16ELi16ELi64ELi64ELi4ELi64ELi4ELi4ELi64ELc78ELc78EKPK16rocblas_bfloat16KPKfKPfEEvlllT_PT11_llSC_llSA_PT12_llPT13_lli.has_recursion, 0
	.set _ZN12_GLOBAL__N_127rocblas_gemm_batched_kernelIfLi16ELi16ELi64ELi64ELi4ELi64ELi4ELi4ELi64ELc78ELc78EKPK16rocblas_bfloat16KPKfKPfEEvlllT_PT11_llSC_llSA_PT12_llPT13_lli.has_indirect_call, 0
	.section	.AMDGPU.csdata,"",@progbits
; Kernel info:
; codeLenInByte = 2356
; TotalNumSgprs: 40
; NumVgprs: 78
; ScratchSize: 0
; MemoryBound: 0
; FloatMode: 240
; IeeeMode: 1
; LDSByteSize: 2048 bytes/workgroup (compile time only)
; SGPRBlocks: 0
; VGPRBlocks: 4
; NumSGPRsForWavesPerEU: 40
; NumVGPRsForWavesPerEU: 78
; NamedBarCnt: 0
; Occupancy: 12
; WaveLimiterHint : 1
; COMPUTE_PGM_RSRC2:SCRATCH_EN: 0
; COMPUTE_PGM_RSRC2:USER_SGPR: 2
; COMPUTE_PGM_RSRC2:TRAP_HANDLER: 0
; COMPUTE_PGM_RSRC2:TGID_X_EN: 1
; COMPUTE_PGM_RSRC2:TGID_Y_EN: 1
; COMPUTE_PGM_RSRC2:TGID_Z_EN: 1
; COMPUTE_PGM_RSRC2:TIDIG_COMP_CNT: 1
	.section	.text._ZN12_GLOBAL__N_127rocblas_gemm_batched_kernelIfLi16ELi16ELi64ELi64ELi4ELi64ELi4ELi4ELi64ELc84ELc78EKPK16rocblas_bfloat16KPKfKPfEEvlllT_PT11_llSC_llSA_PT12_llPT13_lli,"axG",@progbits,_ZN12_GLOBAL__N_127rocblas_gemm_batched_kernelIfLi16ELi16ELi64ELi64ELi4ELi64ELi4ELi4ELi64ELc84ELc78EKPK16rocblas_bfloat16KPKfKPfEEvlllT_PT11_llSC_llSA_PT12_llPT13_lli,comdat
	.globl	_ZN12_GLOBAL__N_127rocblas_gemm_batched_kernelIfLi16ELi16ELi64ELi64ELi4ELi64ELi4ELi4ELi64ELc84ELc78EKPK16rocblas_bfloat16KPKfKPfEEvlllT_PT11_llSC_llSA_PT12_llPT13_lli ; -- Begin function _ZN12_GLOBAL__N_127rocblas_gemm_batched_kernelIfLi16ELi16ELi64ELi64ELi4ELi64ELi4ELi4ELi64ELc84ELc78EKPK16rocblas_bfloat16KPKfKPfEEvlllT_PT11_llSC_llSA_PT12_llPT13_lli
	.p2align	8
	.type	_ZN12_GLOBAL__N_127rocblas_gemm_batched_kernelIfLi16ELi16ELi64ELi64ELi4ELi64ELi4ELi4ELi64ELc84ELc78EKPK16rocblas_bfloat16KPKfKPfEEvlllT_PT11_llSC_llSA_PT12_llPT13_lli,@function
_ZN12_GLOBAL__N_127rocblas_gemm_batched_kernelIfLi16ELi16ELi64ELi64ELi4ELi64ELi4ELi4ELi64ELc84ELc78EKPK16rocblas_bfloat16KPKfKPfEEvlllT_PT11_llSC_llSA_PT12_llPT13_lli: ; @_ZN12_GLOBAL__N_127rocblas_gemm_batched_kernelIfLi16ELi16ELi64ELi64ELi4ELi64ELi4ELi4ELi64ELc84ELc78EKPK16rocblas_bfloat16KPKfKPfEEvlllT_PT11_llSC_llSA_PT12_llPT13_lli
; %bb.0:
	s_load_b32 s31, s[0:1], 0x88
	s_bfe_u32 s2, ttmp6, 0x40014
	s_lshr_b32 s3, ttmp7, 16
	s_add_co_i32 s2, s2, 1
	s_bfe_u32 s4, ttmp6, 0x40008
	s_mul_i32 s2, s3, s2
	s_getreg_b32 s12, hwreg(HW_REG_IB_STS2, 6, 4)
	s_add_co_i32 s4, s4, s2
	s_cmp_eq_u32 s12, 0
	s_cselect_b32 s2, s3, s4
	s_mov_b32 s3, 0
	s_wait_kmcnt 0x0
	s_cmp_ge_i32 s2, s31
	s_cbranch_scc1 .LBB168_10
; %bb.1:
	v_bfe_u32 v2, v0, 10, 10
	v_and_b32_e32 v6, 0x3ff, v0
	s_bfe_u32 s14, ttmp6, 0x4000c
	s_bfe_u32 s16, ttmp6, 0x40010
	s_clause 0x2
	s_load_b256 s[4:11], s[0:1], 0x20
	s_load_b128 s[20:23], s[0:1], 0x40
	s_load_b32 s33, s[0:1], 0x50
	v_dual_mov_b32 v3, 0 :: v_dual_lshlrev_b32 v14, 4, v2
	s_and_b32 s15, ttmp7, 0xffff
	s_add_co_i32 s14, s14, 1
	s_add_co_i32 s16, s16, 1
	s_delay_alu instid0(VALU_DEP_1)
	v_dual_add_nc_u32 v15, v14, v6 :: v_dual_mov_b32 v9, v3
	s_and_b32 s13, ttmp6, 15
	s_mul_i32 s14, ttmp9, s14
	s_mul_i32 s16, s15, s16
	s_bfe_u32 s17, ttmp6, 0x40004
	s_add_co_i32 s13, s13, s14
	s_add_co_i32 s17, s17, s16
	s_cmp_eq_u32 s12, 0
	v_dual_lshrrev_b32 v8, 2, v15 :: v_dual_bitop2_b32 v16, 63, v15 bitop3:0x40
	s_cselect_b32 s14, s15, s17
	s_cselect_b32 s12, ttmp9, s13
	s_lshl_b32 s28, s14, 6
	s_mov_b32 s29, s3
	s_ashr_i32 s13, s12, 31
	v_add_nc_u64_e32 v[4:5], s[28:29], v[8:9]
	s_load_b128 s[24:27], s[0:1], 0x78
	s_lshl_b64 s[34:35], s[12:13], 6
	s_load_b256 s[12:19], s[0:1], 0x58
	v_dual_mov_b32 v11, s35 :: v_dual_bitop2_b32 v10, s34, v16 bitop3:0x54
	s_wait_kmcnt 0x0
	s_cmp_eq_f32 s33, 0
	v_mul_u64_e32 v[12:13], s[20:21], v[4:5]
	v_add_nc_u64_e32 v[4:5], s[28:29], v[2:3]
	s_load_b96 s[28:30], s[0:1], 0x10
	v_mul_u64_e32 v[10:11], s[6:7], v[10:11]
	v_dual_mov_b32 v7, v3 :: v_dual_bitop2_b32 v2, 3, v0 bitop3:0x40
	s_wait_xcnt 0x0
	s_cselect_b32 s1, -1, 0
	s_lshl_b64 s[6:7], s[22:23], 1
	v_dual_lshlrev_b32 v36, 2, v6 :: v_dual_lshrrev_b32 v17, 6, v15
	v_dual_lshlrev_b32 v9, 2, v2 :: v_dual_lshlrev_b32 v2, 1, v2
	v_add_nc_u32_e32 v37, 0x400, v14
	v_add_nc_u64_e32 v[14:15], s[34:35], v[6:7]
	v_mul_u64_e32 v[0:1], s[24:25], v[4:5]
	v_lshlrev_b32_e32 v16, 2, v16
	v_mul_u64_e32 v[4:5], s[14:15], v[4:5]
	v_lshl_or_b32 v18, v8, 4, v9
	s_lshl_b64 s[20:21], s[14:15], 4
	s_lshl_b64 s[14:15], s[16:17], 2
	;; [unrolled: 1-line block ×3, first 2 shown]
	s_wait_kmcnt 0x0
	v_cmp_gt_i64_e64 s0, s[28:29], 0
	v_add_nc_u32_e32 v39, 0x400, v18
	v_lshl_add_u64 v[6:7], v[12:13], 1, s[6:7]
	s_lshl_b64 s[6:7], s[8:9], 1
	v_cndmask_b32_e64 v12, 0, 1, s0
	v_lshl_add_u64 v[8:9], v[10:11], 1, s[6:7]
	v_lshlrev_b64_e32 v[10:11], 2, v[14:15]
	v_add_nc_u64_e32 v[6:7], v[6:7], v[2:3]
	v_lshlrev_b32_e32 v2, 1, v17
	v_lshl_or_b32 v38, v17, 8, v16
	v_cmp_ne_u32_e64 s0, 1, v12
	s_lshl_b64 s[8:9], s[24:25], 4
	s_lshl_b64 s[6:7], s[26:27], 2
	v_add_nc_u64_e32 v[8:9], v[8:9], v[2:3]
	s_lshl_b64 s[8:9], s[8:9], 2
	s_branch .LBB168_3
.LBB168_2:                              ;   in Loop: Header=BB168_3 Depth=1
	s_add_co_i32 s2, s2, 0x10000
	s_delay_alu instid0(SALU_CYCLE_1)
	s_cmp_lt_i32 s2, s31
	s_cbranch_scc0 .LBB168_10
.LBB168_3:                              ; =>This Loop Header: Depth=1
                                        ;     Child Loop BB168_5 Depth 2
	s_wait_xcnt 0x0
	v_dual_mov_b32 v2, s2 :: v_dual_mov_b32 v29, 0
	v_dual_mov_b32 v28, 0 :: v_dual_mov_b32 v27, 0
	;; [unrolled: 1-line block ×3, first 2 shown]
	s_clause 0x1
	global_load_b64 v[20:21], v2, s[12:13] scale_offset
	global_load_b64 v[30:31], v2, s[18:19] scale_offset
	v_dual_mov_b32 v24, 0 :: v_dual_mov_b32 v23, 0
	v_dual_mov_b32 v22, 0 :: v_dual_mov_b32 v19, 0
	;; [unrolled: 1-line block ×5, first 2 shown]
	v_mov_b32_e32 v12, 0
	s_and_b32 vcc_lo, exec_lo, s0
	s_cbranch_vccnz .LBB168_6
; %bb.4:                                ;   in Loop: Header=BB168_3 Depth=1
	s_lshl_b64 s[20:21], s[2:3], 3
	v_mov_b32_e32 v12, 0
	s_add_nc_u64 s[22:23], s[10:11], s[20:21]
	s_add_nc_u64 s[20:21], s[4:5], s[20:21]
	s_clause 0x1
	global_load_b64 v[28:29], v3, s[22:23]
	global_load_b64 v[34:35], v3, s[20:21]
	s_wait_xcnt 0x0
	s_mov_b64 s[20:21], 0
	v_dual_mov_b32 v13, v12 :: v_dual_mov_b32 v14, v12
	v_dual_mov_b32 v15, v12 :: v_dual_mov_b32 v16, v12
	;; [unrolled: 1-line block ×6, first 2 shown]
	v_mov_b32_e32 v27, v12
	s_wait_loadcnt 0x1
	v_add_nc_u64_e32 v[32:33], v[28:29], v[6:7]
	s_wait_loadcnt 0x0
	v_add_nc_u64_e32 v[34:35], v[34:35], v[8:9]
	v_dual_mov_b32 v28, v12 :: v_dual_mov_b32 v29, v12
.LBB168_5:                              ;   Parent Loop BB168_3 Depth=1
                                        ; =>  This Inner Loop Header: Depth=2
	flat_load_u16 v2, v[34:35]
	flat_load_u16 v40, v[32:33]
	s_add_nc_u64 s[20:21], s[20:21], 4
	s_wait_xcnt 0x0
	v_add_nc_u64_e32 v[32:33], 8, v[32:33]
	v_cmp_lt_i64_e64 s22, s[20:21], s[28:29]
	v_add_nc_u64_e32 v[34:35], 8, v[34:35]
	s_and_b32 vcc_lo, exec_lo, s22
	s_wait_loadcnt_dscnt 0x0
	v_dual_lshlrev_b32 v2, 16, v2 :: v_dual_lshlrev_b32 v40, 16, v40
	ds_store_b32 v38, v2
	ds_store_b32 v39, v40
	s_wait_dscnt 0x0
	s_barrier_signal -1
	s_barrier_wait -1
	ds_load_2addr_b32 v[56:57], v36 offset1:16
	ds_load_2addr_b32 v[58:59], v36 offset0:64 offset1:80
	ds_load_2addr_b32 v[60:61], v36 offset0:128 offset1:144
	;; [unrolled: 1-line block ×6, first 2 shown]
	ds_load_b128 v[40:43], v37
	ds_load_b128 v[44:47], v37 offset:256
	ds_load_2addr_b32 v[70:71], v36 offset0:224 offset1:240
	ds_load_b128 v[48:51], v37 offset:512
	ds_load_b128 v[52:55], v37 offset:768
	s_wait_dscnt 0x0
	s_barrier_signal -1
	s_barrier_wait -1
	v_dual_mov_b32 v72, v57 :: v_dual_mov_b32 v73, v56
	v_dual_mov_b32 v56, v59 :: v_dual_mov_b32 v57, v58
	;; [unrolled: 1-line block ×6, first 2 shown]
	v_pk_fma_f32 v[28:29], v[72:73], v[40:41], v[28:29] op_sel_hi:[1,0,1]
	v_pk_fma_f32 v[24:25], v[72:73], v[44:45], v[24:25] op_sel_hi:[1,0,1]
	s_delay_alu instid0(VALU_DEP_4)
	v_pk_fma_f32 v[26:27], v[62:63], v[40:41], v[26:27] op_sel_hi:[1,0,1]
	v_pk_fma_f32 v[18:19], v[72:73], v[48:49], v[18:19] op_sel_hi:[1,0,1]
	;; [unrolled: 1-line block ×6, first 2 shown]
	v_dual_mov_b32 v66, v69 :: v_dual_mov_b32 v67, v68
	v_pk_fma_f32 v[28:29], v[56:57], v[40:41], v[28:29] op_sel:[0,1,0]
	v_pk_fma_f32 v[26:27], v[64:65], v[40:41], v[26:27] op_sel:[0,1,0]
	;; [unrolled: 1-line block ×8, first 2 shown]
	v_dual_mov_b32 v2, v43 :: v_dual_mov_b32 v68, v71
	v_dual_mov_b32 v69, v70 :: v_dual_mov_b32 v70, v47
	;; [unrolled: 1-line block ×3, first 2 shown]
	v_pk_fma_f32 v[28:29], v[58:59], v[42:43], v[28:29] op_sel_hi:[1,0,1]
	v_pk_fma_f32 v[26:27], v[66:67], v[42:43], v[26:27] op_sel_hi:[1,0,1]
	;; [unrolled: 1-line block ×16, first 2 shown]
	s_cbranch_vccnz .LBB168_5
.LBB168_6:                              ;   in Loop: Header=BB168_3 Depth=1
	s_wait_loadcnt 0x0
	v_add_nc_u64_e32 v[30:31], s[6:7], v[30:31]
	s_and_not1_b32 vcc_lo, exec_lo, s1
	s_delay_alu instid0(VALU_DEP_1) | instskip(NEXT) | instid1(VALU_DEP_1)
	v_lshl_add_u64 v[30:31], v[0:1], 2, v[30:31]
	v_add_nc_u64_e32 v[32:33], v[30:31], v[10:11]
	v_add_nc_u64_e32 v[30:31], s[8:9], v[30:31]
	s_cbranch_vccnz .LBB168_8
; %bb.7:                                ;   in Loop: Header=BB168_3 Depth=1
	s_wait_xcnt 0x0
	v_dual_mul_f32 v2, s30, v29 :: v_dual_mul_f32 v40, s30, v28
	s_delay_alu instid0(VALU_DEP_2)
	v_add_nc_u64_e32 v[34:35], s[8:9], v[30:31]
	v_dual_mul_f32 v41, s30, v27 :: v_dual_mul_f32 v42, s30, v26
	s_clause 0x3
	flat_store_b32 v[32:33], v2
	flat_store_b32 v[32:33], v40 offset:64
	flat_store_b32 v[32:33], v41 offset:128
	;; [unrolled: 1-line block ×3, first 2 shown]
	s_wait_xcnt 0x1
	v_add_nc_u64_e32 v[40:41], v[30:31], v[10:11]
	v_dual_mul_f32 v2, s30, v25 :: v_dual_mul_f32 v44, s30, v24
	s_wait_xcnt 0x0
	v_add_nc_u64_e32 v[42:43], v[34:35], v[10:11]
	v_add_nc_u64_e32 v[34:35], s[8:9], v[34:35]
	v_dual_mul_f32 v45, s30, v23 :: v_dual_mul_f32 v46, s30, v22
	s_clause 0x3
	flat_store_b32 v[40:41], v2
	flat_store_b32 v[40:41], v44 offset:64
	flat_store_b32 v[40:41], v45 offset:128
	;; [unrolled: 1-line block ×3, first 2 shown]
	s_wait_xcnt 0x0
	v_dual_mul_f32 v2, s30, v19 :: v_dual_mul_f32 v40, s30, v18
	v_dual_mul_f32 v41, s30, v17 :: v_dual_mul_f32 v44, s30, v16
	v_add_nc_u64_e32 v[34:35], v[34:35], v[10:11]
	s_clause 0x3
	flat_store_b32 v[42:43], v2
	flat_store_b32 v[42:43], v40 offset:64
	flat_store_b32 v[42:43], v41 offset:128
	;; [unrolled: 1-line block ×3, first 2 shown]
	s_wait_xcnt 0x2
	v_dual_mul_f32 v2, s30, v15 :: v_dual_mul_f32 v40, s30, v14
	s_wait_xcnt 0x0
	v_dual_mul_f32 v41, s30, v13 :: v_dual_mul_f32 v42, s30, v12
	s_clause 0x3
	flat_store_b32 v[34:35], v2
	flat_store_b32 v[34:35], v40 offset:64
	flat_store_b32 v[34:35], v41 offset:128
	flat_store_b32 v[34:35], v42 offset:192
	s_cbranch_execnz .LBB168_2
	s_branch .LBB168_9
.LBB168_8:                              ;   in Loop: Header=BB168_3 Depth=1
.LBB168_9:                              ;   in Loop: Header=BB168_3 Depth=1
	v_add_nc_u64_e32 v[20:21], s[14:15], v[20:21]
	s_delay_alu instid0(VALU_DEP_1) | instskip(SKIP_1) | instid1(VALU_DEP_1)
	v_lshl_add_u64 v[20:21], v[4:5], 2, v[20:21]
	s_wait_xcnt 0x0
	v_add_nc_u64_e32 v[34:35], v[20:21], v[10:11]
	v_add_nc_u64_e32 v[20:21], s[16:17], v[20:21]
	flat_load_b32 v2, v[34:35]
	s_wait_loadcnt_dscnt 0x0
	v_mul_f32_e32 v2, s33, v2
	s_delay_alu instid0(VALU_DEP_1) | instskip(SKIP_4) | instid1(VALU_DEP_1)
	v_fmac_f32_e32 v2, s30, v29
	flat_store_b32 v[32:33], v2
	flat_load_b32 v2, v[34:35] offset:64
	s_wait_loadcnt_dscnt 0x0
	v_mul_f32_e32 v2, s33, v2
	v_fmac_f32_e32 v2, s30, v28
	v_add_nc_u64_e32 v[28:29], v[20:21], v[10:11]
	v_add_nc_u64_e32 v[20:21], s[16:17], v[20:21]
	flat_store_b32 v[32:33], v2 offset:64
	flat_load_b32 v2, v[34:35] offset:128
	s_wait_loadcnt_dscnt 0x0
	v_mul_f32_e32 v2, s33, v2
	s_delay_alu instid0(VALU_DEP_1) | instskip(SKIP_4) | instid1(VALU_DEP_1)
	v_fmac_f32_e32 v2, s30, v27
	flat_store_b32 v[32:33], v2 offset:128
	flat_load_b32 v2, v[34:35] offset:192
	s_wait_loadcnt_dscnt 0x0
	v_mul_f32_e32 v2, s33, v2
	v_fmac_f32_e32 v2, s30, v26
	v_add_nc_u64_e32 v[26:27], v[30:31], v[10:11]
	flat_store_b32 v[32:33], v2 offset:192
	flat_load_b32 v2, v[28:29]
	s_wait_loadcnt_dscnt 0x0
	v_mul_f32_e32 v2, s33, v2
	s_delay_alu instid0(VALU_DEP_1) | instskip(SKIP_4) | instid1(VALU_DEP_1)
	v_fmac_f32_e32 v2, s30, v25
	flat_store_b32 v[26:27], v2
	flat_load_b32 v2, v[28:29] offset:64
	s_wait_loadcnt_dscnt 0x0
	v_mul_f32_e32 v2, s33, v2
	v_fmac_f32_e32 v2, s30, v24
	v_add_nc_u64_e32 v[24:25], v[20:21], v[10:11]
	flat_store_b32 v[26:27], v2 offset:64
	flat_load_b32 v2, v[28:29] offset:128
	s_wait_loadcnt_dscnt 0x0
	v_mul_f32_e32 v2, s33, v2
	s_delay_alu instid0(VALU_DEP_1) | instskip(SKIP_4) | instid1(VALU_DEP_1)
	v_fmac_f32_e32 v2, s30, v23
	flat_store_b32 v[26:27], v2 offset:128
	flat_load_b32 v2, v[28:29] offset:192
	s_wait_loadcnt_dscnt 0x0
	v_mul_f32_e32 v2, s33, v2
	v_fmac_f32_e32 v2, s30, v22
	v_add_nc_u64_e32 v[22:23], s[8:9], v[30:31]
	flat_store_b32 v[26:27], v2 offset:192
	flat_load_b32 v2, v[24:25]
	v_add_nc_u64_e32 v[26:27], v[22:23], v[10:11]
	s_wait_loadcnt_dscnt 0x0
	v_mul_f32_e32 v2, s33, v2
	s_delay_alu instid0(VALU_DEP_1) | instskip(SKIP_4) | instid1(VALU_DEP_1)
	v_fmac_f32_e32 v2, s30, v19
	flat_store_b32 v[26:27], v2
	flat_load_b32 v2, v[24:25] offset:64
	s_wait_loadcnt_dscnt 0x0
	v_mul_f32_e32 v2, s33, v2
	v_fmac_f32_e32 v2, s30, v18
	v_add_nc_u64_e32 v[18:19], s[16:17], v[20:21]
	flat_store_b32 v[26:27], v2 offset:64
	flat_load_b32 v2, v[24:25] offset:128
	v_add_nc_u64_e32 v[18:19], v[18:19], v[10:11]
	s_wait_loadcnt_dscnt 0x0
	v_mul_f32_e32 v2, s33, v2
	s_delay_alu instid0(VALU_DEP_1) | instskip(SKIP_4) | instid1(VALU_DEP_1)
	v_fmac_f32_e32 v2, s30, v17
	flat_store_b32 v[26:27], v2 offset:128
	flat_load_b32 v2, v[24:25] offset:192
	s_wait_loadcnt_dscnt 0x0
	v_mul_f32_e32 v2, s33, v2
	v_fmac_f32_e32 v2, s30, v16
	v_add_nc_u64_e32 v[16:17], s[8:9], v[22:23]
	flat_store_b32 v[26:27], v2 offset:192
	flat_load_b32 v2, v[18:19]
	v_add_nc_u64_e32 v[16:17], v[16:17], v[10:11]
	s_wait_loadcnt_dscnt 0x0
	v_mul_f32_e32 v2, s33, v2
	s_delay_alu instid0(VALU_DEP_1) | instskip(SKIP_4) | instid1(VALU_DEP_1)
	v_fmac_f32_e32 v2, s30, v15
	flat_store_b32 v[16:17], v2
	flat_load_b32 v2, v[18:19] offset:64
	s_wait_loadcnt_dscnt 0x0
	v_mul_f32_e32 v2, s33, v2
	v_fmac_f32_e32 v2, s30, v14
	flat_store_b32 v[16:17], v2 offset:64
	flat_load_b32 v2, v[18:19] offset:128
	s_wait_loadcnt_dscnt 0x0
	v_mul_f32_e32 v2, s33, v2
	s_delay_alu instid0(VALU_DEP_1) | instskip(SKIP_4) | instid1(VALU_DEP_1)
	v_fmac_f32_e32 v2, s30, v13
	flat_store_b32 v[16:17], v2 offset:128
	flat_load_b32 v2, v[18:19] offset:192
	s_wait_loadcnt_dscnt 0x0
	v_mul_f32_e32 v2, s33, v2
	v_fmac_f32_e32 v2, s30, v12
	flat_store_b32 v[16:17], v2 offset:192
	s_branch .LBB168_2
.LBB168_10:
	s_sendmsg sendmsg(MSG_DEALLOC_VGPRS)
	s_endpgm
	.section	.rodata,"a",@progbits
	.p2align	6, 0x0
	.amdhsa_kernel _ZN12_GLOBAL__N_127rocblas_gemm_batched_kernelIfLi16ELi16ELi64ELi64ELi4ELi64ELi4ELi4ELi64ELc84ELc78EKPK16rocblas_bfloat16KPKfKPfEEvlllT_PT11_llSC_llSA_PT12_llPT13_lli
		.amdhsa_group_segment_fixed_size 2048
		.amdhsa_private_segment_fixed_size 0
		.amdhsa_kernarg_size 140
		.amdhsa_user_sgpr_count 2
		.amdhsa_user_sgpr_dispatch_ptr 0
		.amdhsa_user_sgpr_queue_ptr 0
		.amdhsa_user_sgpr_kernarg_segment_ptr 1
		.amdhsa_user_sgpr_dispatch_id 0
		.amdhsa_user_sgpr_kernarg_preload_length 0
		.amdhsa_user_sgpr_kernarg_preload_offset 0
		.amdhsa_user_sgpr_private_segment_size 0
		.amdhsa_wavefront_size32 1
		.amdhsa_uses_dynamic_stack 0
		.amdhsa_enable_private_segment 0
		.amdhsa_system_sgpr_workgroup_id_x 1
		.amdhsa_system_sgpr_workgroup_id_y 1
		.amdhsa_system_sgpr_workgroup_id_z 1
		.amdhsa_system_sgpr_workgroup_info 0
		.amdhsa_system_vgpr_workitem_id 1
		.amdhsa_next_free_vgpr 78
		.amdhsa_next_free_sgpr 36
		.amdhsa_named_barrier_count 0
		.amdhsa_reserve_vcc 1
		.amdhsa_float_round_mode_32 0
		.amdhsa_float_round_mode_16_64 0
		.amdhsa_float_denorm_mode_32 3
		.amdhsa_float_denorm_mode_16_64 3
		.amdhsa_fp16_overflow 0
		.amdhsa_memory_ordered 1
		.amdhsa_forward_progress 1
		.amdhsa_inst_pref_size 19
		.amdhsa_round_robin_scheduling 0
		.amdhsa_exception_fp_ieee_invalid_op 0
		.amdhsa_exception_fp_denorm_src 0
		.amdhsa_exception_fp_ieee_div_zero 0
		.amdhsa_exception_fp_ieee_overflow 0
		.amdhsa_exception_fp_ieee_underflow 0
		.amdhsa_exception_fp_ieee_inexact 0
		.amdhsa_exception_int_div_zero 0
	.end_amdhsa_kernel
	.section	.text._ZN12_GLOBAL__N_127rocblas_gemm_batched_kernelIfLi16ELi16ELi64ELi64ELi4ELi64ELi4ELi4ELi64ELc84ELc78EKPK16rocblas_bfloat16KPKfKPfEEvlllT_PT11_llSC_llSA_PT12_llPT13_lli,"axG",@progbits,_ZN12_GLOBAL__N_127rocblas_gemm_batched_kernelIfLi16ELi16ELi64ELi64ELi4ELi64ELi4ELi4ELi64ELc84ELc78EKPK16rocblas_bfloat16KPKfKPfEEvlllT_PT11_llSC_llSA_PT12_llPT13_lli,comdat
.Lfunc_end168:
	.size	_ZN12_GLOBAL__N_127rocblas_gemm_batched_kernelIfLi16ELi16ELi64ELi64ELi4ELi64ELi4ELi4ELi64ELc84ELc78EKPK16rocblas_bfloat16KPKfKPfEEvlllT_PT11_llSC_llSA_PT12_llPT13_lli, .Lfunc_end168-_ZN12_GLOBAL__N_127rocblas_gemm_batched_kernelIfLi16ELi16ELi64ELi64ELi4ELi64ELi4ELi4ELi64ELc84ELc78EKPK16rocblas_bfloat16KPKfKPfEEvlllT_PT11_llSC_llSA_PT12_llPT13_lli
                                        ; -- End function
	.set _ZN12_GLOBAL__N_127rocblas_gemm_batched_kernelIfLi16ELi16ELi64ELi64ELi4ELi64ELi4ELi4ELi64ELc84ELc78EKPK16rocblas_bfloat16KPKfKPfEEvlllT_PT11_llSC_llSA_PT12_llPT13_lli.num_vgpr, 78
	.set _ZN12_GLOBAL__N_127rocblas_gemm_batched_kernelIfLi16ELi16ELi64ELi64ELi4ELi64ELi4ELi4ELi64ELc84ELc78EKPK16rocblas_bfloat16KPKfKPfEEvlllT_PT11_llSC_llSA_PT12_llPT13_lli.num_agpr, 0
	.set _ZN12_GLOBAL__N_127rocblas_gemm_batched_kernelIfLi16ELi16ELi64ELi64ELi4ELi64ELi4ELi4ELi64ELc84ELc78EKPK16rocblas_bfloat16KPKfKPfEEvlllT_PT11_llSC_llSA_PT12_llPT13_lli.numbered_sgpr, 36
	.set _ZN12_GLOBAL__N_127rocblas_gemm_batched_kernelIfLi16ELi16ELi64ELi64ELi4ELi64ELi4ELi4ELi64ELc84ELc78EKPK16rocblas_bfloat16KPKfKPfEEvlllT_PT11_llSC_llSA_PT12_llPT13_lli.num_named_barrier, 0
	.set _ZN12_GLOBAL__N_127rocblas_gemm_batched_kernelIfLi16ELi16ELi64ELi64ELi4ELi64ELi4ELi4ELi64ELc84ELc78EKPK16rocblas_bfloat16KPKfKPfEEvlllT_PT11_llSC_llSA_PT12_llPT13_lli.private_seg_size, 0
	.set _ZN12_GLOBAL__N_127rocblas_gemm_batched_kernelIfLi16ELi16ELi64ELi64ELi4ELi64ELi4ELi4ELi64ELc84ELc78EKPK16rocblas_bfloat16KPKfKPfEEvlllT_PT11_llSC_llSA_PT12_llPT13_lli.uses_vcc, 1
	.set _ZN12_GLOBAL__N_127rocblas_gemm_batched_kernelIfLi16ELi16ELi64ELi64ELi4ELi64ELi4ELi4ELi64ELc84ELc78EKPK16rocblas_bfloat16KPKfKPfEEvlllT_PT11_llSC_llSA_PT12_llPT13_lli.uses_flat_scratch, 1
	.set _ZN12_GLOBAL__N_127rocblas_gemm_batched_kernelIfLi16ELi16ELi64ELi64ELi4ELi64ELi4ELi4ELi64ELc84ELc78EKPK16rocblas_bfloat16KPKfKPfEEvlllT_PT11_llSC_llSA_PT12_llPT13_lli.has_dyn_sized_stack, 0
	.set _ZN12_GLOBAL__N_127rocblas_gemm_batched_kernelIfLi16ELi16ELi64ELi64ELi4ELi64ELi4ELi4ELi64ELc84ELc78EKPK16rocblas_bfloat16KPKfKPfEEvlllT_PT11_llSC_llSA_PT12_llPT13_lli.has_recursion, 0
	.set _ZN12_GLOBAL__N_127rocblas_gemm_batched_kernelIfLi16ELi16ELi64ELi64ELi4ELi64ELi4ELi4ELi64ELc84ELc78EKPK16rocblas_bfloat16KPKfKPfEEvlllT_PT11_llSC_llSA_PT12_llPT13_lli.has_indirect_call, 0
	.section	.AMDGPU.csdata,"",@progbits
; Kernel info:
; codeLenInByte = 2364
; TotalNumSgprs: 38
; NumVgprs: 78
; ScratchSize: 0
; MemoryBound: 0
; FloatMode: 240
; IeeeMode: 1
; LDSByteSize: 2048 bytes/workgroup (compile time only)
; SGPRBlocks: 0
; VGPRBlocks: 4
; NumSGPRsForWavesPerEU: 38
; NumVGPRsForWavesPerEU: 78
; NamedBarCnt: 0
; Occupancy: 12
; WaveLimiterHint : 1
; COMPUTE_PGM_RSRC2:SCRATCH_EN: 0
; COMPUTE_PGM_RSRC2:USER_SGPR: 2
; COMPUTE_PGM_RSRC2:TRAP_HANDLER: 0
; COMPUTE_PGM_RSRC2:TGID_X_EN: 1
; COMPUTE_PGM_RSRC2:TGID_Y_EN: 1
; COMPUTE_PGM_RSRC2:TGID_Z_EN: 1
; COMPUTE_PGM_RSRC2:TIDIG_COMP_CNT: 1
	.section	.text._ZN12_GLOBAL__N_127rocblas_gemm_batched_kernelIfLi16ELi16ELi64ELi64ELi4ELi64ELi4ELi4ELi64ELc78ELc84EKPK16rocblas_bfloat16KPKfKPfEEvlllT_PT11_llSC_llSA_PT12_llPT13_lli,"axG",@progbits,_ZN12_GLOBAL__N_127rocblas_gemm_batched_kernelIfLi16ELi16ELi64ELi64ELi4ELi64ELi4ELi4ELi64ELc78ELc84EKPK16rocblas_bfloat16KPKfKPfEEvlllT_PT11_llSC_llSA_PT12_llPT13_lli,comdat
	.globl	_ZN12_GLOBAL__N_127rocblas_gemm_batched_kernelIfLi16ELi16ELi64ELi64ELi4ELi64ELi4ELi4ELi64ELc78ELc84EKPK16rocblas_bfloat16KPKfKPfEEvlllT_PT11_llSC_llSA_PT12_llPT13_lli ; -- Begin function _ZN12_GLOBAL__N_127rocblas_gemm_batched_kernelIfLi16ELi16ELi64ELi64ELi4ELi64ELi4ELi4ELi64ELc78ELc84EKPK16rocblas_bfloat16KPKfKPfEEvlllT_PT11_llSC_llSA_PT12_llPT13_lli
	.p2align	8
	.type	_ZN12_GLOBAL__N_127rocblas_gemm_batched_kernelIfLi16ELi16ELi64ELi64ELi4ELi64ELi4ELi4ELi64ELc78ELc84EKPK16rocblas_bfloat16KPKfKPfEEvlllT_PT11_llSC_llSA_PT12_llPT13_lli,@function
_ZN12_GLOBAL__N_127rocblas_gemm_batched_kernelIfLi16ELi16ELi64ELi64ELi4ELi64ELi4ELi4ELi64ELc78ELc84EKPK16rocblas_bfloat16KPKfKPfEEvlllT_PT11_llSC_llSA_PT12_llPT13_lli: ; @_ZN12_GLOBAL__N_127rocblas_gemm_batched_kernelIfLi16ELi16ELi64ELi64ELi4ELi64ELi4ELi4ELi64ELc78ELc84EKPK16rocblas_bfloat16KPKfKPfEEvlllT_PT11_llSC_llSA_PT12_llPT13_lli
; %bb.0:
	s_load_b32 s31, s[0:1], 0x88
	s_bfe_u32 s2, ttmp6, 0x40014
	s_lshr_b32 s3, ttmp7, 16
	s_add_co_i32 s2, s2, 1
	s_bfe_u32 s4, ttmp6, 0x40008
	s_mul_i32 s2, s3, s2
	s_getreg_b32 s28, hwreg(HW_REG_IB_STS2, 6, 4)
	s_add_co_i32 s4, s4, s2
	s_cmp_eq_u32 s28, 0
	s_cselect_b32 s2, s3, s4
	s_mov_b32 s3, 0
	s_wait_kmcnt 0x0
	s_cmp_ge_i32 s2, s31
	s_cbranch_scc1 .LBB169_10
; %bb.1:
	v_bfe_u32 v2, v0, 10, 10
	s_clause 0x2
	s_load_b256 s[4:11], s[0:1], 0x20
	s_load_b128 s[24:27], s[0:1], 0x40
	s_load_b32 s33, s[0:1], 0x50
	v_and_b32_e32 v6, 0x3ff, v0
	s_bfe_u32 s29, ttmp6, 0x4000c
	s_bfe_u32 s34, ttmp6, 0x40010
	v_dual_mov_b32 v3, 0 :: v_dual_lshlrev_b32 v16, 4, v2
	s_add_co_i32 s29, s29, 1
	s_and_b32 s35, ttmp7, 0xffff
	s_add_co_i32 s34, s34, 1
	s_and_b32 s30, ttmp6, 15
	s_mul_i32 s29, ttmp9, s29
	s_mul_i32 s34, s35, s34
	s_bfe_u32 s36, ttmp6, 0x40004
	v_dual_add_nc_u32 v1, v16, v6 :: v_dual_bitop2_b32 v0, 3, v0 bitop3:0x40
	s_clause 0x1
	s_load_b128 s[20:23], s[0:1], 0x78
	s_load_b256 s[12:19], s[0:1], 0x58
	s_add_co_i32 s30, s30, s29
	s_add_co_i32 s36, s36, s34
	s_cmp_eq_u32 s28, 0
	v_dual_mov_b32 v9, v3 :: v_dual_lshrrev_b32 v8, 2, v1
	s_cselect_b32 s28, ttmp9, s30
	v_dual_lshrrev_b32 v17, 6, v1 :: v_dual_bitop2_b32 v14, 63, v1 bitop3:0x40
	s_cselect_b32 s30, s35, s36
	s_ashr_i32 s29, s28, 31
	s_wait_kmcnt 0x0
	v_mad_nc_u64_u32 v[10:11], s24, v0, v[8:9]
	s_lshl_b64 s[34:35], s[28:29], 6
	s_lshl_b32 s36, s30, 6
	v_mad_nc_u64_u32 v[12:13], s6, v17, s[34:35]
	s_mov_b32 s37, s3
	s_load_b96 s[28:30], s[0:1], 0x10
	v_add_nc_u64_e32 v[4:5], s[36:37], v[2:3]
	v_dual_lshlrev_b32 v2, 2, v0 :: v_dual_lshlrev_b32 v18, 2, v14
	v_dual_mov_b32 v15, v3 :: v_dual_mov_b32 v7, v3
	v_mad_u32 v11, s25, v0, v11
	s_delay_alu instid0(VALU_DEP_3)
	v_lshl_or_b32 v19, v8, 4, v2
	v_mul_u64_e32 v[0:1], s[20:21], v[4:5]
	v_mad_u32 v13, s7, v17, v13
	v_mul_u64_e32 v[4:5], s[14:15], v[4:5]
	s_cmp_eq_f32 s33, 0
	v_lshlrev_b32_e32 v37, 2, v6
	v_lshl_or_b32 v2, v17, 8, v18
	v_add_nc_u32_e32 v36, 0x400, v19
	v_add_nc_u32_e32 v38, 0x400, v16
	s_wait_xcnt 0x0
	s_cselect_b32 s1, -1, 0
	v_add_nc_u64_e32 v[8:9], s[36:37], v[10:11]
	s_lshl_b64 s[20:21], s[20:21], 4
	s_lshl_b64 s[6:7], s[6:7], 3
	v_add_nc_u64_e32 v[10:11], v[12:13], v[14:15]
	s_wait_kmcnt 0x0
	v_cmp_gt_i64_e64 s0, s[28:29], 0
	v_add_nc_u64_e32 v[12:13], s[34:35], v[6:7]
	s_lshl_b64 s[34:35], s[14:15], 4
	v_lshlrev_b64_e32 v[8:9], 1, v[8:9]
	s_lshl_b64 s[14:15], s[24:25], 3
	s_lshl_b64 s[20:21], s[20:21], 2
	v_lshlrev_b64_e32 v[10:11], 1, v[10:11]
	v_cndmask_b32_e64 v14, 0, 1, s0
	s_lshl_b64 s[16:17], s[16:17], 2
	s_delay_alu instid0(VALU_DEP_3) | instskip(NEXT) | instid1(VALU_DEP_2)
	v_lshl_add_u64 v[6:7], s[26:27], 1, v[8:9]
	v_cmp_ne_u32_e64 s0, 1, v14
	s_delay_alu instid0(VALU_DEP_4)
	v_lshl_add_u64 v[8:9], s[8:9], 1, v[10:11]
	v_lshlrev_b64_e32 v[10:11], 2, v[12:13]
	s_lshl_b64 s[8:9], s[22:23], 2
	s_lshl_b64 s[22:23], s[34:35], 2
	s_branch .LBB169_3
.LBB169_2:                              ;   in Loop: Header=BB169_3 Depth=1
	s_add_co_i32 s2, s2, 0x10000
	s_delay_alu instid0(SALU_CYCLE_1)
	s_cmp_lt_i32 s2, s31
	s_cbranch_scc0 .LBB169_10
.LBB169_3:                              ; =>This Loop Header: Depth=1
                                        ;     Child Loop BB169_5 Depth 2
	v_dual_mov_b32 v12, s2 :: v_dual_mov_b32 v29, 0
	v_dual_mov_b32 v28, 0 :: v_dual_mov_b32 v27, 0
	;; [unrolled: 1-line block ×3, first 2 shown]
	s_clause 0x1
	global_load_b64 v[20:21], v12, s[12:13] scale_offset
	global_load_b64 v[30:31], v12, s[18:19] scale_offset
	v_dual_mov_b32 v24, 0 :: v_dual_mov_b32 v23, 0
	s_wait_xcnt 0x3
	v_dual_mov_b32 v22, 0 :: v_dual_mov_b32 v19, 0
	s_wait_xcnt 0x2
	v_dual_mov_b32 v18, 0 :: v_dual_mov_b32 v17, 0
	v_dual_mov_b32 v16, 0 :: v_dual_mov_b32 v15, 0
	;; [unrolled: 1-line block ×3, first 2 shown]
	s_wait_xcnt 0x0
	v_mov_b32_e32 v12, 0
	s_and_b32 vcc_lo, exec_lo, s0
	s_cbranch_vccnz .LBB169_6
; %bb.4:                                ;   in Loop: Header=BB169_3 Depth=1
	s_lshl_b64 s[24:25], s[2:3], 3
	v_mov_b32_e32 v12, 0
	s_add_nc_u64 s[26:27], s[10:11], s[24:25]
	s_add_nc_u64 s[24:25], s[4:5], s[24:25]
	s_clause 0x1
	global_load_b64 v[28:29], v3, s[26:27]
	global_load_b64 v[34:35], v3, s[24:25]
	s_wait_xcnt 0x0
	s_mov_b64 s[24:25], 0
	v_dual_mov_b32 v13, v12 :: v_dual_mov_b32 v14, v12
	v_dual_mov_b32 v15, v12 :: v_dual_mov_b32 v16, v12
	;; [unrolled: 1-line block ×6, first 2 shown]
	v_mov_b32_e32 v27, v12
	s_wait_loadcnt 0x1
	v_add_nc_u64_e32 v[32:33], v[28:29], v[6:7]
	s_wait_loadcnt 0x0
	v_add_nc_u64_e32 v[34:35], v[34:35], v[8:9]
	v_dual_mov_b32 v28, v12 :: v_dual_mov_b32 v29, v12
.LBB169_5:                              ;   Parent Loop BB169_3 Depth=1
                                        ; =>  This Inner Loop Header: Depth=2
	flat_load_u16 v39, v[34:35]
	flat_load_u16 v40, v[32:33]
	s_add_nc_u64 s[24:25], s[24:25], 4
	s_wait_xcnt 0x0
	v_add_nc_u64_e32 v[32:33], s[14:15], v[32:33]
	v_cmp_lt_i64_e64 s26, s[24:25], s[28:29]
	v_add_nc_u64_e32 v[34:35], s[6:7], v[34:35]
	s_and_b32 vcc_lo, exec_lo, s26
	s_wait_loadcnt_dscnt 0x0
	v_dual_lshlrev_b32 v39, 16, v39 :: v_dual_lshlrev_b32 v40, 16, v40
	ds_store_b32 v2, v39
	ds_store_b32 v36, v40
	s_wait_dscnt 0x0
	s_barrier_signal -1
	s_barrier_wait -1
	ds_load_2addr_b32 v[56:57], v37 offset1:16
	ds_load_2addr_b32 v[58:59], v37 offset0:64 offset1:80
	ds_load_2addr_b32 v[60:61], v37 offset0:128 offset1:144
	;; [unrolled: 1-line block ×6, first 2 shown]
	ds_load_b128 v[40:43], v38
	ds_load_b128 v[44:47], v38 offset:256
	ds_load_2addr_b32 v[70:71], v37 offset0:224 offset1:240
	ds_load_b128 v[48:51], v38 offset:512
	ds_load_b128 v[52:55], v38 offset:768
	s_wait_dscnt 0x0
	s_barrier_signal -1
	s_barrier_wait -1
	v_dual_mov_b32 v72, v57 :: v_dual_mov_b32 v73, v56
	v_dual_mov_b32 v56, v59 :: v_dual_mov_b32 v57, v58
	;; [unrolled: 1-line block ×6, first 2 shown]
	v_pk_fma_f32 v[28:29], v[72:73], v[40:41], v[28:29] op_sel_hi:[1,0,1]
	v_pk_fma_f32 v[24:25], v[72:73], v[44:45], v[24:25] op_sel_hi:[1,0,1]
	s_delay_alu instid0(VALU_DEP_4)
	v_pk_fma_f32 v[26:27], v[62:63], v[40:41], v[26:27] op_sel_hi:[1,0,1]
	v_pk_fma_f32 v[18:19], v[72:73], v[48:49], v[18:19] op_sel_hi:[1,0,1]
	;; [unrolled: 1-line block ×6, first 2 shown]
	v_dual_mov_b32 v66, v69 :: v_dual_mov_b32 v67, v68
	v_pk_fma_f32 v[28:29], v[56:57], v[40:41], v[28:29] op_sel:[0,1,0]
	v_pk_fma_f32 v[26:27], v[64:65], v[40:41], v[26:27] op_sel:[0,1,0]
	;; [unrolled: 1-line block ×8, first 2 shown]
	v_dual_mov_b32 v68, v43 :: v_dual_mov_b32 v74, v71
	v_dual_mov_b32 v75, v70 :: v_dual_mov_b32 v70, v47
	;; [unrolled: 1-line block ×3, first 2 shown]
	v_pk_fma_f32 v[28:29], v[58:59], v[42:43], v[28:29] op_sel_hi:[1,0,1]
	v_pk_fma_f32 v[26:27], v[66:67], v[42:43], v[26:27] op_sel_hi:[1,0,1]
	;; [unrolled: 1-line block ×16, first 2 shown]
	s_cbranch_vccnz .LBB169_5
.LBB169_6:                              ;   in Loop: Header=BB169_3 Depth=1
	s_wait_loadcnt 0x0
	v_add_nc_u64_e32 v[30:31], s[8:9], v[30:31]
	s_and_not1_b32 vcc_lo, exec_lo, s1
	s_delay_alu instid0(VALU_DEP_1) | instskip(NEXT) | instid1(VALU_DEP_1)
	v_lshl_add_u64 v[30:31], v[0:1], 2, v[30:31]
	v_add_nc_u64_e32 v[32:33], v[30:31], v[10:11]
	v_add_nc_u64_e32 v[30:31], s[20:21], v[30:31]
	s_cbranch_vccnz .LBB169_8
; %bb.7:                                ;   in Loop: Header=BB169_3 Depth=1
	v_dual_mul_f32 v39, s30, v29 :: v_dual_mul_f32 v40, s30, v28
	s_delay_alu instid0(VALU_DEP_2)
	v_add_nc_u64_e32 v[34:35], s[20:21], v[30:31]
	v_dual_mul_f32 v41, s30, v27 :: v_dual_mul_f32 v42, s30, v26
	s_clause 0x3
	flat_store_b32 v[32:33], v39
	flat_store_b32 v[32:33], v40 offset:64
	flat_store_b32 v[32:33], v41 offset:128
	;; [unrolled: 1-line block ×3, first 2 shown]
	s_wait_xcnt 0x1
	v_add_nc_u64_e32 v[40:41], v[30:31], v[10:11]
	v_dual_mul_f32 v39, s30, v25 :: v_dual_mul_f32 v44, s30, v24
	s_wait_xcnt 0x0
	v_add_nc_u64_e32 v[42:43], v[34:35], v[10:11]
	v_add_nc_u64_e32 v[34:35], s[20:21], v[34:35]
	v_dual_mul_f32 v45, s30, v23 :: v_dual_mul_f32 v46, s30, v22
	s_clause 0x3
	flat_store_b32 v[40:41], v39
	flat_store_b32 v[40:41], v44 offset:64
	flat_store_b32 v[40:41], v45 offset:128
	;; [unrolled: 1-line block ×3, first 2 shown]
	s_wait_xcnt 0x0
	v_dual_mul_f32 v39, s30, v19 :: v_dual_mul_f32 v40, s30, v18
	v_dual_mul_f32 v41, s30, v17 :: v_dual_mul_f32 v44, s30, v16
	v_add_nc_u64_e32 v[34:35], v[34:35], v[10:11]
	s_clause 0x3
	flat_store_b32 v[42:43], v39
	flat_store_b32 v[42:43], v40 offset:64
	flat_store_b32 v[42:43], v41 offset:128
	;; [unrolled: 1-line block ×3, first 2 shown]
	s_wait_xcnt 0x2
	v_dual_mul_f32 v39, s30, v15 :: v_dual_mul_f32 v40, s30, v14
	s_wait_xcnt 0x0
	v_dual_mul_f32 v41, s30, v13 :: v_dual_mul_f32 v42, s30, v12
	s_clause 0x3
	flat_store_b32 v[34:35], v39
	flat_store_b32 v[34:35], v40 offset:64
	flat_store_b32 v[34:35], v41 offset:128
	;; [unrolled: 1-line block ×3, first 2 shown]
	s_cbranch_execnz .LBB169_2
	s_branch .LBB169_9
.LBB169_8:                              ;   in Loop: Header=BB169_3 Depth=1
.LBB169_9:                              ;   in Loop: Header=BB169_3 Depth=1
	v_add_nc_u64_e32 v[20:21], s[16:17], v[20:21]
	s_delay_alu instid0(VALU_DEP_1) | instskip(SKIP_1) | instid1(VALU_DEP_1)
	v_lshl_add_u64 v[20:21], v[4:5], 2, v[20:21]
	s_wait_xcnt 0x0
	v_add_nc_u64_e32 v[34:35], v[20:21], v[10:11]
	v_add_nc_u64_e32 v[20:21], s[22:23], v[20:21]
	flat_load_b32 v39, v[34:35]
	s_wait_loadcnt_dscnt 0x0
	v_mul_f32_e32 v39, s33, v39
	s_delay_alu instid0(VALU_DEP_1) | instskip(SKIP_4) | instid1(VALU_DEP_1)
	v_fmac_f32_e32 v39, s30, v29
	flat_store_b32 v[32:33], v39
	flat_load_b32 v29, v[34:35] offset:64
	s_wait_loadcnt_dscnt 0x0
	v_mul_f32_e32 v29, s33, v29
	v_fmac_f32_e32 v29, s30, v28
	flat_store_b32 v[32:33], v29 offset:64
	flat_load_b32 v28, v[34:35] offset:128
	s_wait_loadcnt_dscnt 0x0
	v_mul_f32_e32 v28, s33, v28
	s_delay_alu instid0(VALU_DEP_1)
	v_fmac_f32_e32 v28, s30, v27
	flat_store_b32 v[32:33], v28 offset:128
	flat_load_b32 v27, v[34:35] offset:192
	s_wait_xcnt 0x1
	v_add_nc_u64_e32 v[28:29], v[20:21], v[10:11]
	v_add_nc_u64_e32 v[20:21], s[22:23], v[20:21]
	s_wait_loadcnt_dscnt 0x0
	v_mul_f32_e32 v27, s33, v27
	s_delay_alu instid0(VALU_DEP_1)
	v_fmac_f32_e32 v27, s30, v26
	flat_store_b32 v[32:33], v27 offset:192
	flat_load_b32 v26, v[28:29]
	s_wait_loadcnt_dscnt 0x0
	s_wait_xcnt 0x1
	v_mul_f32_e32 v32, s33, v26
	v_add_nc_u64_e32 v[26:27], v[30:31], v[10:11]
	s_delay_alu instid0(VALU_DEP_2) | instskip(SKIP_4) | instid1(VALU_DEP_1)
	v_fmac_f32_e32 v32, s30, v25
	flat_store_b32 v[26:27], v32
	flat_load_b32 v25, v[28:29] offset:64
	s_wait_loadcnt_dscnt 0x0
	v_mul_f32_e32 v25, s33, v25
	v_fmac_f32_e32 v25, s30, v24
	flat_store_b32 v[26:27], v25 offset:64
	flat_load_b32 v24, v[28:29] offset:128
	s_wait_loadcnt_dscnt 0x0
	v_mul_f32_e32 v24, s33, v24
	s_delay_alu instid0(VALU_DEP_1)
	v_fmac_f32_e32 v24, s30, v23
	flat_store_b32 v[26:27], v24 offset:128
	flat_load_b32 v23, v[28:29] offset:192
	s_wait_xcnt 0x1
	v_add_nc_u64_e32 v[24:25], v[20:21], v[10:11]
	s_wait_loadcnt_dscnt 0x0
	v_mul_f32_e32 v23, s33, v23
	s_delay_alu instid0(VALU_DEP_1)
	v_fmac_f32_e32 v23, s30, v22
	flat_store_b32 v[26:27], v23 offset:192
	flat_load_b32 v26, v[24:25]
	v_add_nc_u64_e32 v[22:23], s[20:21], v[30:31]
	s_wait_loadcnt_dscnt 0x0
	v_mul_f32_e32 v28, s33, v26
	s_delay_alu instid0(VALU_DEP_2) | instskip(NEXT) | instid1(VALU_DEP_2)
	v_add_nc_u64_e32 v[26:27], v[22:23], v[10:11]
	v_fmac_f32_e32 v28, s30, v19
	flat_store_b32 v[26:27], v28
	flat_load_b32 v19, v[24:25] offset:64
	s_wait_loadcnt_dscnt 0x0
	v_mul_f32_e32 v19, s33, v19
	s_delay_alu instid0(VALU_DEP_1) | instskip(SKIP_4) | instid1(VALU_DEP_1)
	v_fmac_f32_e32 v19, s30, v18
	flat_store_b32 v[26:27], v19 offset:64
	flat_load_b32 v18, v[24:25] offset:128
	s_wait_loadcnt_dscnt 0x0
	v_mul_f32_e32 v18, s33, v18
	v_fmac_f32_e32 v18, s30, v17
	flat_store_b32 v[26:27], v18 offset:128
	flat_load_b32 v17, v[24:25] offset:192
	s_wait_xcnt 0x1
	v_add_nc_u64_e32 v[18:19], s[22:23], v[20:21]
	s_delay_alu instid0(VALU_DEP_1) | instskip(SKIP_2) | instid1(VALU_DEP_1)
	v_add_nc_u64_e32 v[18:19], v[18:19], v[10:11]
	s_wait_loadcnt_dscnt 0x0
	v_mul_f32_e32 v17, s33, v17
	v_fmac_f32_e32 v17, s30, v16
	flat_store_b32 v[26:27], v17 offset:192
	flat_load_b32 v20, v[18:19]
	s_wait_xcnt 0x1
	v_add_nc_u64_e32 v[16:17], s[20:21], v[22:23]
	s_delay_alu instid0(VALU_DEP_1) | instskip(SKIP_2) | instid1(VALU_DEP_1)
	v_add_nc_u64_e32 v[16:17], v[16:17], v[10:11]
	s_wait_loadcnt_dscnt 0x0
	v_mul_f32_e32 v20, s33, v20
	v_fmac_f32_e32 v20, s30, v15
	flat_store_b32 v[16:17], v20
	flat_load_b32 v15, v[18:19] offset:64
	s_wait_loadcnt_dscnt 0x0
	v_mul_f32_e32 v15, s33, v15
	s_delay_alu instid0(VALU_DEP_1) | instskip(SKIP_4) | instid1(VALU_DEP_1)
	v_fmac_f32_e32 v15, s30, v14
	flat_store_b32 v[16:17], v15 offset:64
	flat_load_b32 v14, v[18:19] offset:128
	s_wait_loadcnt_dscnt 0x0
	v_mul_f32_e32 v14, s33, v14
	v_fmac_f32_e32 v14, s30, v13
	flat_store_b32 v[16:17], v14 offset:128
	flat_load_b32 v13, v[18:19] offset:192
	s_wait_loadcnt_dscnt 0x0
	v_mul_f32_e32 v13, s33, v13
	s_delay_alu instid0(VALU_DEP_1)
	v_fmac_f32_e32 v13, s30, v12
	flat_store_b32 v[16:17], v13 offset:192
	s_branch .LBB169_2
.LBB169_10:
	s_sendmsg sendmsg(MSG_DEALLOC_VGPRS)
	s_endpgm
	.section	.rodata,"a",@progbits
	.p2align	6, 0x0
	.amdhsa_kernel _ZN12_GLOBAL__N_127rocblas_gemm_batched_kernelIfLi16ELi16ELi64ELi64ELi4ELi64ELi4ELi4ELi64ELc78ELc84EKPK16rocblas_bfloat16KPKfKPfEEvlllT_PT11_llSC_llSA_PT12_llPT13_lli
		.amdhsa_group_segment_fixed_size 2048
		.amdhsa_private_segment_fixed_size 0
		.amdhsa_kernarg_size 140
		.amdhsa_user_sgpr_count 2
		.amdhsa_user_sgpr_dispatch_ptr 0
		.amdhsa_user_sgpr_queue_ptr 0
		.amdhsa_user_sgpr_kernarg_segment_ptr 1
		.amdhsa_user_sgpr_dispatch_id 0
		.amdhsa_user_sgpr_kernarg_preload_length 0
		.amdhsa_user_sgpr_kernarg_preload_offset 0
		.amdhsa_user_sgpr_private_segment_size 0
		.amdhsa_wavefront_size32 1
		.amdhsa_uses_dynamic_stack 0
		.amdhsa_enable_private_segment 0
		.amdhsa_system_sgpr_workgroup_id_x 1
		.amdhsa_system_sgpr_workgroup_id_y 1
		.amdhsa_system_sgpr_workgroup_id_z 1
		.amdhsa_system_sgpr_workgroup_info 0
		.amdhsa_system_vgpr_workitem_id 1
		.amdhsa_next_free_vgpr 80
		.amdhsa_next_free_sgpr 38
		.amdhsa_named_barrier_count 0
		.amdhsa_reserve_vcc 1
		.amdhsa_float_round_mode_32 0
		.amdhsa_float_round_mode_16_64 0
		.amdhsa_float_denorm_mode_32 3
		.amdhsa_float_denorm_mode_16_64 3
		.amdhsa_fp16_overflow 0
		.amdhsa_memory_ordered 1
		.amdhsa_forward_progress 1
		.amdhsa_inst_pref_size 19
		.amdhsa_round_robin_scheduling 0
		.amdhsa_exception_fp_ieee_invalid_op 0
		.amdhsa_exception_fp_denorm_src 0
		.amdhsa_exception_fp_ieee_div_zero 0
		.amdhsa_exception_fp_ieee_overflow 0
		.amdhsa_exception_fp_ieee_underflow 0
		.amdhsa_exception_fp_ieee_inexact 0
		.amdhsa_exception_int_div_zero 0
	.end_amdhsa_kernel
	.section	.text._ZN12_GLOBAL__N_127rocblas_gemm_batched_kernelIfLi16ELi16ELi64ELi64ELi4ELi64ELi4ELi4ELi64ELc78ELc84EKPK16rocblas_bfloat16KPKfKPfEEvlllT_PT11_llSC_llSA_PT12_llPT13_lli,"axG",@progbits,_ZN12_GLOBAL__N_127rocblas_gemm_batched_kernelIfLi16ELi16ELi64ELi64ELi4ELi64ELi4ELi4ELi64ELc78ELc84EKPK16rocblas_bfloat16KPKfKPfEEvlllT_PT11_llSC_llSA_PT12_llPT13_lli,comdat
.Lfunc_end169:
	.size	_ZN12_GLOBAL__N_127rocblas_gemm_batched_kernelIfLi16ELi16ELi64ELi64ELi4ELi64ELi4ELi4ELi64ELc78ELc84EKPK16rocblas_bfloat16KPKfKPfEEvlllT_PT11_llSC_llSA_PT12_llPT13_lli, .Lfunc_end169-_ZN12_GLOBAL__N_127rocblas_gemm_batched_kernelIfLi16ELi16ELi64ELi64ELi4ELi64ELi4ELi4ELi64ELc78ELc84EKPK16rocblas_bfloat16KPKfKPfEEvlllT_PT11_llSC_llSA_PT12_llPT13_lli
                                        ; -- End function
	.set _ZN12_GLOBAL__N_127rocblas_gemm_batched_kernelIfLi16ELi16ELi64ELi64ELi4ELi64ELi4ELi4ELi64ELc78ELc84EKPK16rocblas_bfloat16KPKfKPfEEvlllT_PT11_llSC_llSA_PT12_llPT13_lli.num_vgpr, 80
	.set _ZN12_GLOBAL__N_127rocblas_gemm_batched_kernelIfLi16ELi16ELi64ELi64ELi4ELi64ELi4ELi4ELi64ELc78ELc84EKPK16rocblas_bfloat16KPKfKPfEEvlllT_PT11_llSC_llSA_PT12_llPT13_lli.num_agpr, 0
	.set _ZN12_GLOBAL__N_127rocblas_gemm_batched_kernelIfLi16ELi16ELi64ELi64ELi4ELi64ELi4ELi4ELi64ELc78ELc84EKPK16rocblas_bfloat16KPKfKPfEEvlllT_PT11_llSC_llSA_PT12_llPT13_lli.numbered_sgpr, 38
	.set _ZN12_GLOBAL__N_127rocblas_gemm_batched_kernelIfLi16ELi16ELi64ELi64ELi4ELi64ELi4ELi4ELi64ELc78ELc84EKPK16rocblas_bfloat16KPKfKPfEEvlllT_PT11_llSC_llSA_PT12_llPT13_lli.num_named_barrier, 0
	.set _ZN12_GLOBAL__N_127rocblas_gemm_batched_kernelIfLi16ELi16ELi64ELi64ELi4ELi64ELi4ELi4ELi64ELc78ELc84EKPK16rocblas_bfloat16KPKfKPfEEvlllT_PT11_llSC_llSA_PT12_llPT13_lli.private_seg_size, 0
	.set _ZN12_GLOBAL__N_127rocblas_gemm_batched_kernelIfLi16ELi16ELi64ELi64ELi4ELi64ELi4ELi4ELi64ELc78ELc84EKPK16rocblas_bfloat16KPKfKPfEEvlllT_PT11_llSC_llSA_PT12_llPT13_lli.uses_vcc, 1
	.set _ZN12_GLOBAL__N_127rocblas_gemm_batched_kernelIfLi16ELi16ELi64ELi64ELi4ELi64ELi4ELi4ELi64ELc78ELc84EKPK16rocblas_bfloat16KPKfKPfEEvlllT_PT11_llSC_llSA_PT12_llPT13_lli.uses_flat_scratch, 1
	.set _ZN12_GLOBAL__N_127rocblas_gemm_batched_kernelIfLi16ELi16ELi64ELi64ELi4ELi64ELi4ELi4ELi64ELc78ELc84EKPK16rocblas_bfloat16KPKfKPfEEvlllT_PT11_llSC_llSA_PT12_llPT13_lli.has_dyn_sized_stack, 0
	.set _ZN12_GLOBAL__N_127rocblas_gemm_batched_kernelIfLi16ELi16ELi64ELi64ELi4ELi64ELi4ELi4ELi64ELc78ELc84EKPK16rocblas_bfloat16KPKfKPfEEvlllT_PT11_llSC_llSA_PT12_llPT13_lli.has_recursion, 0
	.set _ZN12_GLOBAL__N_127rocblas_gemm_batched_kernelIfLi16ELi16ELi64ELi64ELi4ELi64ELi4ELi4ELi64ELc78ELc84EKPK16rocblas_bfloat16KPKfKPfEEvlllT_PT11_llSC_llSA_PT12_llPT13_lli.has_indirect_call, 0
	.section	.AMDGPU.csdata,"",@progbits
; Kernel info:
; codeLenInByte = 2408
; TotalNumSgprs: 40
; NumVgprs: 80
; ScratchSize: 0
; MemoryBound: 0
; FloatMode: 240
; IeeeMode: 1
; LDSByteSize: 2048 bytes/workgroup (compile time only)
; SGPRBlocks: 0
; VGPRBlocks: 4
; NumSGPRsForWavesPerEU: 40
; NumVGPRsForWavesPerEU: 80
; NamedBarCnt: 0
; Occupancy: 12
; WaveLimiterHint : 1
; COMPUTE_PGM_RSRC2:SCRATCH_EN: 0
; COMPUTE_PGM_RSRC2:USER_SGPR: 2
; COMPUTE_PGM_RSRC2:TRAP_HANDLER: 0
; COMPUTE_PGM_RSRC2:TGID_X_EN: 1
; COMPUTE_PGM_RSRC2:TGID_Y_EN: 1
; COMPUTE_PGM_RSRC2:TGID_Z_EN: 1
; COMPUTE_PGM_RSRC2:TIDIG_COMP_CNT: 1
	.section	.text._ZN12_GLOBAL__N_127rocblas_gemm_batched_kernelIfLi16ELi16ELi64ELi64ELi4ELi64ELi4ELi4ELi64ELc84ELc84EKPK16rocblas_bfloat16KPKfKPfEEvlllT_PT11_llSC_llSA_PT12_llPT13_lli,"axG",@progbits,_ZN12_GLOBAL__N_127rocblas_gemm_batched_kernelIfLi16ELi16ELi64ELi64ELi4ELi64ELi4ELi4ELi64ELc84ELc84EKPK16rocblas_bfloat16KPKfKPfEEvlllT_PT11_llSC_llSA_PT12_llPT13_lli,comdat
	.globl	_ZN12_GLOBAL__N_127rocblas_gemm_batched_kernelIfLi16ELi16ELi64ELi64ELi4ELi64ELi4ELi4ELi64ELc84ELc84EKPK16rocblas_bfloat16KPKfKPfEEvlllT_PT11_llSC_llSA_PT12_llPT13_lli ; -- Begin function _ZN12_GLOBAL__N_127rocblas_gemm_batched_kernelIfLi16ELi16ELi64ELi64ELi4ELi64ELi4ELi4ELi64ELc84ELc84EKPK16rocblas_bfloat16KPKfKPfEEvlllT_PT11_llSC_llSA_PT12_llPT13_lli
	.p2align	8
	.type	_ZN12_GLOBAL__N_127rocblas_gemm_batched_kernelIfLi16ELi16ELi64ELi64ELi4ELi64ELi4ELi4ELi64ELc84ELc84EKPK16rocblas_bfloat16KPKfKPfEEvlllT_PT11_llSC_llSA_PT12_llPT13_lli,@function
_ZN12_GLOBAL__N_127rocblas_gemm_batched_kernelIfLi16ELi16ELi64ELi64ELi4ELi64ELi4ELi4ELi64ELc84ELc84EKPK16rocblas_bfloat16KPKfKPfEEvlllT_PT11_llSC_llSA_PT12_llPT13_lli: ; @_ZN12_GLOBAL__N_127rocblas_gemm_batched_kernelIfLi16ELi16ELi64ELi64ELi4ELi64ELi4ELi4ELi64ELc84ELc84EKPK16rocblas_bfloat16KPKfKPfEEvlllT_PT11_llSC_llSA_PT12_llPT13_lli
; %bb.0:
	s_load_b32 s31, s[0:1], 0x88
	s_bfe_u32 s2, ttmp6, 0x40014
	s_lshr_b32 s3, ttmp7, 16
	s_add_co_i32 s2, s2, 1
	s_bfe_u32 s4, ttmp6, 0x40008
	s_mul_i32 s2, s3, s2
	s_getreg_b32 s28, hwreg(HW_REG_IB_STS2, 6, 4)
	s_add_co_i32 s4, s4, s2
	s_cmp_eq_u32 s28, 0
	s_cselect_b32 s2, s3, s4
	s_mov_b32 s3, 0
	s_wait_kmcnt 0x0
	s_cmp_ge_i32 s2, s31
	s_cbranch_scc1 .LBB170_10
; %bb.1:
	v_bfe_u32 v2, v0, 10, 10
	v_and_b32_e32 v6, 0x3ff, v0
	s_bfe_u32 s30, ttmp6, 0x4000c
	s_bfe_u32 s34, ttmp6, 0x40010
	s_clause 0x2
	s_load_b256 s[4:11], s[0:1], 0x20
	s_load_b128 s[24:27], s[0:1], 0x40
	s_load_b128 s[20:23], s[0:1], 0x78
	v_dual_mov_b32 v3, 0 :: v_dual_lshlrev_b32 v14, 4, v2
	s_and_b32 s33, ttmp7, 0xffff
	s_add_co_i32 s30, s30, 1
	s_add_co_i32 s34, s34, 1
	s_and_b32 s29, ttmp6, 15
	s_mul_i32 s30, ttmp9, s30
	s_mul_i32 s34, s33, s34
	s_bfe_u32 s35, ttmp6, 0x40004
	v_dual_add_nc_u32 v7, v14, v6 :: v_dual_bitop2_b32 v16, 3, v0 bitop3:0x40
	s_add_co_i32 s29, s29, s30
	s_add_co_i32 s35, s35, s34
	s_cmp_eq_u32 s28, 0
	s_delay_alu instid0(VALU_DEP_1)
	v_dual_lshrrev_b32 v8, 2, v7 :: v_dual_bitop2_b32 v15, 63, v7 bitop3:0x40
	s_cselect_b32 s28, ttmp9, s29
	s_cselect_b32 s30, s33, s35
	s_ashr_i32 s29, s28, 31
	s_load_b256 s[12:19], s[0:1], 0x58
	s_lshl_b64 s[34:35], s[28:29], 6
	s_delay_alu instid0(SALU_CYCLE_1)
	v_dual_mov_b32 v9, v3 :: v_dual_bitop2_b32 v0, s34, v15 bitop3:0x54
	v_mov_b32_e32 v1, s35
	s_load_b32 s33, s[0:1], 0x50
	v_add_nc_u32_e32 v39, 0x400, v14
	s_wait_kmcnt 0x0
	v_mad_nc_u64_u32 v[10:11], s24, v16, v[8:9]
	v_lshlrev_b32_e32 v9, 2, v15
	v_mul_u64_e32 v[12:13], s[6:7], v[0:1]
	s_lshl_b32 s6, s30, 6
	s_mov_b32 s7, s3
	s_load_b96 s[28:30], s[0:1], 0x10
	v_add_nc_u64_e32 v[4:5], s[6:7], v[2:3]
	v_dual_lshrrev_b32 v2, 6, v7 :: v_dual_lshlrev_b32 v7, 2, v16
	v_lshlrev_b32_e32 v38, 2, v6
	v_mad_u32 v11, s25, v16, v11
	s_delay_alu instid0(VALU_DEP_3)
	v_lshl_or_b32 v36, v2, 8, v9
	v_mul_u64_e32 v[0:1], s[20:21], v[4:5]
	v_mul_u64_e32 v[4:5], s[14:15], v[4:5]
	v_lshl_or_b32 v15, v8, 4, v7
	v_dual_mov_b32 v7, v3 :: v_dual_lshlrev_b32 v2, 1, v2
	s_cmp_eq_f32 s33, 0
	s_delay_alu instid0(VALU_DEP_2)
	v_add_nc_u32_e32 v37, 0x400, v15
	v_add_nc_u64_e32 v[8:9], s[6:7], v[10:11]
	s_wait_xcnt 0x0
	s_cselect_b32 s1, -1, 0
	v_add_nc_u64_e32 v[10:11], s[34:35], v[6:7]
	s_wait_kmcnt 0x0
	v_cmp_gt_i64_e64 s0, s[28:29], 0
	s_lshl_b64 s[6:7], s[8:9], 1
	s_lshl_b64 s[20:21], s[20:21], 4
	;; [unrolled: 1-line block ×3, first 2 shown]
	v_lshlrev_b64_e32 v[6:7], 1, v[8:9]
	s_lshl_b64 s[8:9], s[22:23], 2
	v_lshlrev_b64_e32 v[10:11], 2, v[10:11]
	s_lshl_b64 s[14:15], s[20:21], 2
	s_lshl_b64 s[16:17], s[16:17], 2
	v_lshl_add_u64 v[8:9], v[12:13], 1, s[6:7]
	v_cndmask_b32_e64 v12, 0, 1, s0
	v_lshl_add_u64 v[6:7], s[26:27], 1, v[6:7]
	s_lshl_b64 s[6:7], s[24:25], 3
	s_lshl_b64 s[20:21], s[34:35], 2
	v_add_nc_u64_e32 v[8:9], v[8:9], v[2:3]
	v_cmp_ne_u32_e64 s0, 1, v12
	s_branch .LBB170_3
.LBB170_2:                              ;   in Loop: Header=BB170_3 Depth=1
	s_add_co_i32 s2, s2, 0x10000
	s_delay_alu instid0(SALU_CYCLE_1)
	s_cmp_lt_i32 s2, s31
	s_cbranch_scc0 .LBB170_10
.LBB170_3:                              ; =>This Loop Header: Depth=1
                                        ;     Child Loop BB170_5 Depth 2
	s_wait_xcnt 0x0
	v_dual_mov_b32 v2, s2 :: v_dual_mov_b32 v29, 0
	v_dual_mov_b32 v28, 0 :: v_dual_mov_b32 v27, 0
	v_dual_mov_b32 v26, 0 :: v_dual_mov_b32 v25, 0
	s_clause 0x1
	global_load_b64 v[20:21], v2, s[12:13] scale_offset
	global_load_b64 v[30:31], v2, s[18:19] scale_offset
	v_dual_mov_b32 v24, 0 :: v_dual_mov_b32 v23, 0
	v_dual_mov_b32 v22, 0 :: v_dual_mov_b32 v19, 0
	;; [unrolled: 1-line block ×5, first 2 shown]
	v_mov_b32_e32 v12, 0
	s_and_b32 vcc_lo, exec_lo, s0
	s_cbranch_vccnz .LBB170_6
; %bb.4:                                ;   in Loop: Header=BB170_3 Depth=1
	s_lshl_b64 s[22:23], s[2:3], 3
	v_mov_b32_e32 v12, 0
	s_add_nc_u64 s[24:25], s[10:11], s[22:23]
	s_add_nc_u64 s[22:23], s[4:5], s[22:23]
	s_clause 0x1
	global_load_b64 v[28:29], v3, s[24:25]
	global_load_b64 v[34:35], v3, s[22:23]
	s_wait_xcnt 0x0
	s_mov_b64 s[22:23], 0
	v_dual_mov_b32 v13, v12 :: v_dual_mov_b32 v14, v12
	v_dual_mov_b32 v15, v12 :: v_dual_mov_b32 v16, v12
	;; [unrolled: 1-line block ×6, first 2 shown]
	v_mov_b32_e32 v27, v12
	s_wait_loadcnt 0x1
	v_add_nc_u64_e32 v[32:33], v[28:29], v[6:7]
	s_wait_loadcnt 0x0
	v_add_nc_u64_e32 v[34:35], v[34:35], v[8:9]
	v_dual_mov_b32 v28, v12 :: v_dual_mov_b32 v29, v12
.LBB170_5:                              ;   Parent Loop BB170_3 Depth=1
                                        ; =>  This Inner Loop Header: Depth=2
	flat_load_u16 v2, v[34:35]
	flat_load_u16 v40, v[32:33]
	s_add_nc_u64 s[22:23], s[22:23], 4
	s_wait_xcnt 0x0
	v_add_nc_u64_e32 v[32:33], s[6:7], v[32:33]
	v_cmp_lt_i64_e64 s24, s[22:23], s[28:29]
	v_add_nc_u64_e32 v[34:35], 8, v[34:35]
	s_and_b32 vcc_lo, exec_lo, s24
	s_wait_loadcnt_dscnt 0x0
	v_dual_lshlrev_b32 v2, 16, v2 :: v_dual_lshlrev_b32 v40, 16, v40
	ds_store_b32 v36, v2
	ds_store_b32 v37, v40
	s_wait_dscnt 0x0
	s_barrier_signal -1
	s_barrier_wait -1
	ds_load_2addr_b32 v[56:57], v38 offset1:16
	ds_load_2addr_b32 v[58:59], v38 offset0:64 offset1:80
	ds_load_2addr_b32 v[60:61], v38 offset0:128 offset1:144
	;; [unrolled: 1-line block ×6, first 2 shown]
	ds_load_b128 v[40:43], v39
	ds_load_b128 v[44:47], v39 offset:256
	ds_load_2addr_b32 v[70:71], v38 offset0:224 offset1:240
	ds_load_b128 v[48:51], v39 offset:512
	ds_load_b128 v[52:55], v39 offset:768
	s_wait_dscnt 0x0
	s_barrier_signal -1
	s_barrier_wait -1
	v_dual_mov_b32 v72, v57 :: v_dual_mov_b32 v73, v56
	v_dual_mov_b32 v56, v59 :: v_dual_mov_b32 v57, v58
	;; [unrolled: 1-line block ×6, first 2 shown]
	v_pk_fma_f32 v[28:29], v[72:73], v[40:41], v[28:29] op_sel_hi:[1,0,1]
	v_pk_fma_f32 v[24:25], v[72:73], v[44:45], v[24:25] op_sel_hi:[1,0,1]
	s_delay_alu instid0(VALU_DEP_4)
	v_pk_fma_f32 v[26:27], v[62:63], v[40:41], v[26:27] op_sel_hi:[1,0,1]
	v_pk_fma_f32 v[18:19], v[72:73], v[48:49], v[18:19] op_sel_hi:[1,0,1]
	;; [unrolled: 1-line block ×6, first 2 shown]
	v_dual_mov_b32 v66, v69 :: v_dual_mov_b32 v67, v68
	v_pk_fma_f32 v[28:29], v[56:57], v[40:41], v[28:29] op_sel:[0,1,0]
	v_pk_fma_f32 v[26:27], v[64:65], v[40:41], v[26:27] op_sel:[0,1,0]
	;; [unrolled: 1-line block ×8, first 2 shown]
	v_dual_mov_b32 v2, v43 :: v_dual_mov_b32 v68, v71
	v_dual_mov_b32 v69, v70 :: v_dual_mov_b32 v70, v47
	;; [unrolled: 1-line block ×3, first 2 shown]
	v_pk_fma_f32 v[28:29], v[58:59], v[42:43], v[28:29] op_sel_hi:[1,0,1]
	v_pk_fma_f32 v[26:27], v[66:67], v[42:43], v[26:27] op_sel_hi:[1,0,1]
	;; [unrolled: 1-line block ×16, first 2 shown]
	s_cbranch_vccnz .LBB170_5
.LBB170_6:                              ;   in Loop: Header=BB170_3 Depth=1
	s_wait_loadcnt 0x0
	v_add_nc_u64_e32 v[30:31], s[8:9], v[30:31]
	s_and_not1_b32 vcc_lo, exec_lo, s1
	s_delay_alu instid0(VALU_DEP_1) | instskip(NEXT) | instid1(VALU_DEP_1)
	v_lshl_add_u64 v[30:31], v[0:1], 2, v[30:31]
	v_add_nc_u64_e32 v[32:33], v[30:31], v[10:11]
	v_add_nc_u64_e32 v[30:31], s[14:15], v[30:31]
	s_cbranch_vccnz .LBB170_8
; %bb.7:                                ;   in Loop: Header=BB170_3 Depth=1
	s_wait_xcnt 0x0
	v_dual_mul_f32 v2, s30, v29 :: v_dual_mul_f32 v40, s30, v28
	s_delay_alu instid0(VALU_DEP_2)
	v_add_nc_u64_e32 v[34:35], s[14:15], v[30:31]
	v_dual_mul_f32 v41, s30, v27 :: v_dual_mul_f32 v42, s30, v26
	s_clause 0x3
	flat_store_b32 v[32:33], v2
	flat_store_b32 v[32:33], v40 offset:64
	flat_store_b32 v[32:33], v41 offset:128
	;; [unrolled: 1-line block ×3, first 2 shown]
	s_wait_xcnt 0x1
	v_add_nc_u64_e32 v[40:41], v[30:31], v[10:11]
	v_dual_mul_f32 v2, s30, v25 :: v_dual_mul_f32 v44, s30, v24
	s_wait_xcnt 0x0
	v_add_nc_u64_e32 v[42:43], v[34:35], v[10:11]
	v_add_nc_u64_e32 v[34:35], s[14:15], v[34:35]
	v_dual_mul_f32 v45, s30, v23 :: v_dual_mul_f32 v46, s30, v22
	s_clause 0x3
	flat_store_b32 v[40:41], v2
	flat_store_b32 v[40:41], v44 offset:64
	flat_store_b32 v[40:41], v45 offset:128
	;; [unrolled: 1-line block ×3, first 2 shown]
	s_wait_xcnt 0x0
	v_dual_mul_f32 v2, s30, v19 :: v_dual_mul_f32 v40, s30, v18
	v_dual_mul_f32 v41, s30, v17 :: v_dual_mul_f32 v44, s30, v16
	v_add_nc_u64_e32 v[34:35], v[34:35], v[10:11]
	s_clause 0x3
	flat_store_b32 v[42:43], v2
	flat_store_b32 v[42:43], v40 offset:64
	flat_store_b32 v[42:43], v41 offset:128
	;; [unrolled: 1-line block ×3, first 2 shown]
	s_wait_xcnt 0x2
	v_dual_mul_f32 v2, s30, v15 :: v_dual_mul_f32 v40, s30, v14
	s_wait_xcnt 0x0
	v_dual_mul_f32 v41, s30, v13 :: v_dual_mul_f32 v42, s30, v12
	s_clause 0x3
	flat_store_b32 v[34:35], v2
	flat_store_b32 v[34:35], v40 offset:64
	flat_store_b32 v[34:35], v41 offset:128
	;; [unrolled: 1-line block ×3, first 2 shown]
	s_cbranch_execnz .LBB170_2
	s_branch .LBB170_9
.LBB170_8:                              ;   in Loop: Header=BB170_3 Depth=1
.LBB170_9:                              ;   in Loop: Header=BB170_3 Depth=1
	v_add_nc_u64_e32 v[20:21], s[16:17], v[20:21]
	s_delay_alu instid0(VALU_DEP_1) | instskip(SKIP_1) | instid1(VALU_DEP_1)
	v_lshl_add_u64 v[20:21], v[4:5], 2, v[20:21]
	s_wait_xcnt 0x0
	v_add_nc_u64_e32 v[34:35], v[20:21], v[10:11]
	v_add_nc_u64_e32 v[20:21], s[20:21], v[20:21]
	flat_load_b32 v2, v[34:35]
	s_wait_loadcnt_dscnt 0x0
	v_mul_f32_e32 v2, s33, v2
	s_delay_alu instid0(VALU_DEP_1) | instskip(SKIP_4) | instid1(VALU_DEP_1)
	v_fmac_f32_e32 v2, s30, v29
	flat_store_b32 v[32:33], v2
	flat_load_b32 v2, v[34:35] offset:64
	s_wait_loadcnt_dscnt 0x0
	v_mul_f32_e32 v2, s33, v2
	v_fmac_f32_e32 v2, s30, v28
	v_add_nc_u64_e32 v[28:29], v[20:21], v[10:11]
	v_add_nc_u64_e32 v[20:21], s[20:21], v[20:21]
	flat_store_b32 v[32:33], v2 offset:64
	flat_load_b32 v2, v[34:35] offset:128
	s_wait_loadcnt_dscnt 0x0
	v_mul_f32_e32 v2, s33, v2
	s_delay_alu instid0(VALU_DEP_1) | instskip(SKIP_4) | instid1(VALU_DEP_1)
	v_fmac_f32_e32 v2, s30, v27
	flat_store_b32 v[32:33], v2 offset:128
	flat_load_b32 v2, v[34:35] offset:192
	s_wait_loadcnt_dscnt 0x0
	v_mul_f32_e32 v2, s33, v2
	v_fmac_f32_e32 v2, s30, v26
	v_add_nc_u64_e32 v[26:27], v[30:31], v[10:11]
	flat_store_b32 v[32:33], v2 offset:192
	flat_load_b32 v2, v[28:29]
	s_wait_loadcnt_dscnt 0x0
	v_mul_f32_e32 v2, s33, v2
	s_delay_alu instid0(VALU_DEP_1) | instskip(SKIP_4) | instid1(VALU_DEP_1)
	v_fmac_f32_e32 v2, s30, v25
	flat_store_b32 v[26:27], v2
	flat_load_b32 v2, v[28:29] offset:64
	s_wait_loadcnt_dscnt 0x0
	v_mul_f32_e32 v2, s33, v2
	v_fmac_f32_e32 v2, s30, v24
	v_add_nc_u64_e32 v[24:25], v[20:21], v[10:11]
	flat_store_b32 v[26:27], v2 offset:64
	flat_load_b32 v2, v[28:29] offset:128
	s_wait_loadcnt_dscnt 0x0
	v_mul_f32_e32 v2, s33, v2
	s_delay_alu instid0(VALU_DEP_1) | instskip(SKIP_4) | instid1(VALU_DEP_1)
	v_fmac_f32_e32 v2, s30, v23
	flat_store_b32 v[26:27], v2 offset:128
	flat_load_b32 v2, v[28:29] offset:192
	s_wait_loadcnt_dscnt 0x0
	v_mul_f32_e32 v2, s33, v2
	v_fmac_f32_e32 v2, s30, v22
	v_add_nc_u64_e32 v[22:23], s[14:15], v[30:31]
	flat_store_b32 v[26:27], v2 offset:192
	flat_load_b32 v2, v[24:25]
	v_add_nc_u64_e32 v[26:27], v[22:23], v[10:11]
	s_wait_loadcnt_dscnt 0x0
	v_mul_f32_e32 v2, s33, v2
	s_delay_alu instid0(VALU_DEP_1) | instskip(SKIP_4) | instid1(VALU_DEP_1)
	v_fmac_f32_e32 v2, s30, v19
	flat_store_b32 v[26:27], v2
	flat_load_b32 v2, v[24:25] offset:64
	s_wait_loadcnt_dscnt 0x0
	v_mul_f32_e32 v2, s33, v2
	v_fmac_f32_e32 v2, s30, v18
	v_add_nc_u64_e32 v[18:19], s[20:21], v[20:21]
	flat_store_b32 v[26:27], v2 offset:64
	flat_load_b32 v2, v[24:25] offset:128
	v_add_nc_u64_e32 v[18:19], v[18:19], v[10:11]
	s_wait_loadcnt_dscnt 0x0
	v_mul_f32_e32 v2, s33, v2
	s_delay_alu instid0(VALU_DEP_1) | instskip(SKIP_4) | instid1(VALU_DEP_1)
	v_fmac_f32_e32 v2, s30, v17
	flat_store_b32 v[26:27], v2 offset:128
	flat_load_b32 v2, v[24:25] offset:192
	s_wait_loadcnt_dscnt 0x0
	v_mul_f32_e32 v2, s33, v2
	v_fmac_f32_e32 v2, s30, v16
	v_add_nc_u64_e32 v[16:17], s[14:15], v[22:23]
	flat_store_b32 v[26:27], v2 offset:192
	flat_load_b32 v2, v[18:19]
	v_add_nc_u64_e32 v[16:17], v[16:17], v[10:11]
	s_wait_loadcnt_dscnt 0x0
	v_mul_f32_e32 v2, s33, v2
	s_delay_alu instid0(VALU_DEP_1) | instskip(SKIP_4) | instid1(VALU_DEP_1)
	v_fmac_f32_e32 v2, s30, v15
	flat_store_b32 v[16:17], v2
	flat_load_b32 v2, v[18:19] offset:64
	s_wait_loadcnt_dscnt 0x0
	v_mul_f32_e32 v2, s33, v2
	v_fmac_f32_e32 v2, s30, v14
	flat_store_b32 v[16:17], v2 offset:64
	flat_load_b32 v2, v[18:19] offset:128
	s_wait_loadcnt_dscnt 0x0
	v_mul_f32_e32 v2, s33, v2
	s_delay_alu instid0(VALU_DEP_1) | instskip(SKIP_4) | instid1(VALU_DEP_1)
	v_fmac_f32_e32 v2, s30, v13
	flat_store_b32 v[16:17], v2 offset:128
	flat_load_b32 v2, v[18:19] offset:192
	s_wait_loadcnt_dscnt 0x0
	v_mul_f32_e32 v2, s33, v2
	v_fmac_f32_e32 v2, s30, v12
	flat_store_b32 v[16:17], v2 offset:192
	s_branch .LBB170_2
.LBB170_10:
	s_sendmsg sendmsg(MSG_DEALLOC_VGPRS)
	s_endpgm
	.section	.rodata,"a",@progbits
	.p2align	6, 0x0
	.amdhsa_kernel _ZN12_GLOBAL__N_127rocblas_gemm_batched_kernelIfLi16ELi16ELi64ELi64ELi4ELi64ELi4ELi4ELi64ELc84ELc84EKPK16rocblas_bfloat16KPKfKPfEEvlllT_PT11_llSC_llSA_PT12_llPT13_lli
		.amdhsa_group_segment_fixed_size 2048
		.amdhsa_private_segment_fixed_size 0
		.amdhsa_kernarg_size 140
		.amdhsa_user_sgpr_count 2
		.amdhsa_user_sgpr_dispatch_ptr 0
		.amdhsa_user_sgpr_queue_ptr 0
		.amdhsa_user_sgpr_kernarg_segment_ptr 1
		.amdhsa_user_sgpr_dispatch_id 0
		.amdhsa_user_sgpr_kernarg_preload_length 0
		.amdhsa_user_sgpr_kernarg_preload_offset 0
		.amdhsa_user_sgpr_private_segment_size 0
		.amdhsa_wavefront_size32 1
		.amdhsa_uses_dynamic_stack 0
		.amdhsa_enable_private_segment 0
		.amdhsa_system_sgpr_workgroup_id_x 1
		.amdhsa_system_sgpr_workgroup_id_y 1
		.amdhsa_system_sgpr_workgroup_id_z 1
		.amdhsa_system_sgpr_workgroup_info 0
		.amdhsa_system_vgpr_workitem_id 1
		.amdhsa_next_free_vgpr 78
		.amdhsa_next_free_sgpr 36
		.amdhsa_named_barrier_count 0
		.amdhsa_reserve_vcc 1
		.amdhsa_float_round_mode_32 0
		.amdhsa_float_round_mode_16_64 0
		.amdhsa_float_denorm_mode_32 3
		.amdhsa_float_denorm_mode_16_64 3
		.amdhsa_fp16_overflow 0
		.amdhsa_memory_ordered 1
		.amdhsa_forward_progress 1
		.amdhsa_inst_pref_size 19
		.amdhsa_round_robin_scheduling 0
		.amdhsa_exception_fp_ieee_invalid_op 0
		.amdhsa_exception_fp_denorm_src 0
		.amdhsa_exception_fp_ieee_div_zero 0
		.amdhsa_exception_fp_ieee_overflow 0
		.amdhsa_exception_fp_ieee_underflow 0
		.amdhsa_exception_fp_ieee_inexact 0
		.amdhsa_exception_int_div_zero 0
	.end_amdhsa_kernel
	.section	.text._ZN12_GLOBAL__N_127rocblas_gemm_batched_kernelIfLi16ELi16ELi64ELi64ELi4ELi64ELi4ELi4ELi64ELc84ELc84EKPK16rocblas_bfloat16KPKfKPfEEvlllT_PT11_llSC_llSA_PT12_llPT13_lli,"axG",@progbits,_ZN12_GLOBAL__N_127rocblas_gemm_batched_kernelIfLi16ELi16ELi64ELi64ELi4ELi64ELi4ELi4ELi64ELc84ELc84EKPK16rocblas_bfloat16KPKfKPfEEvlllT_PT11_llSC_llSA_PT12_llPT13_lli,comdat
.Lfunc_end170:
	.size	_ZN12_GLOBAL__N_127rocblas_gemm_batched_kernelIfLi16ELi16ELi64ELi64ELi4ELi64ELi4ELi4ELi64ELc84ELc84EKPK16rocblas_bfloat16KPKfKPfEEvlllT_PT11_llSC_llSA_PT12_llPT13_lli, .Lfunc_end170-_ZN12_GLOBAL__N_127rocblas_gemm_batched_kernelIfLi16ELi16ELi64ELi64ELi4ELi64ELi4ELi4ELi64ELc84ELc84EKPK16rocblas_bfloat16KPKfKPfEEvlllT_PT11_llSC_llSA_PT12_llPT13_lli
                                        ; -- End function
	.set _ZN12_GLOBAL__N_127rocblas_gemm_batched_kernelIfLi16ELi16ELi64ELi64ELi4ELi64ELi4ELi4ELi64ELc84ELc84EKPK16rocblas_bfloat16KPKfKPfEEvlllT_PT11_llSC_llSA_PT12_llPT13_lli.num_vgpr, 78
	.set _ZN12_GLOBAL__N_127rocblas_gemm_batched_kernelIfLi16ELi16ELi64ELi64ELi4ELi64ELi4ELi4ELi64ELc84ELc84EKPK16rocblas_bfloat16KPKfKPfEEvlllT_PT11_llSC_llSA_PT12_llPT13_lli.num_agpr, 0
	.set _ZN12_GLOBAL__N_127rocblas_gemm_batched_kernelIfLi16ELi16ELi64ELi64ELi4ELi64ELi4ELi4ELi64ELc84ELc84EKPK16rocblas_bfloat16KPKfKPfEEvlllT_PT11_llSC_llSA_PT12_llPT13_lli.numbered_sgpr, 36
	.set _ZN12_GLOBAL__N_127rocblas_gemm_batched_kernelIfLi16ELi16ELi64ELi64ELi4ELi64ELi4ELi4ELi64ELc84ELc84EKPK16rocblas_bfloat16KPKfKPfEEvlllT_PT11_llSC_llSA_PT12_llPT13_lli.num_named_barrier, 0
	.set _ZN12_GLOBAL__N_127rocblas_gemm_batched_kernelIfLi16ELi16ELi64ELi64ELi4ELi64ELi4ELi4ELi64ELc84ELc84EKPK16rocblas_bfloat16KPKfKPfEEvlllT_PT11_llSC_llSA_PT12_llPT13_lli.private_seg_size, 0
	.set _ZN12_GLOBAL__N_127rocblas_gemm_batched_kernelIfLi16ELi16ELi64ELi64ELi4ELi64ELi4ELi4ELi64ELc84ELc84EKPK16rocblas_bfloat16KPKfKPfEEvlllT_PT11_llSC_llSA_PT12_llPT13_lli.uses_vcc, 1
	.set _ZN12_GLOBAL__N_127rocblas_gemm_batched_kernelIfLi16ELi16ELi64ELi64ELi4ELi64ELi4ELi4ELi64ELc84ELc84EKPK16rocblas_bfloat16KPKfKPfEEvlllT_PT11_llSC_llSA_PT12_llPT13_lli.uses_flat_scratch, 1
	.set _ZN12_GLOBAL__N_127rocblas_gemm_batched_kernelIfLi16ELi16ELi64ELi64ELi4ELi64ELi4ELi4ELi64ELc84ELc84EKPK16rocblas_bfloat16KPKfKPfEEvlllT_PT11_llSC_llSA_PT12_llPT13_lli.has_dyn_sized_stack, 0
	.set _ZN12_GLOBAL__N_127rocblas_gemm_batched_kernelIfLi16ELi16ELi64ELi64ELi4ELi64ELi4ELi4ELi64ELc84ELc84EKPK16rocblas_bfloat16KPKfKPfEEvlllT_PT11_llSC_llSA_PT12_llPT13_lli.has_recursion, 0
	.set _ZN12_GLOBAL__N_127rocblas_gemm_batched_kernelIfLi16ELi16ELi64ELi64ELi4ELi64ELi4ELi4ELi64ELc84ELc84EKPK16rocblas_bfloat16KPKfKPfEEvlllT_PT11_llSC_llSA_PT12_llPT13_lli.has_indirect_call, 0
	.section	.AMDGPU.csdata,"",@progbits
; Kernel info:
; codeLenInByte = 2376
; TotalNumSgprs: 38
; NumVgprs: 78
; ScratchSize: 0
; MemoryBound: 0
; FloatMode: 240
; IeeeMode: 1
; LDSByteSize: 2048 bytes/workgroup (compile time only)
; SGPRBlocks: 0
; VGPRBlocks: 4
; NumSGPRsForWavesPerEU: 38
; NumVGPRsForWavesPerEU: 78
; NamedBarCnt: 0
; Occupancy: 12
; WaveLimiterHint : 1
; COMPUTE_PGM_RSRC2:SCRATCH_EN: 0
; COMPUTE_PGM_RSRC2:USER_SGPR: 2
; COMPUTE_PGM_RSRC2:TRAP_HANDLER: 0
; COMPUTE_PGM_RSRC2:TGID_X_EN: 1
; COMPUTE_PGM_RSRC2:TGID_Y_EN: 1
; COMPUTE_PGM_RSRC2:TGID_Z_EN: 1
; COMPUTE_PGM_RSRC2:TIDIG_COMP_CNT: 1
	.section	.text._ZN12_GLOBAL__N_127rocblas_gemm_batched_kernelIfLi16ELi16ELi64ELi64ELi4ELi64ELi4ELi4ELi64ELc67ELc67EKPK16rocblas_bfloat16KPKfKPfEEvlllT_PT11_llSC_llSA_PT12_llPT13_lli,"axG",@progbits,_ZN12_GLOBAL__N_127rocblas_gemm_batched_kernelIfLi16ELi16ELi64ELi64ELi4ELi64ELi4ELi4ELi64ELc67ELc67EKPK16rocblas_bfloat16KPKfKPfEEvlllT_PT11_llSC_llSA_PT12_llPT13_lli,comdat
	.globl	_ZN12_GLOBAL__N_127rocblas_gemm_batched_kernelIfLi16ELi16ELi64ELi64ELi4ELi64ELi4ELi4ELi64ELc67ELc67EKPK16rocblas_bfloat16KPKfKPfEEvlllT_PT11_llSC_llSA_PT12_llPT13_lli ; -- Begin function _ZN12_GLOBAL__N_127rocblas_gemm_batched_kernelIfLi16ELi16ELi64ELi64ELi4ELi64ELi4ELi4ELi64ELc67ELc67EKPK16rocblas_bfloat16KPKfKPfEEvlllT_PT11_llSC_llSA_PT12_llPT13_lli
	.p2align	8
	.type	_ZN12_GLOBAL__N_127rocblas_gemm_batched_kernelIfLi16ELi16ELi64ELi64ELi4ELi64ELi4ELi4ELi64ELc67ELc67EKPK16rocblas_bfloat16KPKfKPfEEvlllT_PT11_llSC_llSA_PT12_llPT13_lli,@function
_ZN12_GLOBAL__N_127rocblas_gemm_batched_kernelIfLi16ELi16ELi64ELi64ELi4ELi64ELi4ELi4ELi64ELc67ELc67EKPK16rocblas_bfloat16KPKfKPfEEvlllT_PT11_llSC_llSA_PT12_llPT13_lli: ; @_ZN12_GLOBAL__N_127rocblas_gemm_batched_kernelIfLi16ELi16ELi64ELi64ELi4ELi64ELi4ELi4ELi64ELc67ELc67EKPK16rocblas_bfloat16KPKfKPfEEvlllT_PT11_llSC_llSA_PT12_llPT13_lli
; %bb.0:
	s_load_b32 s31, s[0:1], 0x88
	s_bfe_u32 s2, ttmp6, 0x40014
	s_lshr_b32 s3, ttmp7, 16
	s_add_co_i32 s2, s2, 1
	s_bfe_u32 s4, ttmp6, 0x40008
	s_mul_i32 s2, s3, s2
	s_getreg_b32 s28, hwreg(HW_REG_IB_STS2, 6, 4)
	s_add_co_i32 s4, s4, s2
	s_cmp_eq_u32 s28, 0
	s_cselect_b32 s2, s3, s4
	s_mov_b32 s3, 0
	s_wait_kmcnt 0x0
	s_cmp_ge_i32 s2, s31
	s_cbranch_scc1 .LBB171_10
; %bb.1:
	v_bfe_u32 v2, v0, 10, 10
	v_and_b32_e32 v6, 0x3ff, v0
	s_bfe_u32 s30, ttmp6, 0x4000c
	s_bfe_u32 s34, ttmp6, 0x40010
	s_clause 0x2
	s_load_b256 s[4:11], s[0:1], 0x20
	s_load_b128 s[24:27], s[0:1], 0x40
	s_load_b128 s[20:23], s[0:1], 0x78
	v_dual_mov_b32 v3, 0 :: v_dual_lshlrev_b32 v14, 4, v2
	s_and_b32 s33, ttmp7, 0xffff
	s_add_co_i32 s30, s30, 1
	s_add_co_i32 s34, s34, 1
	s_and_b32 s29, ttmp6, 15
	s_mul_i32 s30, ttmp9, s30
	s_mul_i32 s34, s33, s34
	s_bfe_u32 s35, ttmp6, 0x40004
	v_dual_add_nc_u32 v7, v14, v6 :: v_dual_bitop2_b32 v16, 3, v0 bitop3:0x40
	s_add_co_i32 s29, s29, s30
	s_add_co_i32 s35, s35, s34
	s_cmp_eq_u32 s28, 0
	s_delay_alu instid0(VALU_DEP_1)
	v_dual_lshrrev_b32 v8, 2, v7 :: v_dual_bitop2_b32 v15, 63, v7 bitop3:0x40
	s_cselect_b32 s28, ttmp9, s29
	s_cselect_b32 s30, s33, s35
	s_ashr_i32 s29, s28, 31
	s_load_b256 s[12:19], s[0:1], 0x58
	s_lshl_b64 s[34:35], s[28:29], 6
	s_delay_alu instid0(SALU_CYCLE_1)
	v_dual_mov_b32 v9, v3 :: v_dual_bitop2_b32 v0, s34, v15 bitop3:0x54
	v_mov_b32_e32 v1, s35
	s_load_b32 s33, s[0:1], 0x50
	v_add_nc_u32_e32 v39, 0x400, v14
	s_wait_kmcnt 0x0
	v_mad_nc_u64_u32 v[10:11], s24, v16, v[8:9]
	v_lshlrev_b32_e32 v9, 2, v15
	v_mul_u64_e32 v[12:13], s[6:7], v[0:1]
	s_lshl_b32 s6, s30, 6
	s_mov_b32 s7, s3
	s_load_b96 s[28:30], s[0:1], 0x10
	v_add_nc_u64_e32 v[4:5], s[6:7], v[2:3]
	v_dual_lshrrev_b32 v2, 6, v7 :: v_dual_lshlrev_b32 v7, 2, v16
	v_lshlrev_b32_e32 v38, 2, v6
	v_mad_u32 v11, s25, v16, v11
	s_delay_alu instid0(VALU_DEP_3)
	v_lshl_or_b32 v36, v2, 8, v9
	v_mul_u64_e32 v[0:1], s[20:21], v[4:5]
	v_mul_u64_e32 v[4:5], s[14:15], v[4:5]
	v_lshl_or_b32 v15, v8, 4, v7
	v_dual_mov_b32 v7, v3 :: v_dual_lshlrev_b32 v2, 1, v2
	s_cmp_eq_f32 s33, 0
	s_delay_alu instid0(VALU_DEP_2)
	v_add_nc_u32_e32 v37, 0x400, v15
	v_add_nc_u64_e32 v[8:9], s[6:7], v[10:11]
	s_wait_xcnt 0x0
	s_cselect_b32 s1, -1, 0
	v_add_nc_u64_e32 v[10:11], s[34:35], v[6:7]
	s_wait_kmcnt 0x0
	v_cmp_gt_i64_e64 s0, s[28:29], 0
	s_lshl_b64 s[6:7], s[8:9], 1
	s_lshl_b64 s[20:21], s[20:21], 4
	;; [unrolled: 1-line block ×3, first 2 shown]
	v_lshlrev_b64_e32 v[6:7], 1, v[8:9]
	s_lshl_b64 s[8:9], s[22:23], 2
	v_lshlrev_b64_e32 v[10:11], 2, v[10:11]
	s_lshl_b64 s[14:15], s[20:21], 2
	s_lshl_b64 s[16:17], s[16:17], 2
	v_lshl_add_u64 v[8:9], v[12:13], 1, s[6:7]
	v_cndmask_b32_e64 v12, 0, 1, s0
	v_lshl_add_u64 v[6:7], s[26:27], 1, v[6:7]
	s_lshl_b64 s[6:7], s[24:25], 3
	s_lshl_b64 s[20:21], s[34:35], 2
	v_add_nc_u64_e32 v[8:9], v[8:9], v[2:3]
	v_cmp_ne_u32_e64 s0, 1, v12
	s_branch .LBB171_3
.LBB171_2:                              ;   in Loop: Header=BB171_3 Depth=1
	s_add_co_i32 s2, s2, 0x10000
	s_delay_alu instid0(SALU_CYCLE_1)
	s_cmp_lt_i32 s2, s31
	s_cbranch_scc0 .LBB171_10
.LBB171_3:                              ; =>This Loop Header: Depth=1
                                        ;     Child Loop BB171_5 Depth 2
	s_wait_xcnt 0x0
	v_dual_mov_b32 v2, s2 :: v_dual_mov_b32 v29, 0
	v_dual_mov_b32 v28, 0 :: v_dual_mov_b32 v27, 0
	;; [unrolled: 1-line block ×3, first 2 shown]
	s_clause 0x1
	global_load_b64 v[20:21], v2, s[12:13] scale_offset
	global_load_b64 v[30:31], v2, s[18:19] scale_offset
	v_dual_mov_b32 v24, 0 :: v_dual_mov_b32 v23, 0
	v_dual_mov_b32 v22, 0 :: v_dual_mov_b32 v19, 0
	;; [unrolled: 1-line block ×5, first 2 shown]
	v_mov_b32_e32 v12, 0
	s_and_b32 vcc_lo, exec_lo, s0
	s_cbranch_vccnz .LBB171_6
; %bb.4:                                ;   in Loop: Header=BB171_3 Depth=1
	s_lshl_b64 s[22:23], s[2:3], 3
	v_mov_b32_e32 v12, 0
	s_add_nc_u64 s[24:25], s[10:11], s[22:23]
	s_add_nc_u64 s[22:23], s[4:5], s[22:23]
	s_clause 0x1
	global_load_b64 v[28:29], v3, s[24:25]
	global_load_b64 v[34:35], v3, s[22:23]
	s_wait_xcnt 0x0
	s_mov_b64 s[22:23], 0
	v_dual_mov_b32 v13, v12 :: v_dual_mov_b32 v14, v12
	v_dual_mov_b32 v15, v12 :: v_dual_mov_b32 v16, v12
	;; [unrolled: 1-line block ×6, first 2 shown]
	v_mov_b32_e32 v27, v12
	s_wait_loadcnt 0x1
	v_add_nc_u64_e32 v[32:33], v[28:29], v[6:7]
	s_wait_loadcnt 0x0
	v_add_nc_u64_e32 v[34:35], v[34:35], v[8:9]
	v_dual_mov_b32 v28, v12 :: v_dual_mov_b32 v29, v12
.LBB171_5:                              ;   Parent Loop BB171_3 Depth=1
                                        ; =>  This Inner Loop Header: Depth=2
	flat_load_u16 v2, v[34:35]
	flat_load_u16 v40, v[32:33]
	s_add_nc_u64 s[22:23], s[22:23], 4
	s_wait_xcnt 0x0
	v_add_nc_u64_e32 v[32:33], s[6:7], v[32:33]
	v_cmp_lt_i64_e64 s24, s[22:23], s[28:29]
	v_add_nc_u64_e32 v[34:35], 8, v[34:35]
	s_and_b32 vcc_lo, exec_lo, s24
	s_wait_loadcnt_dscnt 0x0
	v_dual_lshlrev_b32 v2, 16, v2 :: v_dual_lshlrev_b32 v40, 16, v40
	ds_store_b32 v36, v2
	ds_store_b32 v37, v40
	s_wait_dscnt 0x0
	s_barrier_signal -1
	s_barrier_wait -1
	ds_load_2addr_b32 v[56:57], v38 offset1:16
	ds_load_2addr_b32 v[58:59], v38 offset0:64 offset1:80
	ds_load_2addr_b32 v[60:61], v38 offset0:128 offset1:144
	;; [unrolled: 1-line block ×6, first 2 shown]
	ds_load_b128 v[40:43], v39
	ds_load_b128 v[44:47], v39 offset:256
	ds_load_2addr_b32 v[70:71], v38 offset0:224 offset1:240
	ds_load_b128 v[48:51], v39 offset:512
	ds_load_b128 v[52:55], v39 offset:768
	s_wait_dscnt 0x0
	s_barrier_signal -1
	s_barrier_wait -1
	v_dual_mov_b32 v72, v57 :: v_dual_mov_b32 v73, v56
	v_dual_mov_b32 v56, v59 :: v_dual_mov_b32 v57, v58
	;; [unrolled: 1-line block ×6, first 2 shown]
	v_pk_fma_f32 v[28:29], v[72:73], v[40:41], v[28:29] op_sel_hi:[1,0,1]
	v_pk_fma_f32 v[24:25], v[72:73], v[44:45], v[24:25] op_sel_hi:[1,0,1]
	s_delay_alu instid0(VALU_DEP_4)
	v_pk_fma_f32 v[26:27], v[62:63], v[40:41], v[26:27] op_sel_hi:[1,0,1]
	v_pk_fma_f32 v[18:19], v[72:73], v[48:49], v[18:19] op_sel_hi:[1,0,1]
	;; [unrolled: 1-line block ×6, first 2 shown]
	v_dual_mov_b32 v66, v69 :: v_dual_mov_b32 v67, v68
	v_pk_fma_f32 v[28:29], v[56:57], v[40:41], v[28:29] op_sel:[0,1,0]
	v_pk_fma_f32 v[26:27], v[64:65], v[40:41], v[26:27] op_sel:[0,1,0]
	;; [unrolled: 1-line block ×8, first 2 shown]
	v_dual_mov_b32 v2, v43 :: v_dual_mov_b32 v68, v71
	v_dual_mov_b32 v69, v70 :: v_dual_mov_b32 v70, v47
	;; [unrolled: 1-line block ×3, first 2 shown]
	v_pk_fma_f32 v[28:29], v[58:59], v[42:43], v[28:29] op_sel_hi:[1,0,1]
	v_pk_fma_f32 v[26:27], v[66:67], v[42:43], v[26:27] op_sel_hi:[1,0,1]
	;; [unrolled: 1-line block ×16, first 2 shown]
	s_cbranch_vccnz .LBB171_5
.LBB171_6:                              ;   in Loop: Header=BB171_3 Depth=1
	s_wait_loadcnt 0x0
	v_add_nc_u64_e32 v[30:31], s[8:9], v[30:31]
	s_and_not1_b32 vcc_lo, exec_lo, s1
	s_delay_alu instid0(VALU_DEP_1) | instskip(NEXT) | instid1(VALU_DEP_1)
	v_lshl_add_u64 v[30:31], v[0:1], 2, v[30:31]
	v_add_nc_u64_e32 v[32:33], v[30:31], v[10:11]
	v_add_nc_u64_e32 v[30:31], s[14:15], v[30:31]
	s_cbranch_vccnz .LBB171_8
; %bb.7:                                ;   in Loop: Header=BB171_3 Depth=1
	s_wait_xcnt 0x0
	v_dual_mul_f32 v2, s30, v29 :: v_dual_mul_f32 v40, s30, v28
	s_delay_alu instid0(VALU_DEP_2)
	v_add_nc_u64_e32 v[34:35], s[14:15], v[30:31]
	v_dual_mul_f32 v41, s30, v27 :: v_dual_mul_f32 v42, s30, v26
	s_clause 0x3
	flat_store_b32 v[32:33], v2
	flat_store_b32 v[32:33], v40 offset:64
	flat_store_b32 v[32:33], v41 offset:128
	flat_store_b32 v[32:33], v42 offset:192
	s_wait_xcnt 0x1
	v_add_nc_u64_e32 v[40:41], v[30:31], v[10:11]
	v_dual_mul_f32 v2, s30, v25 :: v_dual_mul_f32 v44, s30, v24
	s_wait_xcnt 0x0
	v_add_nc_u64_e32 v[42:43], v[34:35], v[10:11]
	v_add_nc_u64_e32 v[34:35], s[14:15], v[34:35]
	v_dual_mul_f32 v45, s30, v23 :: v_dual_mul_f32 v46, s30, v22
	s_clause 0x3
	flat_store_b32 v[40:41], v2
	flat_store_b32 v[40:41], v44 offset:64
	flat_store_b32 v[40:41], v45 offset:128
	;; [unrolled: 1-line block ×3, first 2 shown]
	s_wait_xcnt 0x0
	v_dual_mul_f32 v2, s30, v19 :: v_dual_mul_f32 v40, s30, v18
	v_dual_mul_f32 v41, s30, v17 :: v_dual_mul_f32 v44, s30, v16
	v_add_nc_u64_e32 v[34:35], v[34:35], v[10:11]
	s_clause 0x3
	flat_store_b32 v[42:43], v2
	flat_store_b32 v[42:43], v40 offset:64
	flat_store_b32 v[42:43], v41 offset:128
	;; [unrolled: 1-line block ×3, first 2 shown]
	s_wait_xcnt 0x2
	v_dual_mul_f32 v2, s30, v15 :: v_dual_mul_f32 v40, s30, v14
	s_wait_xcnt 0x0
	v_dual_mul_f32 v41, s30, v13 :: v_dual_mul_f32 v42, s30, v12
	s_clause 0x3
	flat_store_b32 v[34:35], v2
	flat_store_b32 v[34:35], v40 offset:64
	flat_store_b32 v[34:35], v41 offset:128
	;; [unrolled: 1-line block ×3, first 2 shown]
	s_cbranch_execnz .LBB171_2
	s_branch .LBB171_9
.LBB171_8:                              ;   in Loop: Header=BB171_3 Depth=1
.LBB171_9:                              ;   in Loop: Header=BB171_3 Depth=1
	v_add_nc_u64_e32 v[20:21], s[16:17], v[20:21]
	s_delay_alu instid0(VALU_DEP_1) | instskip(SKIP_1) | instid1(VALU_DEP_1)
	v_lshl_add_u64 v[20:21], v[4:5], 2, v[20:21]
	s_wait_xcnt 0x0
	v_add_nc_u64_e32 v[34:35], v[20:21], v[10:11]
	v_add_nc_u64_e32 v[20:21], s[20:21], v[20:21]
	flat_load_b32 v2, v[34:35]
	s_wait_loadcnt_dscnt 0x0
	v_mul_f32_e32 v2, s33, v2
	s_delay_alu instid0(VALU_DEP_1) | instskip(SKIP_4) | instid1(VALU_DEP_1)
	v_fmac_f32_e32 v2, s30, v29
	flat_store_b32 v[32:33], v2
	flat_load_b32 v2, v[34:35] offset:64
	s_wait_loadcnt_dscnt 0x0
	v_mul_f32_e32 v2, s33, v2
	v_fmac_f32_e32 v2, s30, v28
	v_add_nc_u64_e32 v[28:29], v[20:21], v[10:11]
	v_add_nc_u64_e32 v[20:21], s[20:21], v[20:21]
	flat_store_b32 v[32:33], v2 offset:64
	flat_load_b32 v2, v[34:35] offset:128
	s_wait_loadcnt_dscnt 0x0
	v_mul_f32_e32 v2, s33, v2
	s_delay_alu instid0(VALU_DEP_1) | instskip(SKIP_4) | instid1(VALU_DEP_1)
	v_fmac_f32_e32 v2, s30, v27
	flat_store_b32 v[32:33], v2 offset:128
	flat_load_b32 v2, v[34:35] offset:192
	s_wait_loadcnt_dscnt 0x0
	v_mul_f32_e32 v2, s33, v2
	v_fmac_f32_e32 v2, s30, v26
	v_add_nc_u64_e32 v[26:27], v[30:31], v[10:11]
	flat_store_b32 v[32:33], v2 offset:192
	flat_load_b32 v2, v[28:29]
	s_wait_loadcnt_dscnt 0x0
	v_mul_f32_e32 v2, s33, v2
	s_delay_alu instid0(VALU_DEP_1) | instskip(SKIP_4) | instid1(VALU_DEP_1)
	v_fmac_f32_e32 v2, s30, v25
	flat_store_b32 v[26:27], v2
	flat_load_b32 v2, v[28:29] offset:64
	s_wait_loadcnt_dscnt 0x0
	v_mul_f32_e32 v2, s33, v2
	v_fmac_f32_e32 v2, s30, v24
	v_add_nc_u64_e32 v[24:25], v[20:21], v[10:11]
	flat_store_b32 v[26:27], v2 offset:64
	flat_load_b32 v2, v[28:29] offset:128
	s_wait_loadcnt_dscnt 0x0
	v_mul_f32_e32 v2, s33, v2
	s_delay_alu instid0(VALU_DEP_1) | instskip(SKIP_4) | instid1(VALU_DEP_1)
	v_fmac_f32_e32 v2, s30, v23
	flat_store_b32 v[26:27], v2 offset:128
	flat_load_b32 v2, v[28:29] offset:192
	s_wait_loadcnt_dscnt 0x0
	v_mul_f32_e32 v2, s33, v2
	v_fmac_f32_e32 v2, s30, v22
	v_add_nc_u64_e32 v[22:23], s[14:15], v[30:31]
	flat_store_b32 v[26:27], v2 offset:192
	flat_load_b32 v2, v[24:25]
	v_add_nc_u64_e32 v[26:27], v[22:23], v[10:11]
	s_wait_loadcnt_dscnt 0x0
	v_mul_f32_e32 v2, s33, v2
	s_delay_alu instid0(VALU_DEP_1) | instskip(SKIP_4) | instid1(VALU_DEP_1)
	v_fmac_f32_e32 v2, s30, v19
	flat_store_b32 v[26:27], v2
	flat_load_b32 v2, v[24:25] offset:64
	s_wait_loadcnt_dscnt 0x0
	v_mul_f32_e32 v2, s33, v2
	v_fmac_f32_e32 v2, s30, v18
	v_add_nc_u64_e32 v[18:19], s[20:21], v[20:21]
	flat_store_b32 v[26:27], v2 offset:64
	flat_load_b32 v2, v[24:25] offset:128
	v_add_nc_u64_e32 v[18:19], v[18:19], v[10:11]
	s_wait_loadcnt_dscnt 0x0
	v_mul_f32_e32 v2, s33, v2
	s_delay_alu instid0(VALU_DEP_1) | instskip(SKIP_4) | instid1(VALU_DEP_1)
	v_fmac_f32_e32 v2, s30, v17
	flat_store_b32 v[26:27], v2 offset:128
	flat_load_b32 v2, v[24:25] offset:192
	s_wait_loadcnt_dscnt 0x0
	v_mul_f32_e32 v2, s33, v2
	v_fmac_f32_e32 v2, s30, v16
	v_add_nc_u64_e32 v[16:17], s[14:15], v[22:23]
	flat_store_b32 v[26:27], v2 offset:192
	flat_load_b32 v2, v[18:19]
	v_add_nc_u64_e32 v[16:17], v[16:17], v[10:11]
	s_wait_loadcnt_dscnt 0x0
	v_mul_f32_e32 v2, s33, v2
	s_delay_alu instid0(VALU_DEP_1) | instskip(SKIP_4) | instid1(VALU_DEP_1)
	v_fmac_f32_e32 v2, s30, v15
	flat_store_b32 v[16:17], v2
	flat_load_b32 v2, v[18:19] offset:64
	s_wait_loadcnt_dscnt 0x0
	v_mul_f32_e32 v2, s33, v2
	v_fmac_f32_e32 v2, s30, v14
	flat_store_b32 v[16:17], v2 offset:64
	flat_load_b32 v2, v[18:19] offset:128
	s_wait_loadcnt_dscnt 0x0
	v_mul_f32_e32 v2, s33, v2
	s_delay_alu instid0(VALU_DEP_1) | instskip(SKIP_4) | instid1(VALU_DEP_1)
	v_fmac_f32_e32 v2, s30, v13
	flat_store_b32 v[16:17], v2 offset:128
	flat_load_b32 v2, v[18:19] offset:192
	s_wait_loadcnt_dscnt 0x0
	v_mul_f32_e32 v2, s33, v2
	v_fmac_f32_e32 v2, s30, v12
	flat_store_b32 v[16:17], v2 offset:192
	s_branch .LBB171_2
.LBB171_10:
	s_sendmsg sendmsg(MSG_DEALLOC_VGPRS)
	s_endpgm
	.section	.rodata,"a",@progbits
	.p2align	6, 0x0
	.amdhsa_kernel _ZN12_GLOBAL__N_127rocblas_gemm_batched_kernelIfLi16ELi16ELi64ELi64ELi4ELi64ELi4ELi4ELi64ELc67ELc67EKPK16rocblas_bfloat16KPKfKPfEEvlllT_PT11_llSC_llSA_PT12_llPT13_lli
		.amdhsa_group_segment_fixed_size 2048
		.amdhsa_private_segment_fixed_size 0
		.amdhsa_kernarg_size 140
		.amdhsa_user_sgpr_count 2
		.amdhsa_user_sgpr_dispatch_ptr 0
		.amdhsa_user_sgpr_queue_ptr 0
		.amdhsa_user_sgpr_kernarg_segment_ptr 1
		.amdhsa_user_sgpr_dispatch_id 0
		.amdhsa_user_sgpr_kernarg_preload_length 0
		.amdhsa_user_sgpr_kernarg_preload_offset 0
		.amdhsa_user_sgpr_private_segment_size 0
		.amdhsa_wavefront_size32 1
		.amdhsa_uses_dynamic_stack 0
		.amdhsa_enable_private_segment 0
		.amdhsa_system_sgpr_workgroup_id_x 1
		.amdhsa_system_sgpr_workgroup_id_y 1
		.amdhsa_system_sgpr_workgroup_id_z 1
		.amdhsa_system_sgpr_workgroup_info 0
		.amdhsa_system_vgpr_workitem_id 1
		.amdhsa_next_free_vgpr 78
		.amdhsa_next_free_sgpr 36
		.amdhsa_named_barrier_count 0
		.amdhsa_reserve_vcc 1
		.amdhsa_float_round_mode_32 0
		.amdhsa_float_round_mode_16_64 0
		.amdhsa_float_denorm_mode_32 3
		.amdhsa_float_denorm_mode_16_64 3
		.amdhsa_fp16_overflow 0
		.amdhsa_memory_ordered 1
		.amdhsa_forward_progress 1
		.amdhsa_inst_pref_size 19
		.amdhsa_round_robin_scheduling 0
		.amdhsa_exception_fp_ieee_invalid_op 0
		.amdhsa_exception_fp_denorm_src 0
		.amdhsa_exception_fp_ieee_div_zero 0
		.amdhsa_exception_fp_ieee_overflow 0
		.amdhsa_exception_fp_ieee_underflow 0
		.amdhsa_exception_fp_ieee_inexact 0
		.amdhsa_exception_int_div_zero 0
	.end_amdhsa_kernel
	.section	.text._ZN12_GLOBAL__N_127rocblas_gemm_batched_kernelIfLi16ELi16ELi64ELi64ELi4ELi64ELi4ELi4ELi64ELc67ELc67EKPK16rocblas_bfloat16KPKfKPfEEvlllT_PT11_llSC_llSA_PT12_llPT13_lli,"axG",@progbits,_ZN12_GLOBAL__N_127rocblas_gemm_batched_kernelIfLi16ELi16ELi64ELi64ELi4ELi64ELi4ELi4ELi64ELc67ELc67EKPK16rocblas_bfloat16KPKfKPfEEvlllT_PT11_llSC_llSA_PT12_llPT13_lli,comdat
.Lfunc_end171:
	.size	_ZN12_GLOBAL__N_127rocblas_gemm_batched_kernelIfLi16ELi16ELi64ELi64ELi4ELi64ELi4ELi4ELi64ELc67ELc67EKPK16rocblas_bfloat16KPKfKPfEEvlllT_PT11_llSC_llSA_PT12_llPT13_lli, .Lfunc_end171-_ZN12_GLOBAL__N_127rocblas_gemm_batched_kernelIfLi16ELi16ELi64ELi64ELi4ELi64ELi4ELi4ELi64ELc67ELc67EKPK16rocblas_bfloat16KPKfKPfEEvlllT_PT11_llSC_llSA_PT12_llPT13_lli
                                        ; -- End function
	.set _ZN12_GLOBAL__N_127rocblas_gemm_batched_kernelIfLi16ELi16ELi64ELi64ELi4ELi64ELi4ELi4ELi64ELc67ELc67EKPK16rocblas_bfloat16KPKfKPfEEvlllT_PT11_llSC_llSA_PT12_llPT13_lli.num_vgpr, 78
	.set _ZN12_GLOBAL__N_127rocblas_gemm_batched_kernelIfLi16ELi16ELi64ELi64ELi4ELi64ELi4ELi4ELi64ELc67ELc67EKPK16rocblas_bfloat16KPKfKPfEEvlllT_PT11_llSC_llSA_PT12_llPT13_lli.num_agpr, 0
	.set _ZN12_GLOBAL__N_127rocblas_gemm_batched_kernelIfLi16ELi16ELi64ELi64ELi4ELi64ELi4ELi4ELi64ELc67ELc67EKPK16rocblas_bfloat16KPKfKPfEEvlllT_PT11_llSC_llSA_PT12_llPT13_lli.numbered_sgpr, 36
	.set _ZN12_GLOBAL__N_127rocblas_gemm_batched_kernelIfLi16ELi16ELi64ELi64ELi4ELi64ELi4ELi4ELi64ELc67ELc67EKPK16rocblas_bfloat16KPKfKPfEEvlllT_PT11_llSC_llSA_PT12_llPT13_lli.num_named_barrier, 0
	.set _ZN12_GLOBAL__N_127rocblas_gemm_batched_kernelIfLi16ELi16ELi64ELi64ELi4ELi64ELi4ELi4ELi64ELc67ELc67EKPK16rocblas_bfloat16KPKfKPfEEvlllT_PT11_llSC_llSA_PT12_llPT13_lli.private_seg_size, 0
	.set _ZN12_GLOBAL__N_127rocblas_gemm_batched_kernelIfLi16ELi16ELi64ELi64ELi4ELi64ELi4ELi4ELi64ELc67ELc67EKPK16rocblas_bfloat16KPKfKPfEEvlllT_PT11_llSC_llSA_PT12_llPT13_lli.uses_vcc, 1
	.set _ZN12_GLOBAL__N_127rocblas_gemm_batched_kernelIfLi16ELi16ELi64ELi64ELi4ELi64ELi4ELi4ELi64ELc67ELc67EKPK16rocblas_bfloat16KPKfKPfEEvlllT_PT11_llSC_llSA_PT12_llPT13_lli.uses_flat_scratch, 1
	.set _ZN12_GLOBAL__N_127rocblas_gemm_batched_kernelIfLi16ELi16ELi64ELi64ELi4ELi64ELi4ELi4ELi64ELc67ELc67EKPK16rocblas_bfloat16KPKfKPfEEvlllT_PT11_llSC_llSA_PT12_llPT13_lli.has_dyn_sized_stack, 0
	.set _ZN12_GLOBAL__N_127rocblas_gemm_batched_kernelIfLi16ELi16ELi64ELi64ELi4ELi64ELi4ELi4ELi64ELc67ELc67EKPK16rocblas_bfloat16KPKfKPfEEvlllT_PT11_llSC_llSA_PT12_llPT13_lli.has_recursion, 0
	.set _ZN12_GLOBAL__N_127rocblas_gemm_batched_kernelIfLi16ELi16ELi64ELi64ELi4ELi64ELi4ELi4ELi64ELc67ELc67EKPK16rocblas_bfloat16KPKfKPfEEvlllT_PT11_llSC_llSA_PT12_llPT13_lli.has_indirect_call, 0
	.section	.AMDGPU.csdata,"",@progbits
; Kernel info:
; codeLenInByte = 2376
; TotalNumSgprs: 38
; NumVgprs: 78
; ScratchSize: 0
; MemoryBound: 0
; FloatMode: 240
; IeeeMode: 1
; LDSByteSize: 2048 bytes/workgroup (compile time only)
; SGPRBlocks: 0
; VGPRBlocks: 4
; NumSGPRsForWavesPerEU: 38
; NumVGPRsForWavesPerEU: 78
; NamedBarCnt: 0
; Occupancy: 12
; WaveLimiterHint : 1
; COMPUTE_PGM_RSRC2:SCRATCH_EN: 0
; COMPUTE_PGM_RSRC2:USER_SGPR: 2
; COMPUTE_PGM_RSRC2:TRAP_HANDLER: 0
; COMPUTE_PGM_RSRC2:TGID_X_EN: 1
; COMPUTE_PGM_RSRC2:TGID_Y_EN: 1
; COMPUTE_PGM_RSRC2:TGID_Z_EN: 1
; COMPUTE_PGM_RSRC2:TIDIG_COMP_CNT: 1
	.section	.text._ZN12_GLOBAL__N_127rocblas_gemm_batched_kernelIfLi16ELi16ELi64ELi64ELi4ELi64ELi4ELi4ELi64ELc67ELc78EKPK16rocblas_bfloat16KPKfKPfEEvlllT_PT11_llSC_llSA_PT12_llPT13_lli,"axG",@progbits,_ZN12_GLOBAL__N_127rocblas_gemm_batched_kernelIfLi16ELi16ELi64ELi64ELi4ELi64ELi4ELi4ELi64ELc67ELc78EKPK16rocblas_bfloat16KPKfKPfEEvlllT_PT11_llSC_llSA_PT12_llPT13_lli,comdat
	.globl	_ZN12_GLOBAL__N_127rocblas_gemm_batched_kernelIfLi16ELi16ELi64ELi64ELi4ELi64ELi4ELi4ELi64ELc67ELc78EKPK16rocblas_bfloat16KPKfKPfEEvlllT_PT11_llSC_llSA_PT12_llPT13_lli ; -- Begin function _ZN12_GLOBAL__N_127rocblas_gemm_batched_kernelIfLi16ELi16ELi64ELi64ELi4ELi64ELi4ELi4ELi64ELc67ELc78EKPK16rocblas_bfloat16KPKfKPfEEvlllT_PT11_llSC_llSA_PT12_llPT13_lli
	.p2align	8
	.type	_ZN12_GLOBAL__N_127rocblas_gemm_batched_kernelIfLi16ELi16ELi64ELi64ELi4ELi64ELi4ELi4ELi64ELc67ELc78EKPK16rocblas_bfloat16KPKfKPfEEvlllT_PT11_llSC_llSA_PT12_llPT13_lli,@function
_ZN12_GLOBAL__N_127rocblas_gemm_batched_kernelIfLi16ELi16ELi64ELi64ELi4ELi64ELi4ELi4ELi64ELc67ELc78EKPK16rocblas_bfloat16KPKfKPfEEvlllT_PT11_llSC_llSA_PT12_llPT13_lli: ; @_ZN12_GLOBAL__N_127rocblas_gemm_batched_kernelIfLi16ELi16ELi64ELi64ELi4ELi64ELi4ELi4ELi64ELc67ELc78EKPK16rocblas_bfloat16KPKfKPfEEvlllT_PT11_llSC_llSA_PT12_llPT13_lli
; %bb.0:
	s_load_b32 s31, s[0:1], 0x88
	s_bfe_u32 s2, ttmp6, 0x40014
	s_lshr_b32 s3, ttmp7, 16
	s_add_co_i32 s2, s2, 1
	s_bfe_u32 s4, ttmp6, 0x40008
	s_mul_i32 s2, s3, s2
	s_getreg_b32 s12, hwreg(HW_REG_IB_STS2, 6, 4)
	s_add_co_i32 s4, s4, s2
	s_cmp_eq_u32 s12, 0
	s_cselect_b32 s2, s3, s4
	s_mov_b32 s3, 0
	s_wait_kmcnt 0x0
	s_cmp_ge_i32 s2, s31
	s_cbranch_scc1 .LBB172_10
; %bb.1:
	v_bfe_u32 v2, v0, 10, 10
	v_and_b32_e32 v6, 0x3ff, v0
	s_bfe_u32 s14, ttmp6, 0x4000c
	s_bfe_u32 s16, ttmp6, 0x40010
	s_clause 0x2
	s_load_b256 s[4:11], s[0:1], 0x20
	s_load_b128 s[20:23], s[0:1], 0x40
	s_load_b32 s33, s[0:1], 0x50
	v_dual_mov_b32 v3, 0 :: v_dual_lshlrev_b32 v14, 4, v2
	s_and_b32 s15, ttmp7, 0xffff
	s_add_co_i32 s14, s14, 1
	s_add_co_i32 s16, s16, 1
	s_delay_alu instid0(VALU_DEP_1)
	v_dual_add_nc_u32 v15, v14, v6 :: v_dual_mov_b32 v9, v3
	s_and_b32 s13, ttmp6, 15
	s_mul_i32 s14, ttmp9, s14
	s_mul_i32 s16, s15, s16
	s_bfe_u32 s17, ttmp6, 0x40004
	s_add_co_i32 s13, s13, s14
	s_add_co_i32 s17, s17, s16
	s_cmp_eq_u32 s12, 0
	v_dual_lshrrev_b32 v8, 2, v15 :: v_dual_bitop2_b32 v16, 63, v15 bitop3:0x40
	s_cselect_b32 s14, s15, s17
	s_cselect_b32 s12, ttmp9, s13
	s_lshl_b32 s28, s14, 6
	s_mov_b32 s29, s3
	s_ashr_i32 s13, s12, 31
	v_add_nc_u64_e32 v[4:5], s[28:29], v[8:9]
	s_load_b128 s[24:27], s[0:1], 0x78
	s_lshl_b64 s[34:35], s[12:13], 6
	s_load_b256 s[12:19], s[0:1], 0x58
	v_dual_mov_b32 v11, s35 :: v_dual_bitop2_b32 v10, s34, v16 bitop3:0x54
	s_wait_kmcnt 0x0
	s_cmp_eq_f32 s33, 0
	v_mul_u64_e32 v[12:13], s[20:21], v[4:5]
	v_add_nc_u64_e32 v[4:5], s[28:29], v[2:3]
	s_load_b96 s[28:30], s[0:1], 0x10
	v_mul_u64_e32 v[10:11], s[6:7], v[10:11]
	v_dual_mov_b32 v7, v3 :: v_dual_bitop2_b32 v2, 3, v0 bitop3:0x40
	s_wait_xcnt 0x0
	s_cselect_b32 s1, -1, 0
	s_lshl_b64 s[6:7], s[22:23], 1
	v_dual_lshlrev_b32 v36, 2, v6 :: v_dual_lshrrev_b32 v17, 6, v15
	v_dual_lshlrev_b32 v9, 2, v2 :: v_dual_lshlrev_b32 v2, 1, v2
	v_add_nc_u32_e32 v37, 0x400, v14
	v_add_nc_u64_e32 v[14:15], s[34:35], v[6:7]
	v_mul_u64_e32 v[0:1], s[24:25], v[4:5]
	v_lshlrev_b32_e32 v16, 2, v16
	v_mul_u64_e32 v[4:5], s[14:15], v[4:5]
	v_lshl_or_b32 v18, v8, 4, v9
	s_lshl_b64 s[20:21], s[14:15], 4
	s_lshl_b64 s[14:15], s[16:17], 2
	;; [unrolled: 1-line block ×3, first 2 shown]
	s_wait_kmcnt 0x0
	v_cmp_gt_i64_e64 s0, s[28:29], 0
	v_add_nc_u32_e32 v39, 0x400, v18
	v_lshl_add_u64 v[6:7], v[12:13], 1, s[6:7]
	s_lshl_b64 s[6:7], s[8:9], 1
	v_cndmask_b32_e64 v12, 0, 1, s0
	v_lshl_add_u64 v[8:9], v[10:11], 1, s[6:7]
	v_lshlrev_b64_e32 v[10:11], 2, v[14:15]
	v_add_nc_u64_e32 v[6:7], v[6:7], v[2:3]
	v_lshlrev_b32_e32 v2, 1, v17
	v_lshl_or_b32 v38, v17, 8, v16
	v_cmp_ne_u32_e64 s0, 1, v12
	s_lshl_b64 s[8:9], s[24:25], 4
	s_lshl_b64 s[6:7], s[26:27], 2
	v_add_nc_u64_e32 v[8:9], v[8:9], v[2:3]
	s_lshl_b64 s[8:9], s[8:9], 2
	s_branch .LBB172_3
.LBB172_2:                              ;   in Loop: Header=BB172_3 Depth=1
	s_add_co_i32 s2, s2, 0x10000
	s_delay_alu instid0(SALU_CYCLE_1)
	s_cmp_lt_i32 s2, s31
	s_cbranch_scc0 .LBB172_10
.LBB172_3:                              ; =>This Loop Header: Depth=1
                                        ;     Child Loop BB172_5 Depth 2
	s_wait_xcnt 0x0
	v_dual_mov_b32 v2, s2 :: v_dual_mov_b32 v29, 0
	v_dual_mov_b32 v28, 0 :: v_dual_mov_b32 v27, 0
	;; [unrolled: 1-line block ×3, first 2 shown]
	s_clause 0x1
	global_load_b64 v[20:21], v2, s[12:13] scale_offset
	global_load_b64 v[30:31], v2, s[18:19] scale_offset
	v_dual_mov_b32 v24, 0 :: v_dual_mov_b32 v23, 0
	v_dual_mov_b32 v22, 0 :: v_dual_mov_b32 v19, 0
	;; [unrolled: 1-line block ×5, first 2 shown]
	v_mov_b32_e32 v12, 0
	s_and_b32 vcc_lo, exec_lo, s0
	s_cbranch_vccnz .LBB172_6
; %bb.4:                                ;   in Loop: Header=BB172_3 Depth=1
	s_lshl_b64 s[20:21], s[2:3], 3
	v_mov_b32_e32 v12, 0
	s_add_nc_u64 s[22:23], s[10:11], s[20:21]
	s_add_nc_u64 s[20:21], s[4:5], s[20:21]
	s_clause 0x1
	global_load_b64 v[28:29], v3, s[22:23]
	global_load_b64 v[34:35], v3, s[20:21]
	s_wait_xcnt 0x0
	s_mov_b64 s[20:21], 0
	v_dual_mov_b32 v13, v12 :: v_dual_mov_b32 v14, v12
	v_dual_mov_b32 v15, v12 :: v_dual_mov_b32 v16, v12
	;; [unrolled: 1-line block ×6, first 2 shown]
	v_mov_b32_e32 v27, v12
	s_wait_loadcnt 0x1
	v_add_nc_u64_e32 v[32:33], v[28:29], v[6:7]
	s_wait_loadcnt 0x0
	v_add_nc_u64_e32 v[34:35], v[34:35], v[8:9]
	v_dual_mov_b32 v28, v12 :: v_dual_mov_b32 v29, v12
.LBB172_5:                              ;   Parent Loop BB172_3 Depth=1
                                        ; =>  This Inner Loop Header: Depth=2
	flat_load_u16 v2, v[34:35]
	flat_load_u16 v40, v[32:33]
	s_add_nc_u64 s[20:21], s[20:21], 4
	s_wait_xcnt 0x0
	v_add_nc_u64_e32 v[32:33], 8, v[32:33]
	v_cmp_lt_i64_e64 s22, s[20:21], s[28:29]
	v_add_nc_u64_e32 v[34:35], 8, v[34:35]
	s_and_b32 vcc_lo, exec_lo, s22
	s_wait_loadcnt_dscnt 0x0
	v_dual_lshlrev_b32 v2, 16, v2 :: v_dual_lshlrev_b32 v40, 16, v40
	ds_store_b32 v38, v2
	ds_store_b32 v39, v40
	s_wait_dscnt 0x0
	s_barrier_signal -1
	s_barrier_wait -1
	ds_load_2addr_b32 v[56:57], v36 offset1:16
	ds_load_2addr_b32 v[58:59], v36 offset0:64 offset1:80
	ds_load_2addr_b32 v[60:61], v36 offset0:128 offset1:144
	;; [unrolled: 1-line block ×6, first 2 shown]
	ds_load_b128 v[40:43], v37
	ds_load_b128 v[44:47], v37 offset:256
	ds_load_2addr_b32 v[70:71], v36 offset0:224 offset1:240
	ds_load_b128 v[48:51], v37 offset:512
	ds_load_b128 v[52:55], v37 offset:768
	s_wait_dscnt 0x0
	s_barrier_signal -1
	s_barrier_wait -1
	v_dual_mov_b32 v72, v57 :: v_dual_mov_b32 v73, v56
	v_dual_mov_b32 v56, v59 :: v_dual_mov_b32 v57, v58
	;; [unrolled: 1-line block ×6, first 2 shown]
	v_pk_fma_f32 v[28:29], v[72:73], v[40:41], v[28:29] op_sel_hi:[1,0,1]
	v_pk_fma_f32 v[24:25], v[72:73], v[44:45], v[24:25] op_sel_hi:[1,0,1]
	s_delay_alu instid0(VALU_DEP_4)
	v_pk_fma_f32 v[26:27], v[62:63], v[40:41], v[26:27] op_sel_hi:[1,0,1]
	v_pk_fma_f32 v[18:19], v[72:73], v[48:49], v[18:19] op_sel_hi:[1,0,1]
	;; [unrolled: 1-line block ×6, first 2 shown]
	v_dual_mov_b32 v66, v69 :: v_dual_mov_b32 v67, v68
	v_pk_fma_f32 v[28:29], v[56:57], v[40:41], v[28:29] op_sel:[0,1,0]
	v_pk_fma_f32 v[26:27], v[64:65], v[40:41], v[26:27] op_sel:[0,1,0]
	;; [unrolled: 1-line block ×8, first 2 shown]
	v_dual_mov_b32 v2, v43 :: v_dual_mov_b32 v68, v71
	v_dual_mov_b32 v69, v70 :: v_dual_mov_b32 v70, v47
	;; [unrolled: 1-line block ×3, first 2 shown]
	v_pk_fma_f32 v[28:29], v[58:59], v[42:43], v[28:29] op_sel_hi:[1,0,1]
	v_pk_fma_f32 v[26:27], v[66:67], v[42:43], v[26:27] op_sel_hi:[1,0,1]
	;; [unrolled: 1-line block ×16, first 2 shown]
	s_cbranch_vccnz .LBB172_5
.LBB172_6:                              ;   in Loop: Header=BB172_3 Depth=1
	s_wait_loadcnt 0x0
	v_add_nc_u64_e32 v[30:31], s[6:7], v[30:31]
	s_and_not1_b32 vcc_lo, exec_lo, s1
	s_delay_alu instid0(VALU_DEP_1) | instskip(NEXT) | instid1(VALU_DEP_1)
	v_lshl_add_u64 v[30:31], v[0:1], 2, v[30:31]
	v_add_nc_u64_e32 v[32:33], v[30:31], v[10:11]
	v_add_nc_u64_e32 v[30:31], s[8:9], v[30:31]
	s_cbranch_vccnz .LBB172_8
; %bb.7:                                ;   in Loop: Header=BB172_3 Depth=1
	s_wait_xcnt 0x0
	v_dual_mul_f32 v2, s30, v29 :: v_dual_mul_f32 v40, s30, v28
	s_delay_alu instid0(VALU_DEP_2)
	v_add_nc_u64_e32 v[34:35], s[8:9], v[30:31]
	v_dual_mul_f32 v41, s30, v27 :: v_dual_mul_f32 v42, s30, v26
	s_clause 0x3
	flat_store_b32 v[32:33], v2
	flat_store_b32 v[32:33], v40 offset:64
	flat_store_b32 v[32:33], v41 offset:128
	;; [unrolled: 1-line block ×3, first 2 shown]
	s_wait_xcnt 0x1
	v_add_nc_u64_e32 v[40:41], v[30:31], v[10:11]
	v_dual_mul_f32 v2, s30, v25 :: v_dual_mul_f32 v44, s30, v24
	s_wait_xcnt 0x0
	v_add_nc_u64_e32 v[42:43], v[34:35], v[10:11]
	v_add_nc_u64_e32 v[34:35], s[8:9], v[34:35]
	v_dual_mul_f32 v45, s30, v23 :: v_dual_mul_f32 v46, s30, v22
	s_clause 0x3
	flat_store_b32 v[40:41], v2
	flat_store_b32 v[40:41], v44 offset:64
	flat_store_b32 v[40:41], v45 offset:128
	;; [unrolled: 1-line block ×3, first 2 shown]
	s_wait_xcnt 0x0
	v_dual_mul_f32 v2, s30, v19 :: v_dual_mul_f32 v40, s30, v18
	v_dual_mul_f32 v41, s30, v17 :: v_dual_mul_f32 v44, s30, v16
	v_add_nc_u64_e32 v[34:35], v[34:35], v[10:11]
	s_clause 0x3
	flat_store_b32 v[42:43], v2
	flat_store_b32 v[42:43], v40 offset:64
	flat_store_b32 v[42:43], v41 offset:128
	;; [unrolled: 1-line block ×3, first 2 shown]
	s_wait_xcnt 0x2
	v_dual_mul_f32 v2, s30, v15 :: v_dual_mul_f32 v40, s30, v14
	s_wait_xcnt 0x0
	v_dual_mul_f32 v41, s30, v13 :: v_dual_mul_f32 v42, s30, v12
	s_clause 0x3
	flat_store_b32 v[34:35], v2
	flat_store_b32 v[34:35], v40 offset:64
	flat_store_b32 v[34:35], v41 offset:128
	;; [unrolled: 1-line block ×3, first 2 shown]
	s_cbranch_execnz .LBB172_2
	s_branch .LBB172_9
.LBB172_8:                              ;   in Loop: Header=BB172_3 Depth=1
.LBB172_9:                              ;   in Loop: Header=BB172_3 Depth=1
	v_add_nc_u64_e32 v[20:21], s[14:15], v[20:21]
	s_delay_alu instid0(VALU_DEP_1) | instskip(SKIP_1) | instid1(VALU_DEP_1)
	v_lshl_add_u64 v[20:21], v[4:5], 2, v[20:21]
	s_wait_xcnt 0x0
	v_add_nc_u64_e32 v[34:35], v[20:21], v[10:11]
	v_add_nc_u64_e32 v[20:21], s[16:17], v[20:21]
	flat_load_b32 v2, v[34:35]
	s_wait_loadcnt_dscnt 0x0
	v_mul_f32_e32 v2, s33, v2
	s_delay_alu instid0(VALU_DEP_1) | instskip(SKIP_4) | instid1(VALU_DEP_1)
	v_fmac_f32_e32 v2, s30, v29
	flat_store_b32 v[32:33], v2
	flat_load_b32 v2, v[34:35] offset:64
	s_wait_loadcnt_dscnt 0x0
	v_mul_f32_e32 v2, s33, v2
	v_fmac_f32_e32 v2, s30, v28
	v_add_nc_u64_e32 v[28:29], v[20:21], v[10:11]
	v_add_nc_u64_e32 v[20:21], s[16:17], v[20:21]
	flat_store_b32 v[32:33], v2 offset:64
	flat_load_b32 v2, v[34:35] offset:128
	s_wait_loadcnt_dscnt 0x0
	v_mul_f32_e32 v2, s33, v2
	s_delay_alu instid0(VALU_DEP_1) | instskip(SKIP_4) | instid1(VALU_DEP_1)
	v_fmac_f32_e32 v2, s30, v27
	flat_store_b32 v[32:33], v2 offset:128
	flat_load_b32 v2, v[34:35] offset:192
	s_wait_loadcnt_dscnt 0x0
	v_mul_f32_e32 v2, s33, v2
	v_fmac_f32_e32 v2, s30, v26
	v_add_nc_u64_e32 v[26:27], v[30:31], v[10:11]
	flat_store_b32 v[32:33], v2 offset:192
	flat_load_b32 v2, v[28:29]
	s_wait_loadcnt_dscnt 0x0
	v_mul_f32_e32 v2, s33, v2
	s_delay_alu instid0(VALU_DEP_1) | instskip(SKIP_4) | instid1(VALU_DEP_1)
	v_fmac_f32_e32 v2, s30, v25
	flat_store_b32 v[26:27], v2
	flat_load_b32 v2, v[28:29] offset:64
	s_wait_loadcnt_dscnt 0x0
	v_mul_f32_e32 v2, s33, v2
	v_fmac_f32_e32 v2, s30, v24
	v_add_nc_u64_e32 v[24:25], v[20:21], v[10:11]
	flat_store_b32 v[26:27], v2 offset:64
	flat_load_b32 v2, v[28:29] offset:128
	s_wait_loadcnt_dscnt 0x0
	v_mul_f32_e32 v2, s33, v2
	s_delay_alu instid0(VALU_DEP_1) | instskip(SKIP_4) | instid1(VALU_DEP_1)
	v_fmac_f32_e32 v2, s30, v23
	flat_store_b32 v[26:27], v2 offset:128
	flat_load_b32 v2, v[28:29] offset:192
	s_wait_loadcnt_dscnt 0x0
	v_mul_f32_e32 v2, s33, v2
	v_fmac_f32_e32 v2, s30, v22
	v_add_nc_u64_e32 v[22:23], s[8:9], v[30:31]
	flat_store_b32 v[26:27], v2 offset:192
	flat_load_b32 v2, v[24:25]
	v_add_nc_u64_e32 v[26:27], v[22:23], v[10:11]
	s_wait_loadcnt_dscnt 0x0
	v_mul_f32_e32 v2, s33, v2
	s_delay_alu instid0(VALU_DEP_1) | instskip(SKIP_4) | instid1(VALU_DEP_1)
	v_fmac_f32_e32 v2, s30, v19
	flat_store_b32 v[26:27], v2
	flat_load_b32 v2, v[24:25] offset:64
	s_wait_loadcnt_dscnt 0x0
	v_mul_f32_e32 v2, s33, v2
	v_fmac_f32_e32 v2, s30, v18
	v_add_nc_u64_e32 v[18:19], s[16:17], v[20:21]
	flat_store_b32 v[26:27], v2 offset:64
	flat_load_b32 v2, v[24:25] offset:128
	v_add_nc_u64_e32 v[18:19], v[18:19], v[10:11]
	s_wait_loadcnt_dscnt 0x0
	v_mul_f32_e32 v2, s33, v2
	s_delay_alu instid0(VALU_DEP_1) | instskip(SKIP_4) | instid1(VALU_DEP_1)
	v_fmac_f32_e32 v2, s30, v17
	flat_store_b32 v[26:27], v2 offset:128
	flat_load_b32 v2, v[24:25] offset:192
	s_wait_loadcnt_dscnt 0x0
	v_mul_f32_e32 v2, s33, v2
	v_fmac_f32_e32 v2, s30, v16
	v_add_nc_u64_e32 v[16:17], s[8:9], v[22:23]
	flat_store_b32 v[26:27], v2 offset:192
	flat_load_b32 v2, v[18:19]
	v_add_nc_u64_e32 v[16:17], v[16:17], v[10:11]
	s_wait_loadcnt_dscnt 0x0
	v_mul_f32_e32 v2, s33, v2
	s_delay_alu instid0(VALU_DEP_1) | instskip(SKIP_4) | instid1(VALU_DEP_1)
	v_fmac_f32_e32 v2, s30, v15
	flat_store_b32 v[16:17], v2
	flat_load_b32 v2, v[18:19] offset:64
	s_wait_loadcnt_dscnt 0x0
	v_mul_f32_e32 v2, s33, v2
	v_fmac_f32_e32 v2, s30, v14
	flat_store_b32 v[16:17], v2 offset:64
	flat_load_b32 v2, v[18:19] offset:128
	s_wait_loadcnt_dscnt 0x0
	v_mul_f32_e32 v2, s33, v2
	s_delay_alu instid0(VALU_DEP_1) | instskip(SKIP_4) | instid1(VALU_DEP_1)
	v_fmac_f32_e32 v2, s30, v13
	flat_store_b32 v[16:17], v2 offset:128
	flat_load_b32 v2, v[18:19] offset:192
	s_wait_loadcnt_dscnt 0x0
	v_mul_f32_e32 v2, s33, v2
	v_fmac_f32_e32 v2, s30, v12
	flat_store_b32 v[16:17], v2 offset:192
	s_branch .LBB172_2
.LBB172_10:
	s_sendmsg sendmsg(MSG_DEALLOC_VGPRS)
	s_endpgm
	.section	.rodata,"a",@progbits
	.p2align	6, 0x0
	.amdhsa_kernel _ZN12_GLOBAL__N_127rocblas_gemm_batched_kernelIfLi16ELi16ELi64ELi64ELi4ELi64ELi4ELi4ELi64ELc67ELc78EKPK16rocblas_bfloat16KPKfKPfEEvlllT_PT11_llSC_llSA_PT12_llPT13_lli
		.amdhsa_group_segment_fixed_size 2048
		.amdhsa_private_segment_fixed_size 0
		.amdhsa_kernarg_size 140
		.amdhsa_user_sgpr_count 2
		.amdhsa_user_sgpr_dispatch_ptr 0
		.amdhsa_user_sgpr_queue_ptr 0
		.amdhsa_user_sgpr_kernarg_segment_ptr 1
		.amdhsa_user_sgpr_dispatch_id 0
		.amdhsa_user_sgpr_kernarg_preload_length 0
		.amdhsa_user_sgpr_kernarg_preload_offset 0
		.amdhsa_user_sgpr_private_segment_size 0
		.amdhsa_wavefront_size32 1
		.amdhsa_uses_dynamic_stack 0
		.amdhsa_enable_private_segment 0
		.amdhsa_system_sgpr_workgroup_id_x 1
		.amdhsa_system_sgpr_workgroup_id_y 1
		.amdhsa_system_sgpr_workgroup_id_z 1
		.amdhsa_system_sgpr_workgroup_info 0
		.amdhsa_system_vgpr_workitem_id 1
		.amdhsa_next_free_vgpr 78
		.amdhsa_next_free_sgpr 36
		.amdhsa_named_barrier_count 0
		.amdhsa_reserve_vcc 1
		.amdhsa_float_round_mode_32 0
		.amdhsa_float_round_mode_16_64 0
		.amdhsa_float_denorm_mode_32 3
		.amdhsa_float_denorm_mode_16_64 3
		.amdhsa_fp16_overflow 0
		.amdhsa_memory_ordered 1
		.amdhsa_forward_progress 1
		.amdhsa_inst_pref_size 19
		.amdhsa_round_robin_scheduling 0
		.amdhsa_exception_fp_ieee_invalid_op 0
		.amdhsa_exception_fp_denorm_src 0
		.amdhsa_exception_fp_ieee_div_zero 0
		.amdhsa_exception_fp_ieee_overflow 0
		.amdhsa_exception_fp_ieee_underflow 0
		.amdhsa_exception_fp_ieee_inexact 0
		.amdhsa_exception_int_div_zero 0
	.end_amdhsa_kernel
	.section	.text._ZN12_GLOBAL__N_127rocblas_gemm_batched_kernelIfLi16ELi16ELi64ELi64ELi4ELi64ELi4ELi4ELi64ELc67ELc78EKPK16rocblas_bfloat16KPKfKPfEEvlllT_PT11_llSC_llSA_PT12_llPT13_lli,"axG",@progbits,_ZN12_GLOBAL__N_127rocblas_gemm_batched_kernelIfLi16ELi16ELi64ELi64ELi4ELi64ELi4ELi4ELi64ELc67ELc78EKPK16rocblas_bfloat16KPKfKPfEEvlllT_PT11_llSC_llSA_PT12_llPT13_lli,comdat
.Lfunc_end172:
	.size	_ZN12_GLOBAL__N_127rocblas_gemm_batched_kernelIfLi16ELi16ELi64ELi64ELi4ELi64ELi4ELi4ELi64ELc67ELc78EKPK16rocblas_bfloat16KPKfKPfEEvlllT_PT11_llSC_llSA_PT12_llPT13_lli, .Lfunc_end172-_ZN12_GLOBAL__N_127rocblas_gemm_batched_kernelIfLi16ELi16ELi64ELi64ELi4ELi64ELi4ELi4ELi64ELc67ELc78EKPK16rocblas_bfloat16KPKfKPfEEvlllT_PT11_llSC_llSA_PT12_llPT13_lli
                                        ; -- End function
	.set _ZN12_GLOBAL__N_127rocblas_gemm_batched_kernelIfLi16ELi16ELi64ELi64ELi4ELi64ELi4ELi4ELi64ELc67ELc78EKPK16rocblas_bfloat16KPKfKPfEEvlllT_PT11_llSC_llSA_PT12_llPT13_lli.num_vgpr, 78
	.set _ZN12_GLOBAL__N_127rocblas_gemm_batched_kernelIfLi16ELi16ELi64ELi64ELi4ELi64ELi4ELi4ELi64ELc67ELc78EKPK16rocblas_bfloat16KPKfKPfEEvlllT_PT11_llSC_llSA_PT12_llPT13_lli.num_agpr, 0
	.set _ZN12_GLOBAL__N_127rocblas_gemm_batched_kernelIfLi16ELi16ELi64ELi64ELi4ELi64ELi4ELi4ELi64ELc67ELc78EKPK16rocblas_bfloat16KPKfKPfEEvlllT_PT11_llSC_llSA_PT12_llPT13_lli.numbered_sgpr, 36
	.set _ZN12_GLOBAL__N_127rocblas_gemm_batched_kernelIfLi16ELi16ELi64ELi64ELi4ELi64ELi4ELi4ELi64ELc67ELc78EKPK16rocblas_bfloat16KPKfKPfEEvlllT_PT11_llSC_llSA_PT12_llPT13_lli.num_named_barrier, 0
	.set _ZN12_GLOBAL__N_127rocblas_gemm_batched_kernelIfLi16ELi16ELi64ELi64ELi4ELi64ELi4ELi4ELi64ELc67ELc78EKPK16rocblas_bfloat16KPKfKPfEEvlllT_PT11_llSC_llSA_PT12_llPT13_lli.private_seg_size, 0
	.set _ZN12_GLOBAL__N_127rocblas_gemm_batched_kernelIfLi16ELi16ELi64ELi64ELi4ELi64ELi4ELi4ELi64ELc67ELc78EKPK16rocblas_bfloat16KPKfKPfEEvlllT_PT11_llSC_llSA_PT12_llPT13_lli.uses_vcc, 1
	.set _ZN12_GLOBAL__N_127rocblas_gemm_batched_kernelIfLi16ELi16ELi64ELi64ELi4ELi64ELi4ELi4ELi64ELc67ELc78EKPK16rocblas_bfloat16KPKfKPfEEvlllT_PT11_llSC_llSA_PT12_llPT13_lli.uses_flat_scratch, 1
	.set _ZN12_GLOBAL__N_127rocblas_gemm_batched_kernelIfLi16ELi16ELi64ELi64ELi4ELi64ELi4ELi4ELi64ELc67ELc78EKPK16rocblas_bfloat16KPKfKPfEEvlllT_PT11_llSC_llSA_PT12_llPT13_lli.has_dyn_sized_stack, 0
	.set _ZN12_GLOBAL__N_127rocblas_gemm_batched_kernelIfLi16ELi16ELi64ELi64ELi4ELi64ELi4ELi4ELi64ELc67ELc78EKPK16rocblas_bfloat16KPKfKPfEEvlllT_PT11_llSC_llSA_PT12_llPT13_lli.has_recursion, 0
	.set _ZN12_GLOBAL__N_127rocblas_gemm_batched_kernelIfLi16ELi16ELi64ELi64ELi4ELi64ELi4ELi4ELi64ELc67ELc78EKPK16rocblas_bfloat16KPKfKPfEEvlllT_PT11_llSC_llSA_PT12_llPT13_lli.has_indirect_call, 0
	.section	.AMDGPU.csdata,"",@progbits
; Kernel info:
; codeLenInByte = 2364
; TotalNumSgprs: 38
; NumVgprs: 78
; ScratchSize: 0
; MemoryBound: 0
; FloatMode: 240
; IeeeMode: 1
; LDSByteSize: 2048 bytes/workgroup (compile time only)
; SGPRBlocks: 0
; VGPRBlocks: 4
; NumSGPRsForWavesPerEU: 38
; NumVGPRsForWavesPerEU: 78
; NamedBarCnt: 0
; Occupancy: 12
; WaveLimiterHint : 1
; COMPUTE_PGM_RSRC2:SCRATCH_EN: 0
; COMPUTE_PGM_RSRC2:USER_SGPR: 2
; COMPUTE_PGM_RSRC2:TRAP_HANDLER: 0
; COMPUTE_PGM_RSRC2:TGID_X_EN: 1
; COMPUTE_PGM_RSRC2:TGID_Y_EN: 1
; COMPUTE_PGM_RSRC2:TGID_Z_EN: 1
; COMPUTE_PGM_RSRC2:TIDIG_COMP_CNT: 1
	.section	.text._ZN12_GLOBAL__N_127rocblas_gemm_batched_kernelIfLi16ELi16ELi64ELi64ELi4ELi64ELi4ELi4ELi64ELc67ELc84EKPK16rocblas_bfloat16KPKfKPfEEvlllT_PT11_llSC_llSA_PT12_llPT13_lli,"axG",@progbits,_ZN12_GLOBAL__N_127rocblas_gemm_batched_kernelIfLi16ELi16ELi64ELi64ELi4ELi64ELi4ELi4ELi64ELc67ELc84EKPK16rocblas_bfloat16KPKfKPfEEvlllT_PT11_llSC_llSA_PT12_llPT13_lli,comdat
	.globl	_ZN12_GLOBAL__N_127rocblas_gemm_batched_kernelIfLi16ELi16ELi64ELi64ELi4ELi64ELi4ELi4ELi64ELc67ELc84EKPK16rocblas_bfloat16KPKfKPfEEvlllT_PT11_llSC_llSA_PT12_llPT13_lli ; -- Begin function _ZN12_GLOBAL__N_127rocblas_gemm_batched_kernelIfLi16ELi16ELi64ELi64ELi4ELi64ELi4ELi4ELi64ELc67ELc84EKPK16rocblas_bfloat16KPKfKPfEEvlllT_PT11_llSC_llSA_PT12_llPT13_lli
	.p2align	8
	.type	_ZN12_GLOBAL__N_127rocblas_gemm_batched_kernelIfLi16ELi16ELi64ELi64ELi4ELi64ELi4ELi4ELi64ELc67ELc84EKPK16rocblas_bfloat16KPKfKPfEEvlllT_PT11_llSC_llSA_PT12_llPT13_lli,@function
_ZN12_GLOBAL__N_127rocblas_gemm_batched_kernelIfLi16ELi16ELi64ELi64ELi4ELi64ELi4ELi4ELi64ELc67ELc84EKPK16rocblas_bfloat16KPKfKPfEEvlllT_PT11_llSC_llSA_PT12_llPT13_lli: ; @_ZN12_GLOBAL__N_127rocblas_gemm_batched_kernelIfLi16ELi16ELi64ELi64ELi4ELi64ELi4ELi4ELi64ELc67ELc84EKPK16rocblas_bfloat16KPKfKPfEEvlllT_PT11_llSC_llSA_PT12_llPT13_lli
; %bb.0:
	s_load_b32 s31, s[0:1], 0x88
	s_bfe_u32 s2, ttmp6, 0x40014
	s_lshr_b32 s3, ttmp7, 16
	s_add_co_i32 s2, s2, 1
	s_bfe_u32 s4, ttmp6, 0x40008
	s_mul_i32 s2, s3, s2
	s_getreg_b32 s28, hwreg(HW_REG_IB_STS2, 6, 4)
	s_add_co_i32 s4, s4, s2
	s_cmp_eq_u32 s28, 0
	s_cselect_b32 s2, s3, s4
	s_mov_b32 s3, 0
	s_wait_kmcnt 0x0
	s_cmp_ge_i32 s2, s31
	s_cbranch_scc1 .LBB173_10
; %bb.1:
	v_bfe_u32 v2, v0, 10, 10
	v_and_b32_e32 v6, 0x3ff, v0
	s_bfe_u32 s30, ttmp6, 0x4000c
	s_bfe_u32 s34, ttmp6, 0x40010
	s_clause 0x2
	s_load_b256 s[4:11], s[0:1], 0x20
	s_load_b128 s[24:27], s[0:1], 0x40
	s_load_b128 s[20:23], s[0:1], 0x78
	v_dual_mov_b32 v3, 0 :: v_dual_lshlrev_b32 v14, 4, v2
	s_and_b32 s33, ttmp7, 0xffff
	s_add_co_i32 s30, s30, 1
	s_add_co_i32 s34, s34, 1
	s_and_b32 s29, ttmp6, 15
	s_mul_i32 s30, ttmp9, s30
	s_mul_i32 s34, s33, s34
	s_bfe_u32 s35, ttmp6, 0x40004
	v_dual_add_nc_u32 v7, v14, v6 :: v_dual_bitop2_b32 v16, 3, v0 bitop3:0x40
	s_add_co_i32 s29, s29, s30
	s_add_co_i32 s35, s35, s34
	s_cmp_eq_u32 s28, 0
	s_delay_alu instid0(VALU_DEP_1)
	v_dual_lshrrev_b32 v8, 2, v7 :: v_dual_bitop2_b32 v15, 63, v7 bitop3:0x40
	s_cselect_b32 s28, ttmp9, s29
	s_cselect_b32 s30, s33, s35
	s_ashr_i32 s29, s28, 31
	s_load_b256 s[12:19], s[0:1], 0x58
	s_lshl_b64 s[34:35], s[28:29], 6
	s_delay_alu instid0(SALU_CYCLE_1)
	v_dual_mov_b32 v9, v3 :: v_dual_bitop2_b32 v0, s34, v15 bitop3:0x54
	v_mov_b32_e32 v1, s35
	s_load_b32 s33, s[0:1], 0x50
	v_add_nc_u32_e32 v39, 0x400, v14
	s_wait_kmcnt 0x0
	v_mad_nc_u64_u32 v[10:11], s24, v16, v[8:9]
	v_lshlrev_b32_e32 v9, 2, v15
	v_mul_u64_e32 v[12:13], s[6:7], v[0:1]
	s_lshl_b32 s6, s30, 6
	s_mov_b32 s7, s3
	s_load_b96 s[28:30], s[0:1], 0x10
	v_add_nc_u64_e32 v[4:5], s[6:7], v[2:3]
	v_dual_lshrrev_b32 v2, 6, v7 :: v_dual_lshlrev_b32 v7, 2, v16
	v_lshlrev_b32_e32 v38, 2, v6
	v_mad_u32 v11, s25, v16, v11
	s_delay_alu instid0(VALU_DEP_3)
	v_lshl_or_b32 v36, v2, 8, v9
	v_mul_u64_e32 v[0:1], s[20:21], v[4:5]
	v_mul_u64_e32 v[4:5], s[14:15], v[4:5]
	v_lshl_or_b32 v15, v8, 4, v7
	v_dual_mov_b32 v7, v3 :: v_dual_lshlrev_b32 v2, 1, v2
	s_cmp_eq_f32 s33, 0
	s_delay_alu instid0(VALU_DEP_2)
	v_add_nc_u32_e32 v37, 0x400, v15
	v_add_nc_u64_e32 v[8:9], s[6:7], v[10:11]
	s_wait_xcnt 0x0
	s_cselect_b32 s1, -1, 0
	v_add_nc_u64_e32 v[10:11], s[34:35], v[6:7]
	s_wait_kmcnt 0x0
	v_cmp_gt_i64_e64 s0, s[28:29], 0
	s_lshl_b64 s[6:7], s[8:9], 1
	s_lshl_b64 s[20:21], s[20:21], 4
	;; [unrolled: 1-line block ×3, first 2 shown]
	v_lshlrev_b64_e32 v[6:7], 1, v[8:9]
	s_lshl_b64 s[8:9], s[22:23], 2
	v_lshlrev_b64_e32 v[10:11], 2, v[10:11]
	s_lshl_b64 s[14:15], s[20:21], 2
	s_lshl_b64 s[16:17], s[16:17], 2
	v_lshl_add_u64 v[8:9], v[12:13], 1, s[6:7]
	v_cndmask_b32_e64 v12, 0, 1, s0
	v_lshl_add_u64 v[6:7], s[26:27], 1, v[6:7]
	s_lshl_b64 s[6:7], s[24:25], 3
	s_lshl_b64 s[20:21], s[34:35], 2
	v_add_nc_u64_e32 v[8:9], v[8:9], v[2:3]
	v_cmp_ne_u32_e64 s0, 1, v12
	s_branch .LBB173_3
.LBB173_2:                              ;   in Loop: Header=BB173_3 Depth=1
	s_add_co_i32 s2, s2, 0x10000
	s_delay_alu instid0(SALU_CYCLE_1)
	s_cmp_lt_i32 s2, s31
	s_cbranch_scc0 .LBB173_10
.LBB173_3:                              ; =>This Loop Header: Depth=1
                                        ;     Child Loop BB173_5 Depth 2
	s_wait_xcnt 0x0
	v_dual_mov_b32 v2, s2 :: v_dual_mov_b32 v29, 0
	v_dual_mov_b32 v28, 0 :: v_dual_mov_b32 v27, 0
	;; [unrolled: 1-line block ×3, first 2 shown]
	s_clause 0x1
	global_load_b64 v[20:21], v2, s[12:13] scale_offset
	global_load_b64 v[30:31], v2, s[18:19] scale_offset
	v_dual_mov_b32 v24, 0 :: v_dual_mov_b32 v23, 0
	v_dual_mov_b32 v22, 0 :: v_dual_mov_b32 v19, 0
	;; [unrolled: 1-line block ×5, first 2 shown]
	v_mov_b32_e32 v12, 0
	s_and_b32 vcc_lo, exec_lo, s0
	s_cbranch_vccnz .LBB173_6
; %bb.4:                                ;   in Loop: Header=BB173_3 Depth=1
	s_lshl_b64 s[22:23], s[2:3], 3
	v_mov_b32_e32 v12, 0
	s_add_nc_u64 s[24:25], s[10:11], s[22:23]
	s_add_nc_u64 s[22:23], s[4:5], s[22:23]
	s_clause 0x1
	global_load_b64 v[28:29], v3, s[24:25]
	global_load_b64 v[34:35], v3, s[22:23]
	s_wait_xcnt 0x0
	s_mov_b64 s[22:23], 0
	v_dual_mov_b32 v13, v12 :: v_dual_mov_b32 v14, v12
	v_dual_mov_b32 v15, v12 :: v_dual_mov_b32 v16, v12
	;; [unrolled: 1-line block ×6, first 2 shown]
	v_mov_b32_e32 v27, v12
	s_wait_loadcnt 0x1
	v_add_nc_u64_e32 v[32:33], v[28:29], v[6:7]
	s_wait_loadcnt 0x0
	v_add_nc_u64_e32 v[34:35], v[34:35], v[8:9]
	v_dual_mov_b32 v28, v12 :: v_dual_mov_b32 v29, v12
.LBB173_5:                              ;   Parent Loop BB173_3 Depth=1
                                        ; =>  This Inner Loop Header: Depth=2
	flat_load_u16 v2, v[34:35]
	flat_load_u16 v40, v[32:33]
	s_add_nc_u64 s[22:23], s[22:23], 4
	s_wait_xcnt 0x0
	v_add_nc_u64_e32 v[32:33], s[6:7], v[32:33]
	v_cmp_lt_i64_e64 s24, s[22:23], s[28:29]
	v_add_nc_u64_e32 v[34:35], 8, v[34:35]
	s_and_b32 vcc_lo, exec_lo, s24
	s_wait_loadcnt_dscnt 0x0
	v_dual_lshlrev_b32 v2, 16, v2 :: v_dual_lshlrev_b32 v40, 16, v40
	ds_store_b32 v36, v2
	ds_store_b32 v37, v40
	s_wait_dscnt 0x0
	s_barrier_signal -1
	s_barrier_wait -1
	ds_load_2addr_b32 v[56:57], v38 offset1:16
	ds_load_2addr_b32 v[58:59], v38 offset0:64 offset1:80
	ds_load_2addr_b32 v[60:61], v38 offset0:128 offset1:144
	ds_load_2addr_b32 v[62:63], v38 offset0:192 offset1:208
	ds_load_2addr_b32 v[64:65], v38 offset0:32 offset1:48
	ds_load_2addr_b32 v[66:67], v38 offset0:96 offset1:112
	ds_load_2addr_b32 v[68:69], v38 offset0:160 offset1:176
	ds_load_b128 v[40:43], v39
	ds_load_b128 v[44:47], v39 offset:256
	ds_load_2addr_b32 v[70:71], v38 offset0:224 offset1:240
	ds_load_b128 v[48:51], v39 offset:512
	ds_load_b128 v[52:55], v39 offset:768
	s_wait_dscnt 0x0
	s_barrier_signal -1
	s_barrier_wait -1
	v_dual_mov_b32 v72, v57 :: v_dual_mov_b32 v73, v56
	v_dual_mov_b32 v56, v59 :: v_dual_mov_b32 v57, v58
	;; [unrolled: 1-line block ×6, first 2 shown]
	v_pk_fma_f32 v[28:29], v[72:73], v[40:41], v[28:29] op_sel_hi:[1,0,1]
	v_pk_fma_f32 v[24:25], v[72:73], v[44:45], v[24:25] op_sel_hi:[1,0,1]
	s_delay_alu instid0(VALU_DEP_4)
	v_pk_fma_f32 v[26:27], v[62:63], v[40:41], v[26:27] op_sel_hi:[1,0,1]
	v_pk_fma_f32 v[18:19], v[72:73], v[48:49], v[18:19] op_sel_hi:[1,0,1]
	v_pk_fma_f32 v[14:15], v[72:73], v[52:53], v[14:15] op_sel_hi:[1,0,1]
	v_pk_fma_f32 v[22:23], v[62:63], v[44:45], v[22:23] op_sel_hi:[1,0,1]
	v_pk_fma_f32 v[16:17], v[62:63], v[48:49], v[16:17] op_sel_hi:[1,0,1]
	v_pk_fma_f32 v[12:13], v[62:63], v[52:53], v[12:13] op_sel_hi:[1,0,1]
	v_dual_mov_b32 v66, v69 :: v_dual_mov_b32 v67, v68
	v_pk_fma_f32 v[28:29], v[56:57], v[40:41], v[28:29] op_sel:[0,1,0]
	v_pk_fma_f32 v[26:27], v[64:65], v[40:41], v[26:27] op_sel:[0,1,0]
	;; [unrolled: 1-line block ×8, first 2 shown]
	v_dual_mov_b32 v2, v43 :: v_dual_mov_b32 v68, v71
	v_dual_mov_b32 v69, v70 :: v_dual_mov_b32 v70, v47
	;; [unrolled: 1-line block ×3, first 2 shown]
	v_pk_fma_f32 v[28:29], v[58:59], v[42:43], v[28:29] op_sel_hi:[1,0,1]
	v_pk_fma_f32 v[26:27], v[66:67], v[42:43], v[26:27] op_sel_hi:[1,0,1]
	;; [unrolled: 1-line block ×16, first 2 shown]
	s_cbranch_vccnz .LBB173_5
.LBB173_6:                              ;   in Loop: Header=BB173_3 Depth=1
	s_wait_loadcnt 0x0
	v_add_nc_u64_e32 v[30:31], s[8:9], v[30:31]
	s_and_not1_b32 vcc_lo, exec_lo, s1
	s_delay_alu instid0(VALU_DEP_1) | instskip(NEXT) | instid1(VALU_DEP_1)
	v_lshl_add_u64 v[30:31], v[0:1], 2, v[30:31]
	v_add_nc_u64_e32 v[32:33], v[30:31], v[10:11]
	v_add_nc_u64_e32 v[30:31], s[14:15], v[30:31]
	s_cbranch_vccnz .LBB173_8
; %bb.7:                                ;   in Loop: Header=BB173_3 Depth=1
	s_wait_xcnt 0x0
	v_dual_mul_f32 v2, s30, v29 :: v_dual_mul_f32 v40, s30, v28
	s_delay_alu instid0(VALU_DEP_2)
	v_add_nc_u64_e32 v[34:35], s[14:15], v[30:31]
	v_dual_mul_f32 v41, s30, v27 :: v_dual_mul_f32 v42, s30, v26
	s_clause 0x3
	flat_store_b32 v[32:33], v2
	flat_store_b32 v[32:33], v40 offset:64
	flat_store_b32 v[32:33], v41 offset:128
	;; [unrolled: 1-line block ×3, first 2 shown]
	s_wait_xcnt 0x1
	v_add_nc_u64_e32 v[40:41], v[30:31], v[10:11]
	v_dual_mul_f32 v2, s30, v25 :: v_dual_mul_f32 v44, s30, v24
	s_wait_xcnt 0x0
	v_add_nc_u64_e32 v[42:43], v[34:35], v[10:11]
	v_add_nc_u64_e32 v[34:35], s[14:15], v[34:35]
	v_dual_mul_f32 v45, s30, v23 :: v_dual_mul_f32 v46, s30, v22
	s_clause 0x3
	flat_store_b32 v[40:41], v2
	flat_store_b32 v[40:41], v44 offset:64
	flat_store_b32 v[40:41], v45 offset:128
	;; [unrolled: 1-line block ×3, first 2 shown]
	s_wait_xcnt 0x0
	v_dual_mul_f32 v2, s30, v19 :: v_dual_mul_f32 v40, s30, v18
	v_dual_mul_f32 v41, s30, v17 :: v_dual_mul_f32 v44, s30, v16
	v_add_nc_u64_e32 v[34:35], v[34:35], v[10:11]
	s_clause 0x3
	flat_store_b32 v[42:43], v2
	flat_store_b32 v[42:43], v40 offset:64
	flat_store_b32 v[42:43], v41 offset:128
	;; [unrolled: 1-line block ×3, first 2 shown]
	s_wait_xcnt 0x2
	v_dual_mul_f32 v2, s30, v15 :: v_dual_mul_f32 v40, s30, v14
	s_wait_xcnt 0x0
	v_dual_mul_f32 v41, s30, v13 :: v_dual_mul_f32 v42, s30, v12
	s_clause 0x3
	flat_store_b32 v[34:35], v2
	flat_store_b32 v[34:35], v40 offset:64
	flat_store_b32 v[34:35], v41 offset:128
	;; [unrolled: 1-line block ×3, first 2 shown]
	s_cbranch_execnz .LBB173_2
	s_branch .LBB173_9
.LBB173_8:                              ;   in Loop: Header=BB173_3 Depth=1
.LBB173_9:                              ;   in Loop: Header=BB173_3 Depth=1
	v_add_nc_u64_e32 v[20:21], s[16:17], v[20:21]
	s_delay_alu instid0(VALU_DEP_1) | instskip(SKIP_1) | instid1(VALU_DEP_1)
	v_lshl_add_u64 v[20:21], v[4:5], 2, v[20:21]
	s_wait_xcnt 0x0
	v_add_nc_u64_e32 v[34:35], v[20:21], v[10:11]
	v_add_nc_u64_e32 v[20:21], s[20:21], v[20:21]
	flat_load_b32 v2, v[34:35]
	s_wait_loadcnt_dscnt 0x0
	v_mul_f32_e32 v2, s33, v2
	s_delay_alu instid0(VALU_DEP_1) | instskip(SKIP_4) | instid1(VALU_DEP_1)
	v_fmac_f32_e32 v2, s30, v29
	flat_store_b32 v[32:33], v2
	flat_load_b32 v2, v[34:35] offset:64
	s_wait_loadcnt_dscnt 0x0
	v_mul_f32_e32 v2, s33, v2
	v_fmac_f32_e32 v2, s30, v28
	v_add_nc_u64_e32 v[28:29], v[20:21], v[10:11]
	v_add_nc_u64_e32 v[20:21], s[20:21], v[20:21]
	flat_store_b32 v[32:33], v2 offset:64
	flat_load_b32 v2, v[34:35] offset:128
	s_wait_loadcnt_dscnt 0x0
	v_mul_f32_e32 v2, s33, v2
	s_delay_alu instid0(VALU_DEP_1) | instskip(SKIP_4) | instid1(VALU_DEP_1)
	v_fmac_f32_e32 v2, s30, v27
	flat_store_b32 v[32:33], v2 offset:128
	flat_load_b32 v2, v[34:35] offset:192
	s_wait_loadcnt_dscnt 0x0
	v_mul_f32_e32 v2, s33, v2
	v_fmac_f32_e32 v2, s30, v26
	v_add_nc_u64_e32 v[26:27], v[30:31], v[10:11]
	flat_store_b32 v[32:33], v2 offset:192
	flat_load_b32 v2, v[28:29]
	s_wait_loadcnt_dscnt 0x0
	v_mul_f32_e32 v2, s33, v2
	s_delay_alu instid0(VALU_DEP_1) | instskip(SKIP_4) | instid1(VALU_DEP_1)
	v_fmac_f32_e32 v2, s30, v25
	flat_store_b32 v[26:27], v2
	flat_load_b32 v2, v[28:29] offset:64
	s_wait_loadcnt_dscnt 0x0
	v_mul_f32_e32 v2, s33, v2
	v_fmac_f32_e32 v2, s30, v24
	v_add_nc_u64_e32 v[24:25], v[20:21], v[10:11]
	flat_store_b32 v[26:27], v2 offset:64
	flat_load_b32 v2, v[28:29] offset:128
	s_wait_loadcnt_dscnt 0x0
	v_mul_f32_e32 v2, s33, v2
	s_delay_alu instid0(VALU_DEP_1) | instskip(SKIP_4) | instid1(VALU_DEP_1)
	v_fmac_f32_e32 v2, s30, v23
	flat_store_b32 v[26:27], v2 offset:128
	flat_load_b32 v2, v[28:29] offset:192
	s_wait_loadcnt_dscnt 0x0
	v_mul_f32_e32 v2, s33, v2
	v_fmac_f32_e32 v2, s30, v22
	v_add_nc_u64_e32 v[22:23], s[14:15], v[30:31]
	flat_store_b32 v[26:27], v2 offset:192
	flat_load_b32 v2, v[24:25]
	v_add_nc_u64_e32 v[26:27], v[22:23], v[10:11]
	s_wait_loadcnt_dscnt 0x0
	v_mul_f32_e32 v2, s33, v2
	s_delay_alu instid0(VALU_DEP_1) | instskip(SKIP_4) | instid1(VALU_DEP_1)
	v_fmac_f32_e32 v2, s30, v19
	flat_store_b32 v[26:27], v2
	flat_load_b32 v2, v[24:25] offset:64
	s_wait_loadcnt_dscnt 0x0
	v_mul_f32_e32 v2, s33, v2
	v_fmac_f32_e32 v2, s30, v18
	v_add_nc_u64_e32 v[18:19], s[20:21], v[20:21]
	flat_store_b32 v[26:27], v2 offset:64
	flat_load_b32 v2, v[24:25] offset:128
	v_add_nc_u64_e32 v[18:19], v[18:19], v[10:11]
	s_wait_loadcnt_dscnt 0x0
	v_mul_f32_e32 v2, s33, v2
	s_delay_alu instid0(VALU_DEP_1) | instskip(SKIP_4) | instid1(VALU_DEP_1)
	v_fmac_f32_e32 v2, s30, v17
	flat_store_b32 v[26:27], v2 offset:128
	flat_load_b32 v2, v[24:25] offset:192
	s_wait_loadcnt_dscnt 0x0
	v_mul_f32_e32 v2, s33, v2
	v_fmac_f32_e32 v2, s30, v16
	v_add_nc_u64_e32 v[16:17], s[14:15], v[22:23]
	flat_store_b32 v[26:27], v2 offset:192
	flat_load_b32 v2, v[18:19]
	v_add_nc_u64_e32 v[16:17], v[16:17], v[10:11]
	s_wait_loadcnt_dscnt 0x0
	v_mul_f32_e32 v2, s33, v2
	s_delay_alu instid0(VALU_DEP_1) | instskip(SKIP_4) | instid1(VALU_DEP_1)
	v_fmac_f32_e32 v2, s30, v15
	flat_store_b32 v[16:17], v2
	flat_load_b32 v2, v[18:19] offset:64
	s_wait_loadcnt_dscnt 0x0
	v_mul_f32_e32 v2, s33, v2
	v_fmac_f32_e32 v2, s30, v14
	flat_store_b32 v[16:17], v2 offset:64
	flat_load_b32 v2, v[18:19] offset:128
	s_wait_loadcnt_dscnt 0x0
	v_mul_f32_e32 v2, s33, v2
	s_delay_alu instid0(VALU_DEP_1) | instskip(SKIP_4) | instid1(VALU_DEP_1)
	v_fmac_f32_e32 v2, s30, v13
	flat_store_b32 v[16:17], v2 offset:128
	flat_load_b32 v2, v[18:19] offset:192
	s_wait_loadcnt_dscnt 0x0
	v_mul_f32_e32 v2, s33, v2
	v_fmac_f32_e32 v2, s30, v12
	flat_store_b32 v[16:17], v2 offset:192
	s_branch .LBB173_2
.LBB173_10:
	s_sendmsg sendmsg(MSG_DEALLOC_VGPRS)
	s_endpgm
	.section	.rodata,"a",@progbits
	.p2align	6, 0x0
	.amdhsa_kernel _ZN12_GLOBAL__N_127rocblas_gemm_batched_kernelIfLi16ELi16ELi64ELi64ELi4ELi64ELi4ELi4ELi64ELc67ELc84EKPK16rocblas_bfloat16KPKfKPfEEvlllT_PT11_llSC_llSA_PT12_llPT13_lli
		.amdhsa_group_segment_fixed_size 2048
		.amdhsa_private_segment_fixed_size 0
		.amdhsa_kernarg_size 140
		.amdhsa_user_sgpr_count 2
		.amdhsa_user_sgpr_dispatch_ptr 0
		.amdhsa_user_sgpr_queue_ptr 0
		.amdhsa_user_sgpr_kernarg_segment_ptr 1
		.amdhsa_user_sgpr_dispatch_id 0
		.amdhsa_user_sgpr_kernarg_preload_length 0
		.amdhsa_user_sgpr_kernarg_preload_offset 0
		.amdhsa_user_sgpr_private_segment_size 0
		.amdhsa_wavefront_size32 1
		.amdhsa_uses_dynamic_stack 0
		.amdhsa_enable_private_segment 0
		.amdhsa_system_sgpr_workgroup_id_x 1
		.amdhsa_system_sgpr_workgroup_id_y 1
		.amdhsa_system_sgpr_workgroup_id_z 1
		.amdhsa_system_sgpr_workgroup_info 0
		.amdhsa_system_vgpr_workitem_id 1
		.amdhsa_next_free_vgpr 78
		.amdhsa_next_free_sgpr 36
		.amdhsa_named_barrier_count 0
		.amdhsa_reserve_vcc 1
		.amdhsa_float_round_mode_32 0
		.amdhsa_float_round_mode_16_64 0
		.amdhsa_float_denorm_mode_32 3
		.amdhsa_float_denorm_mode_16_64 3
		.amdhsa_fp16_overflow 0
		.amdhsa_memory_ordered 1
		.amdhsa_forward_progress 1
		.amdhsa_inst_pref_size 19
		.amdhsa_round_robin_scheduling 0
		.amdhsa_exception_fp_ieee_invalid_op 0
		.amdhsa_exception_fp_denorm_src 0
		.amdhsa_exception_fp_ieee_div_zero 0
		.amdhsa_exception_fp_ieee_overflow 0
		.amdhsa_exception_fp_ieee_underflow 0
		.amdhsa_exception_fp_ieee_inexact 0
		.amdhsa_exception_int_div_zero 0
	.end_amdhsa_kernel
	.section	.text._ZN12_GLOBAL__N_127rocblas_gemm_batched_kernelIfLi16ELi16ELi64ELi64ELi4ELi64ELi4ELi4ELi64ELc67ELc84EKPK16rocblas_bfloat16KPKfKPfEEvlllT_PT11_llSC_llSA_PT12_llPT13_lli,"axG",@progbits,_ZN12_GLOBAL__N_127rocblas_gemm_batched_kernelIfLi16ELi16ELi64ELi64ELi4ELi64ELi4ELi4ELi64ELc67ELc84EKPK16rocblas_bfloat16KPKfKPfEEvlllT_PT11_llSC_llSA_PT12_llPT13_lli,comdat
.Lfunc_end173:
	.size	_ZN12_GLOBAL__N_127rocblas_gemm_batched_kernelIfLi16ELi16ELi64ELi64ELi4ELi64ELi4ELi4ELi64ELc67ELc84EKPK16rocblas_bfloat16KPKfKPfEEvlllT_PT11_llSC_llSA_PT12_llPT13_lli, .Lfunc_end173-_ZN12_GLOBAL__N_127rocblas_gemm_batched_kernelIfLi16ELi16ELi64ELi64ELi4ELi64ELi4ELi4ELi64ELc67ELc84EKPK16rocblas_bfloat16KPKfKPfEEvlllT_PT11_llSC_llSA_PT12_llPT13_lli
                                        ; -- End function
	.set _ZN12_GLOBAL__N_127rocblas_gemm_batched_kernelIfLi16ELi16ELi64ELi64ELi4ELi64ELi4ELi4ELi64ELc67ELc84EKPK16rocblas_bfloat16KPKfKPfEEvlllT_PT11_llSC_llSA_PT12_llPT13_lli.num_vgpr, 78
	.set _ZN12_GLOBAL__N_127rocblas_gemm_batched_kernelIfLi16ELi16ELi64ELi64ELi4ELi64ELi4ELi4ELi64ELc67ELc84EKPK16rocblas_bfloat16KPKfKPfEEvlllT_PT11_llSC_llSA_PT12_llPT13_lli.num_agpr, 0
	.set _ZN12_GLOBAL__N_127rocblas_gemm_batched_kernelIfLi16ELi16ELi64ELi64ELi4ELi64ELi4ELi4ELi64ELc67ELc84EKPK16rocblas_bfloat16KPKfKPfEEvlllT_PT11_llSC_llSA_PT12_llPT13_lli.numbered_sgpr, 36
	.set _ZN12_GLOBAL__N_127rocblas_gemm_batched_kernelIfLi16ELi16ELi64ELi64ELi4ELi64ELi4ELi4ELi64ELc67ELc84EKPK16rocblas_bfloat16KPKfKPfEEvlllT_PT11_llSC_llSA_PT12_llPT13_lli.num_named_barrier, 0
	.set _ZN12_GLOBAL__N_127rocblas_gemm_batched_kernelIfLi16ELi16ELi64ELi64ELi4ELi64ELi4ELi4ELi64ELc67ELc84EKPK16rocblas_bfloat16KPKfKPfEEvlllT_PT11_llSC_llSA_PT12_llPT13_lli.private_seg_size, 0
	.set _ZN12_GLOBAL__N_127rocblas_gemm_batched_kernelIfLi16ELi16ELi64ELi64ELi4ELi64ELi4ELi4ELi64ELc67ELc84EKPK16rocblas_bfloat16KPKfKPfEEvlllT_PT11_llSC_llSA_PT12_llPT13_lli.uses_vcc, 1
	.set _ZN12_GLOBAL__N_127rocblas_gemm_batched_kernelIfLi16ELi16ELi64ELi64ELi4ELi64ELi4ELi4ELi64ELc67ELc84EKPK16rocblas_bfloat16KPKfKPfEEvlllT_PT11_llSC_llSA_PT12_llPT13_lli.uses_flat_scratch, 1
	.set _ZN12_GLOBAL__N_127rocblas_gemm_batched_kernelIfLi16ELi16ELi64ELi64ELi4ELi64ELi4ELi4ELi64ELc67ELc84EKPK16rocblas_bfloat16KPKfKPfEEvlllT_PT11_llSC_llSA_PT12_llPT13_lli.has_dyn_sized_stack, 0
	.set _ZN12_GLOBAL__N_127rocblas_gemm_batched_kernelIfLi16ELi16ELi64ELi64ELi4ELi64ELi4ELi4ELi64ELc67ELc84EKPK16rocblas_bfloat16KPKfKPfEEvlllT_PT11_llSC_llSA_PT12_llPT13_lli.has_recursion, 0
	.set _ZN12_GLOBAL__N_127rocblas_gemm_batched_kernelIfLi16ELi16ELi64ELi64ELi4ELi64ELi4ELi4ELi64ELc67ELc84EKPK16rocblas_bfloat16KPKfKPfEEvlllT_PT11_llSC_llSA_PT12_llPT13_lli.has_indirect_call, 0
	.section	.AMDGPU.csdata,"",@progbits
; Kernel info:
; codeLenInByte = 2376
; TotalNumSgprs: 38
; NumVgprs: 78
; ScratchSize: 0
; MemoryBound: 0
; FloatMode: 240
; IeeeMode: 1
; LDSByteSize: 2048 bytes/workgroup (compile time only)
; SGPRBlocks: 0
; VGPRBlocks: 4
; NumSGPRsForWavesPerEU: 38
; NumVGPRsForWavesPerEU: 78
; NamedBarCnt: 0
; Occupancy: 12
; WaveLimiterHint : 1
; COMPUTE_PGM_RSRC2:SCRATCH_EN: 0
; COMPUTE_PGM_RSRC2:USER_SGPR: 2
; COMPUTE_PGM_RSRC2:TRAP_HANDLER: 0
; COMPUTE_PGM_RSRC2:TGID_X_EN: 1
; COMPUTE_PGM_RSRC2:TGID_Y_EN: 1
; COMPUTE_PGM_RSRC2:TGID_Z_EN: 1
; COMPUTE_PGM_RSRC2:TIDIG_COMP_CNT: 1
	.section	.text._ZN12_GLOBAL__N_127rocblas_gemm_batched_kernelIfLi16ELi16ELi64ELi64ELi4ELi64ELi4ELi4ELi64ELc78ELc67EKPK16rocblas_bfloat16KPKfKPfEEvlllT_PT11_llSC_llSA_PT12_llPT13_lli,"axG",@progbits,_ZN12_GLOBAL__N_127rocblas_gemm_batched_kernelIfLi16ELi16ELi64ELi64ELi4ELi64ELi4ELi4ELi64ELc78ELc67EKPK16rocblas_bfloat16KPKfKPfEEvlllT_PT11_llSC_llSA_PT12_llPT13_lli,comdat
	.globl	_ZN12_GLOBAL__N_127rocblas_gemm_batched_kernelIfLi16ELi16ELi64ELi64ELi4ELi64ELi4ELi4ELi64ELc78ELc67EKPK16rocblas_bfloat16KPKfKPfEEvlllT_PT11_llSC_llSA_PT12_llPT13_lli ; -- Begin function _ZN12_GLOBAL__N_127rocblas_gemm_batched_kernelIfLi16ELi16ELi64ELi64ELi4ELi64ELi4ELi4ELi64ELc78ELc67EKPK16rocblas_bfloat16KPKfKPfEEvlllT_PT11_llSC_llSA_PT12_llPT13_lli
	.p2align	8
	.type	_ZN12_GLOBAL__N_127rocblas_gemm_batched_kernelIfLi16ELi16ELi64ELi64ELi4ELi64ELi4ELi4ELi64ELc78ELc67EKPK16rocblas_bfloat16KPKfKPfEEvlllT_PT11_llSC_llSA_PT12_llPT13_lli,@function
_ZN12_GLOBAL__N_127rocblas_gemm_batched_kernelIfLi16ELi16ELi64ELi64ELi4ELi64ELi4ELi4ELi64ELc78ELc67EKPK16rocblas_bfloat16KPKfKPfEEvlllT_PT11_llSC_llSA_PT12_llPT13_lli: ; @_ZN12_GLOBAL__N_127rocblas_gemm_batched_kernelIfLi16ELi16ELi64ELi64ELi4ELi64ELi4ELi4ELi64ELc78ELc67EKPK16rocblas_bfloat16KPKfKPfEEvlllT_PT11_llSC_llSA_PT12_llPT13_lli
; %bb.0:
	s_load_b32 s31, s[0:1], 0x88
	s_bfe_u32 s2, ttmp6, 0x40014
	s_lshr_b32 s3, ttmp7, 16
	s_add_co_i32 s2, s2, 1
	s_bfe_u32 s4, ttmp6, 0x40008
	s_mul_i32 s2, s3, s2
	s_getreg_b32 s28, hwreg(HW_REG_IB_STS2, 6, 4)
	s_add_co_i32 s4, s4, s2
	s_cmp_eq_u32 s28, 0
	s_cselect_b32 s2, s3, s4
	s_mov_b32 s3, 0
	s_wait_kmcnt 0x0
	s_cmp_ge_i32 s2, s31
	s_cbranch_scc1 .LBB174_10
; %bb.1:
	v_bfe_u32 v2, v0, 10, 10
	s_clause 0x2
	s_load_b256 s[4:11], s[0:1], 0x20
	s_load_b128 s[24:27], s[0:1], 0x40
	s_load_b32 s33, s[0:1], 0x50
	v_and_b32_e32 v6, 0x3ff, v0
	s_bfe_u32 s29, ttmp6, 0x4000c
	s_bfe_u32 s34, ttmp6, 0x40010
	v_dual_mov_b32 v3, 0 :: v_dual_lshlrev_b32 v16, 4, v2
	s_add_co_i32 s29, s29, 1
	s_and_b32 s35, ttmp7, 0xffff
	s_add_co_i32 s34, s34, 1
	s_and_b32 s30, ttmp6, 15
	s_mul_i32 s29, ttmp9, s29
	s_mul_i32 s34, s35, s34
	s_bfe_u32 s36, ttmp6, 0x40004
	v_dual_add_nc_u32 v1, v16, v6 :: v_dual_bitop2_b32 v0, 3, v0 bitop3:0x40
	s_clause 0x1
	s_load_b128 s[20:23], s[0:1], 0x78
	s_load_b256 s[12:19], s[0:1], 0x58
	s_add_co_i32 s30, s30, s29
	s_add_co_i32 s36, s36, s34
	s_cmp_eq_u32 s28, 0
	v_dual_mov_b32 v9, v3 :: v_dual_lshrrev_b32 v8, 2, v1
	s_cselect_b32 s28, ttmp9, s30
	v_dual_lshrrev_b32 v17, 6, v1 :: v_dual_bitop2_b32 v14, 63, v1 bitop3:0x40
	s_cselect_b32 s30, s35, s36
	s_ashr_i32 s29, s28, 31
	s_wait_kmcnt 0x0
	v_mad_nc_u64_u32 v[10:11], s24, v0, v[8:9]
	s_lshl_b64 s[34:35], s[28:29], 6
	s_lshl_b32 s36, s30, 6
	v_mad_nc_u64_u32 v[12:13], s6, v17, s[34:35]
	s_mov_b32 s37, s3
	s_load_b96 s[28:30], s[0:1], 0x10
	v_add_nc_u64_e32 v[4:5], s[36:37], v[2:3]
	v_dual_lshlrev_b32 v2, 2, v0 :: v_dual_lshlrev_b32 v18, 2, v14
	v_dual_mov_b32 v15, v3 :: v_dual_mov_b32 v7, v3
	v_mad_u32 v11, s25, v0, v11
	s_delay_alu instid0(VALU_DEP_3)
	v_lshl_or_b32 v19, v8, 4, v2
	v_mul_u64_e32 v[0:1], s[20:21], v[4:5]
	v_mad_u32 v13, s7, v17, v13
	v_mul_u64_e32 v[4:5], s[14:15], v[4:5]
	s_cmp_eq_f32 s33, 0
	v_lshlrev_b32_e32 v37, 2, v6
	v_lshl_or_b32 v2, v17, 8, v18
	v_add_nc_u32_e32 v36, 0x400, v19
	v_add_nc_u32_e32 v38, 0x400, v16
	s_wait_xcnt 0x0
	s_cselect_b32 s1, -1, 0
	v_add_nc_u64_e32 v[8:9], s[36:37], v[10:11]
	s_lshl_b64 s[20:21], s[20:21], 4
	s_lshl_b64 s[6:7], s[6:7], 3
	v_add_nc_u64_e32 v[10:11], v[12:13], v[14:15]
	s_wait_kmcnt 0x0
	v_cmp_gt_i64_e64 s0, s[28:29], 0
	v_add_nc_u64_e32 v[12:13], s[34:35], v[6:7]
	s_lshl_b64 s[34:35], s[14:15], 4
	v_lshlrev_b64_e32 v[8:9], 1, v[8:9]
	s_lshl_b64 s[14:15], s[24:25], 3
	s_lshl_b64 s[20:21], s[20:21], 2
	v_lshlrev_b64_e32 v[10:11], 1, v[10:11]
	v_cndmask_b32_e64 v14, 0, 1, s0
	s_lshl_b64 s[16:17], s[16:17], 2
	s_delay_alu instid0(VALU_DEP_3) | instskip(NEXT) | instid1(VALU_DEP_2)
	v_lshl_add_u64 v[6:7], s[26:27], 1, v[8:9]
	v_cmp_ne_u32_e64 s0, 1, v14
	s_delay_alu instid0(VALU_DEP_4)
	v_lshl_add_u64 v[8:9], s[8:9], 1, v[10:11]
	v_lshlrev_b64_e32 v[10:11], 2, v[12:13]
	s_lshl_b64 s[8:9], s[22:23], 2
	s_lshl_b64 s[22:23], s[34:35], 2
	s_branch .LBB174_3
.LBB174_2:                              ;   in Loop: Header=BB174_3 Depth=1
	s_add_co_i32 s2, s2, 0x10000
	s_delay_alu instid0(SALU_CYCLE_1)
	s_cmp_lt_i32 s2, s31
	s_cbranch_scc0 .LBB174_10
.LBB174_3:                              ; =>This Loop Header: Depth=1
                                        ;     Child Loop BB174_5 Depth 2
	v_dual_mov_b32 v12, s2 :: v_dual_mov_b32 v29, 0
	v_dual_mov_b32 v28, 0 :: v_dual_mov_b32 v27, 0
	;; [unrolled: 1-line block ×3, first 2 shown]
	s_clause 0x1
	global_load_b64 v[20:21], v12, s[12:13] scale_offset
	global_load_b64 v[30:31], v12, s[18:19] scale_offset
	v_dual_mov_b32 v24, 0 :: v_dual_mov_b32 v23, 0
	s_wait_xcnt 0x3
	v_dual_mov_b32 v22, 0 :: v_dual_mov_b32 v19, 0
	s_wait_xcnt 0x2
	v_dual_mov_b32 v18, 0 :: v_dual_mov_b32 v17, 0
	v_dual_mov_b32 v16, 0 :: v_dual_mov_b32 v15, 0
	;; [unrolled: 1-line block ×3, first 2 shown]
	s_wait_xcnt 0x0
	v_mov_b32_e32 v12, 0
	s_and_b32 vcc_lo, exec_lo, s0
	s_cbranch_vccnz .LBB174_6
; %bb.4:                                ;   in Loop: Header=BB174_3 Depth=1
	s_lshl_b64 s[24:25], s[2:3], 3
	v_mov_b32_e32 v12, 0
	s_add_nc_u64 s[26:27], s[10:11], s[24:25]
	s_add_nc_u64 s[24:25], s[4:5], s[24:25]
	s_clause 0x1
	global_load_b64 v[28:29], v3, s[26:27]
	global_load_b64 v[34:35], v3, s[24:25]
	s_wait_xcnt 0x0
	s_mov_b64 s[24:25], 0
	v_dual_mov_b32 v13, v12 :: v_dual_mov_b32 v14, v12
	v_dual_mov_b32 v15, v12 :: v_dual_mov_b32 v16, v12
	;; [unrolled: 1-line block ×6, first 2 shown]
	v_mov_b32_e32 v27, v12
	s_wait_loadcnt 0x1
	v_add_nc_u64_e32 v[32:33], v[28:29], v[6:7]
	s_wait_loadcnt 0x0
	v_add_nc_u64_e32 v[34:35], v[34:35], v[8:9]
	v_dual_mov_b32 v28, v12 :: v_dual_mov_b32 v29, v12
.LBB174_5:                              ;   Parent Loop BB174_3 Depth=1
                                        ; =>  This Inner Loop Header: Depth=2
	flat_load_u16 v39, v[34:35]
	flat_load_u16 v40, v[32:33]
	s_add_nc_u64 s[24:25], s[24:25], 4
	s_wait_xcnt 0x0
	v_add_nc_u64_e32 v[32:33], s[14:15], v[32:33]
	v_cmp_lt_i64_e64 s26, s[24:25], s[28:29]
	v_add_nc_u64_e32 v[34:35], s[6:7], v[34:35]
	s_and_b32 vcc_lo, exec_lo, s26
	s_wait_loadcnt_dscnt 0x0
	v_dual_lshlrev_b32 v39, 16, v39 :: v_dual_lshlrev_b32 v40, 16, v40
	ds_store_b32 v2, v39
	ds_store_b32 v36, v40
	s_wait_dscnt 0x0
	s_barrier_signal -1
	s_barrier_wait -1
	ds_load_2addr_b32 v[56:57], v37 offset1:16
	ds_load_2addr_b32 v[58:59], v37 offset0:64 offset1:80
	ds_load_2addr_b32 v[60:61], v37 offset0:128 offset1:144
	;; [unrolled: 1-line block ×6, first 2 shown]
	ds_load_b128 v[40:43], v38
	ds_load_b128 v[44:47], v38 offset:256
	ds_load_2addr_b32 v[70:71], v37 offset0:224 offset1:240
	ds_load_b128 v[48:51], v38 offset:512
	ds_load_b128 v[52:55], v38 offset:768
	s_wait_dscnt 0x0
	s_barrier_signal -1
	s_barrier_wait -1
	v_dual_mov_b32 v72, v57 :: v_dual_mov_b32 v73, v56
	v_dual_mov_b32 v56, v59 :: v_dual_mov_b32 v57, v58
	;; [unrolled: 1-line block ×6, first 2 shown]
	v_pk_fma_f32 v[28:29], v[72:73], v[40:41], v[28:29] op_sel_hi:[1,0,1]
	v_pk_fma_f32 v[24:25], v[72:73], v[44:45], v[24:25] op_sel_hi:[1,0,1]
	s_delay_alu instid0(VALU_DEP_4)
	v_pk_fma_f32 v[26:27], v[62:63], v[40:41], v[26:27] op_sel_hi:[1,0,1]
	v_pk_fma_f32 v[18:19], v[72:73], v[48:49], v[18:19] op_sel_hi:[1,0,1]
	;; [unrolled: 1-line block ×6, first 2 shown]
	v_dual_mov_b32 v66, v69 :: v_dual_mov_b32 v67, v68
	v_pk_fma_f32 v[28:29], v[56:57], v[40:41], v[28:29] op_sel:[0,1,0]
	v_pk_fma_f32 v[26:27], v[64:65], v[40:41], v[26:27] op_sel:[0,1,0]
	v_pk_fma_f32 v[24:25], v[56:57], v[44:45], v[24:25] op_sel:[0,1,0]
	v_pk_fma_f32 v[18:19], v[56:57], v[48:49], v[18:19] op_sel:[0,1,0]
	v_pk_fma_f32 v[14:15], v[56:57], v[52:53], v[14:15] op_sel:[0,1,0]
	v_pk_fma_f32 v[22:23], v[64:65], v[44:45], v[22:23] op_sel:[0,1,0]
	v_pk_fma_f32 v[16:17], v[64:65], v[48:49], v[16:17] op_sel:[0,1,0]
	v_pk_fma_f32 v[12:13], v[64:65], v[52:53], v[12:13] op_sel:[0,1,0]
	v_dual_mov_b32 v68, v43 :: v_dual_mov_b32 v74, v71
	v_dual_mov_b32 v75, v70 :: v_dual_mov_b32 v70, v47
	;; [unrolled: 1-line block ×3, first 2 shown]
	v_pk_fma_f32 v[28:29], v[58:59], v[42:43], v[28:29] op_sel_hi:[1,0,1]
	v_pk_fma_f32 v[26:27], v[66:67], v[42:43], v[26:27] op_sel_hi:[1,0,1]
	;; [unrolled: 1-line block ×16, first 2 shown]
	s_cbranch_vccnz .LBB174_5
.LBB174_6:                              ;   in Loop: Header=BB174_3 Depth=1
	s_wait_loadcnt 0x0
	v_add_nc_u64_e32 v[30:31], s[8:9], v[30:31]
	s_and_not1_b32 vcc_lo, exec_lo, s1
	s_delay_alu instid0(VALU_DEP_1) | instskip(NEXT) | instid1(VALU_DEP_1)
	v_lshl_add_u64 v[30:31], v[0:1], 2, v[30:31]
	v_add_nc_u64_e32 v[32:33], v[30:31], v[10:11]
	v_add_nc_u64_e32 v[30:31], s[20:21], v[30:31]
	s_cbranch_vccnz .LBB174_8
; %bb.7:                                ;   in Loop: Header=BB174_3 Depth=1
	v_dual_mul_f32 v39, s30, v29 :: v_dual_mul_f32 v40, s30, v28
	s_delay_alu instid0(VALU_DEP_2)
	v_add_nc_u64_e32 v[34:35], s[20:21], v[30:31]
	v_dual_mul_f32 v41, s30, v27 :: v_dual_mul_f32 v42, s30, v26
	s_clause 0x3
	flat_store_b32 v[32:33], v39
	flat_store_b32 v[32:33], v40 offset:64
	flat_store_b32 v[32:33], v41 offset:128
	;; [unrolled: 1-line block ×3, first 2 shown]
	s_wait_xcnt 0x1
	v_add_nc_u64_e32 v[40:41], v[30:31], v[10:11]
	v_dual_mul_f32 v39, s30, v25 :: v_dual_mul_f32 v44, s30, v24
	s_wait_xcnt 0x0
	v_add_nc_u64_e32 v[42:43], v[34:35], v[10:11]
	v_add_nc_u64_e32 v[34:35], s[20:21], v[34:35]
	v_dual_mul_f32 v45, s30, v23 :: v_dual_mul_f32 v46, s30, v22
	s_clause 0x3
	flat_store_b32 v[40:41], v39
	flat_store_b32 v[40:41], v44 offset:64
	flat_store_b32 v[40:41], v45 offset:128
	;; [unrolled: 1-line block ×3, first 2 shown]
	s_wait_xcnt 0x0
	v_dual_mul_f32 v39, s30, v19 :: v_dual_mul_f32 v40, s30, v18
	v_dual_mul_f32 v41, s30, v17 :: v_dual_mul_f32 v44, s30, v16
	v_add_nc_u64_e32 v[34:35], v[34:35], v[10:11]
	s_clause 0x3
	flat_store_b32 v[42:43], v39
	flat_store_b32 v[42:43], v40 offset:64
	flat_store_b32 v[42:43], v41 offset:128
	;; [unrolled: 1-line block ×3, first 2 shown]
	s_wait_xcnt 0x2
	v_dual_mul_f32 v39, s30, v15 :: v_dual_mul_f32 v40, s30, v14
	s_wait_xcnt 0x0
	v_dual_mul_f32 v41, s30, v13 :: v_dual_mul_f32 v42, s30, v12
	s_clause 0x3
	flat_store_b32 v[34:35], v39
	flat_store_b32 v[34:35], v40 offset:64
	flat_store_b32 v[34:35], v41 offset:128
	;; [unrolled: 1-line block ×3, first 2 shown]
	s_cbranch_execnz .LBB174_2
	s_branch .LBB174_9
.LBB174_8:                              ;   in Loop: Header=BB174_3 Depth=1
.LBB174_9:                              ;   in Loop: Header=BB174_3 Depth=1
	v_add_nc_u64_e32 v[20:21], s[16:17], v[20:21]
	s_delay_alu instid0(VALU_DEP_1) | instskip(SKIP_1) | instid1(VALU_DEP_1)
	v_lshl_add_u64 v[20:21], v[4:5], 2, v[20:21]
	s_wait_xcnt 0x0
	v_add_nc_u64_e32 v[34:35], v[20:21], v[10:11]
	v_add_nc_u64_e32 v[20:21], s[22:23], v[20:21]
	flat_load_b32 v39, v[34:35]
	s_wait_loadcnt_dscnt 0x0
	v_mul_f32_e32 v39, s33, v39
	s_delay_alu instid0(VALU_DEP_1) | instskip(SKIP_4) | instid1(VALU_DEP_1)
	v_fmac_f32_e32 v39, s30, v29
	flat_store_b32 v[32:33], v39
	flat_load_b32 v29, v[34:35] offset:64
	s_wait_loadcnt_dscnt 0x0
	v_mul_f32_e32 v29, s33, v29
	v_fmac_f32_e32 v29, s30, v28
	flat_store_b32 v[32:33], v29 offset:64
	flat_load_b32 v28, v[34:35] offset:128
	s_wait_loadcnt_dscnt 0x0
	v_mul_f32_e32 v28, s33, v28
	s_delay_alu instid0(VALU_DEP_1)
	v_fmac_f32_e32 v28, s30, v27
	flat_store_b32 v[32:33], v28 offset:128
	flat_load_b32 v27, v[34:35] offset:192
	s_wait_xcnt 0x1
	v_add_nc_u64_e32 v[28:29], v[20:21], v[10:11]
	v_add_nc_u64_e32 v[20:21], s[22:23], v[20:21]
	s_wait_loadcnt_dscnt 0x0
	v_mul_f32_e32 v27, s33, v27
	s_delay_alu instid0(VALU_DEP_1)
	v_fmac_f32_e32 v27, s30, v26
	flat_store_b32 v[32:33], v27 offset:192
	flat_load_b32 v26, v[28:29]
	s_wait_loadcnt_dscnt 0x0
	s_wait_xcnt 0x1
	v_mul_f32_e32 v32, s33, v26
	v_add_nc_u64_e32 v[26:27], v[30:31], v[10:11]
	s_delay_alu instid0(VALU_DEP_2) | instskip(SKIP_4) | instid1(VALU_DEP_1)
	v_fmac_f32_e32 v32, s30, v25
	flat_store_b32 v[26:27], v32
	flat_load_b32 v25, v[28:29] offset:64
	s_wait_loadcnt_dscnt 0x0
	v_mul_f32_e32 v25, s33, v25
	v_fmac_f32_e32 v25, s30, v24
	flat_store_b32 v[26:27], v25 offset:64
	flat_load_b32 v24, v[28:29] offset:128
	s_wait_loadcnt_dscnt 0x0
	v_mul_f32_e32 v24, s33, v24
	s_delay_alu instid0(VALU_DEP_1)
	v_fmac_f32_e32 v24, s30, v23
	flat_store_b32 v[26:27], v24 offset:128
	flat_load_b32 v23, v[28:29] offset:192
	s_wait_xcnt 0x1
	v_add_nc_u64_e32 v[24:25], v[20:21], v[10:11]
	s_wait_loadcnt_dscnt 0x0
	v_mul_f32_e32 v23, s33, v23
	s_delay_alu instid0(VALU_DEP_1)
	v_fmac_f32_e32 v23, s30, v22
	flat_store_b32 v[26:27], v23 offset:192
	flat_load_b32 v26, v[24:25]
	v_add_nc_u64_e32 v[22:23], s[20:21], v[30:31]
	s_wait_loadcnt_dscnt 0x0
	v_mul_f32_e32 v28, s33, v26
	s_delay_alu instid0(VALU_DEP_2) | instskip(NEXT) | instid1(VALU_DEP_2)
	v_add_nc_u64_e32 v[26:27], v[22:23], v[10:11]
	v_fmac_f32_e32 v28, s30, v19
	flat_store_b32 v[26:27], v28
	flat_load_b32 v19, v[24:25] offset:64
	s_wait_loadcnt_dscnt 0x0
	v_mul_f32_e32 v19, s33, v19
	s_delay_alu instid0(VALU_DEP_1) | instskip(SKIP_4) | instid1(VALU_DEP_1)
	v_fmac_f32_e32 v19, s30, v18
	flat_store_b32 v[26:27], v19 offset:64
	flat_load_b32 v18, v[24:25] offset:128
	s_wait_loadcnt_dscnt 0x0
	v_mul_f32_e32 v18, s33, v18
	v_fmac_f32_e32 v18, s30, v17
	flat_store_b32 v[26:27], v18 offset:128
	flat_load_b32 v17, v[24:25] offset:192
	s_wait_xcnt 0x1
	v_add_nc_u64_e32 v[18:19], s[22:23], v[20:21]
	s_delay_alu instid0(VALU_DEP_1) | instskip(SKIP_2) | instid1(VALU_DEP_1)
	v_add_nc_u64_e32 v[18:19], v[18:19], v[10:11]
	s_wait_loadcnt_dscnt 0x0
	v_mul_f32_e32 v17, s33, v17
	v_fmac_f32_e32 v17, s30, v16
	flat_store_b32 v[26:27], v17 offset:192
	flat_load_b32 v20, v[18:19]
	s_wait_xcnt 0x1
	v_add_nc_u64_e32 v[16:17], s[20:21], v[22:23]
	s_delay_alu instid0(VALU_DEP_1) | instskip(SKIP_2) | instid1(VALU_DEP_1)
	v_add_nc_u64_e32 v[16:17], v[16:17], v[10:11]
	s_wait_loadcnt_dscnt 0x0
	v_mul_f32_e32 v20, s33, v20
	v_fmac_f32_e32 v20, s30, v15
	flat_store_b32 v[16:17], v20
	flat_load_b32 v15, v[18:19] offset:64
	s_wait_loadcnt_dscnt 0x0
	v_mul_f32_e32 v15, s33, v15
	s_delay_alu instid0(VALU_DEP_1) | instskip(SKIP_4) | instid1(VALU_DEP_1)
	v_fmac_f32_e32 v15, s30, v14
	flat_store_b32 v[16:17], v15 offset:64
	flat_load_b32 v14, v[18:19] offset:128
	s_wait_loadcnt_dscnt 0x0
	v_mul_f32_e32 v14, s33, v14
	v_fmac_f32_e32 v14, s30, v13
	flat_store_b32 v[16:17], v14 offset:128
	flat_load_b32 v13, v[18:19] offset:192
	s_wait_loadcnt_dscnt 0x0
	v_mul_f32_e32 v13, s33, v13
	s_delay_alu instid0(VALU_DEP_1)
	v_fmac_f32_e32 v13, s30, v12
	flat_store_b32 v[16:17], v13 offset:192
	s_branch .LBB174_2
.LBB174_10:
	s_sendmsg sendmsg(MSG_DEALLOC_VGPRS)
	s_endpgm
	.section	.rodata,"a",@progbits
	.p2align	6, 0x0
	.amdhsa_kernel _ZN12_GLOBAL__N_127rocblas_gemm_batched_kernelIfLi16ELi16ELi64ELi64ELi4ELi64ELi4ELi4ELi64ELc78ELc67EKPK16rocblas_bfloat16KPKfKPfEEvlllT_PT11_llSC_llSA_PT12_llPT13_lli
		.amdhsa_group_segment_fixed_size 2048
		.amdhsa_private_segment_fixed_size 0
		.amdhsa_kernarg_size 140
		.amdhsa_user_sgpr_count 2
		.amdhsa_user_sgpr_dispatch_ptr 0
		.amdhsa_user_sgpr_queue_ptr 0
		.amdhsa_user_sgpr_kernarg_segment_ptr 1
		.amdhsa_user_sgpr_dispatch_id 0
		.amdhsa_user_sgpr_kernarg_preload_length 0
		.amdhsa_user_sgpr_kernarg_preload_offset 0
		.amdhsa_user_sgpr_private_segment_size 0
		.amdhsa_wavefront_size32 1
		.amdhsa_uses_dynamic_stack 0
		.amdhsa_enable_private_segment 0
		.amdhsa_system_sgpr_workgroup_id_x 1
		.amdhsa_system_sgpr_workgroup_id_y 1
		.amdhsa_system_sgpr_workgroup_id_z 1
		.amdhsa_system_sgpr_workgroup_info 0
		.amdhsa_system_vgpr_workitem_id 1
		.amdhsa_next_free_vgpr 80
		.amdhsa_next_free_sgpr 38
		.amdhsa_named_barrier_count 0
		.amdhsa_reserve_vcc 1
		.amdhsa_float_round_mode_32 0
		.amdhsa_float_round_mode_16_64 0
		.amdhsa_float_denorm_mode_32 3
		.amdhsa_float_denorm_mode_16_64 3
		.amdhsa_fp16_overflow 0
		.amdhsa_memory_ordered 1
		.amdhsa_forward_progress 1
		.amdhsa_inst_pref_size 19
		.amdhsa_round_robin_scheduling 0
		.amdhsa_exception_fp_ieee_invalid_op 0
		.amdhsa_exception_fp_denorm_src 0
		.amdhsa_exception_fp_ieee_div_zero 0
		.amdhsa_exception_fp_ieee_overflow 0
		.amdhsa_exception_fp_ieee_underflow 0
		.amdhsa_exception_fp_ieee_inexact 0
		.amdhsa_exception_int_div_zero 0
	.end_amdhsa_kernel
	.section	.text._ZN12_GLOBAL__N_127rocblas_gemm_batched_kernelIfLi16ELi16ELi64ELi64ELi4ELi64ELi4ELi4ELi64ELc78ELc67EKPK16rocblas_bfloat16KPKfKPfEEvlllT_PT11_llSC_llSA_PT12_llPT13_lli,"axG",@progbits,_ZN12_GLOBAL__N_127rocblas_gemm_batched_kernelIfLi16ELi16ELi64ELi64ELi4ELi64ELi4ELi4ELi64ELc78ELc67EKPK16rocblas_bfloat16KPKfKPfEEvlllT_PT11_llSC_llSA_PT12_llPT13_lli,comdat
.Lfunc_end174:
	.size	_ZN12_GLOBAL__N_127rocblas_gemm_batched_kernelIfLi16ELi16ELi64ELi64ELi4ELi64ELi4ELi4ELi64ELc78ELc67EKPK16rocblas_bfloat16KPKfKPfEEvlllT_PT11_llSC_llSA_PT12_llPT13_lli, .Lfunc_end174-_ZN12_GLOBAL__N_127rocblas_gemm_batched_kernelIfLi16ELi16ELi64ELi64ELi4ELi64ELi4ELi4ELi64ELc78ELc67EKPK16rocblas_bfloat16KPKfKPfEEvlllT_PT11_llSC_llSA_PT12_llPT13_lli
                                        ; -- End function
	.set _ZN12_GLOBAL__N_127rocblas_gemm_batched_kernelIfLi16ELi16ELi64ELi64ELi4ELi64ELi4ELi4ELi64ELc78ELc67EKPK16rocblas_bfloat16KPKfKPfEEvlllT_PT11_llSC_llSA_PT12_llPT13_lli.num_vgpr, 80
	.set _ZN12_GLOBAL__N_127rocblas_gemm_batched_kernelIfLi16ELi16ELi64ELi64ELi4ELi64ELi4ELi4ELi64ELc78ELc67EKPK16rocblas_bfloat16KPKfKPfEEvlllT_PT11_llSC_llSA_PT12_llPT13_lli.num_agpr, 0
	.set _ZN12_GLOBAL__N_127rocblas_gemm_batched_kernelIfLi16ELi16ELi64ELi64ELi4ELi64ELi4ELi4ELi64ELc78ELc67EKPK16rocblas_bfloat16KPKfKPfEEvlllT_PT11_llSC_llSA_PT12_llPT13_lli.numbered_sgpr, 38
	.set _ZN12_GLOBAL__N_127rocblas_gemm_batched_kernelIfLi16ELi16ELi64ELi64ELi4ELi64ELi4ELi4ELi64ELc78ELc67EKPK16rocblas_bfloat16KPKfKPfEEvlllT_PT11_llSC_llSA_PT12_llPT13_lli.num_named_barrier, 0
	.set _ZN12_GLOBAL__N_127rocblas_gemm_batched_kernelIfLi16ELi16ELi64ELi64ELi4ELi64ELi4ELi4ELi64ELc78ELc67EKPK16rocblas_bfloat16KPKfKPfEEvlllT_PT11_llSC_llSA_PT12_llPT13_lli.private_seg_size, 0
	.set _ZN12_GLOBAL__N_127rocblas_gemm_batched_kernelIfLi16ELi16ELi64ELi64ELi4ELi64ELi4ELi4ELi64ELc78ELc67EKPK16rocblas_bfloat16KPKfKPfEEvlllT_PT11_llSC_llSA_PT12_llPT13_lli.uses_vcc, 1
	.set _ZN12_GLOBAL__N_127rocblas_gemm_batched_kernelIfLi16ELi16ELi64ELi64ELi4ELi64ELi4ELi4ELi64ELc78ELc67EKPK16rocblas_bfloat16KPKfKPfEEvlllT_PT11_llSC_llSA_PT12_llPT13_lli.uses_flat_scratch, 1
	.set _ZN12_GLOBAL__N_127rocblas_gemm_batched_kernelIfLi16ELi16ELi64ELi64ELi4ELi64ELi4ELi4ELi64ELc78ELc67EKPK16rocblas_bfloat16KPKfKPfEEvlllT_PT11_llSC_llSA_PT12_llPT13_lli.has_dyn_sized_stack, 0
	.set _ZN12_GLOBAL__N_127rocblas_gemm_batched_kernelIfLi16ELi16ELi64ELi64ELi4ELi64ELi4ELi4ELi64ELc78ELc67EKPK16rocblas_bfloat16KPKfKPfEEvlllT_PT11_llSC_llSA_PT12_llPT13_lli.has_recursion, 0
	.set _ZN12_GLOBAL__N_127rocblas_gemm_batched_kernelIfLi16ELi16ELi64ELi64ELi4ELi64ELi4ELi4ELi64ELc78ELc67EKPK16rocblas_bfloat16KPKfKPfEEvlllT_PT11_llSC_llSA_PT12_llPT13_lli.has_indirect_call, 0
	.section	.AMDGPU.csdata,"",@progbits
; Kernel info:
; codeLenInByte = 2408
; TotalNumSgprs: 40
; NumVgprs: 80
; ScratchSize: 0
; MemoryBound: 0
; FloatMode: 240
; IeeeMode: 1
; LDSByteSize: 2048 bytes/workgroup (compile time only)
; SGPRBlocks: 0
; VGPRBlocks: 4
; NumSGPRsForWavesPerEU: 40
; NumVGPRsForWavesPerEU: 80
; NamedBarCnt: 0
; Occupancy: 12
; WaveLimiterHint : 1
; COMPUTE_PGM_RSRC2:SCRATCH_EN: 0
; COMPUTE_PGM_RSRC2:USER_SGPR: 2
; COMPUTE_PGM_RSRC2:TRAP_HANDLER: 0
; COMPUTE_PGM_RSRC2:TGID_X_EN: 1
; COMPUTE_PGM_RSRC2:TGID_Y_EN: 1
; COMPUTE_PGM_RSRC2:TGID_Z_EN: 1
; COMPUTE_PGM_RSRC2:TIDIG_COMP_CNT: 1
	.section	.text._ZN12_GLOBAL__N_127rocblas_gemm_batched_kernelIfLi16ELi16ELi64ELi64ELi4ELi64ELi4ELi4ELi64ELc84ELc67EKPK16rocblas_bfloat16KPKfKPfEEvlllT_PT11_llSC_llSA_PT12_llPT13_lli,"axG",@progbits,_ZN12_GLOBAL__N_127rocblas_gemm_batched_kernelIfLi16ELi16ELi64ELi64ELi4ELi64ELi4ELi4ELi64ELc84ELc67EKPK16rocblas_bfloat16KPKfKPfEEvlllT_PT11_llSC_llSA_PT12_llPT13_lli,comdat
	.globl	_ZN12_GLOBAL__N_127rocblas_gemm_batched_kernelIfLi16ELi16ELi64ELi64ELi4ELi64ELi4ELi4ELi64ELc84ELc67EKPK16rocblas_bfloat16KPKfKPfEEvlllT_PT11_llSC_llSA_PT12_llPT13_lli ; -- Begin function _ZN12_GLOBAL__N_127rocblas_gemm_batched_kernelIfLi16ELi16ELi64ELi64ELi4ELi64ELi4ELi4ELi64ELc84ELc67EKPK16rocblas_bfloat16KPKfKPfEEvlllT_PT11_llSC_llSA_PT12_llPT13_lli
	.p2align	8
	.type	_ZN12_GLOBAL__N_127rocblas_gemm_batched_kernelIfLi16ELi16ELi64ELi64ELi4ELi64ELi4ELi4ELi64ELc84ELc67EKPK16rocblas_bfloat16KPKfKPfEEvlllT_PT11_llSC_llSA_PT12_llPT13_lli,@function
_ZN12_GLOBAL__N_127rocblas_gemm_batched_kernelIfLi16ELi16ELi64ELi64ELi4ELi64ELi4ELi4ELi64ELc84ELc67EKPK16rocblas_bfloat16KPKfKPfEEvlllT_PT11_llSC_llSA_PT12_llPT13_lli: ; @_ZN12_GLOBAL__N_127rocblas_gemm_batched_kernelIfLi16ELi16ELi64ELi64ELi4ELi64ELi4ELi4ELi64ELc84ELc67EKPK16rocblas_bfloat16KPKfKPfEEvlllT_PT11_llSC_llSA_PT12_llPT13_lli
; %bb.0:
	s_load_b32 s31, s[0:1], 0x88
	s_bfe_u32 s2, ttmp6, 0x40014
	s_lshr_b32 s3, ttmp7, 16
	s_add_co_i32 s2, s2, 1
	s_bfe_u32 s4, ttmp6, 0x40008
	s_mul_i32 s2, s3, s2
	s_getreg_b32 s28, hwreg(HW_REG_IB_STS2, 6, 4)
	s_add_co_i32 s4, s4, s2
	s_cmp_eq_u32 s28, 0
	s_cselect_b32 s2, s3, s4
	s_mov_b32 s3, 0
	s_wait_kmcnt 0x0
	s_cmp_ge_i32 s2, s31
	s_cbranch_scc1 .LBB175_10
; %bb.1:
	v_bfe_u32 v2, v0, 10, 10
	v_and_b32_e32 v6, 0x3ff, v0
	s_bfe_u32 s30, ttmp6, 0x4000c
	s_bfe_u32 s34, ttmp6, 0x40010
	s_clause 0x2
	s_load_b256 s[4:11], s[0:1], 0x20
	s_load_b128 s[24:27], s[0:1], 0x40
	s_load_b128 s[20:23], s[0:1], 0x78
	v_dual_mov_b32 v3, 0 :: v_dual_lshlrev_b32 v14, 4, v2
	s_and_b32 s33, ttmp7, 0xffff
	s_add_co_i32 s30, s30, 1
	s_add_co_i32 s34, s34, 1
	s_and_b32 s29, ttmp6, 15
	s_mul_i32 s30, ttmp9, s30
	s_mul_i32 s34, s33, s34
	s_bfe_u32 s35, ttmp6, 0x40004
	v_dual_add_nc_u32 v7, v14, v6 :: v_dual_bitop2_b32 v16, 3, v0 bitop3:0x40
	s_add_co_i32 s29, s29, s30
	s_add_co_i32 s35, s35, s34
	s_cmp_eq_u32 s28, 0
	s_delay_alu instid0(VALU_DEP_1)
	v_dual_lshrrev_b32 v8, 2, v7 :: v_dual_bitop2_b32 v15, 63, v7 bitop3:0x40
	s_cselect_b32 s28, ttmp9, s29
	s_cselect_b32 s30, s33, s35
	s_ashr_i32 s29, s28, 31
	s_load_b256 s[12:19], s[0:1], 0x58
	s_lshl_b64 s[34:35], s[28:29], 6
	s_delay_alu instid0(SALU_CYCLE_1)
	v_dual_mov_b32 v9, v3 :: v_dual_bitop2_b32 v0, s34, v15 bitop3:0x54
	v_mov_b32_e32 v1, s35
	s_load_b32 s33, s[0:1], 0x50
	v_add_nc_u32_e32 v39, 0x400, v14
	s_wait_kmcnt 0x0
	v_mad_nc_u64_u32 v[10:11], s24, v16, v[8:9]
	v_lshlrev_b32_e32 v9, 2, v15
	v_mul_u64_e32 v[12:13], s[6:7], v[0:1]
	s_lshl_b32 s6, s30, 6
	s_mov_b32 s7, s3
	s_load_b96 s[28:30], s[0:1], 0x10
	v_add_nc_u64_e32 v[4:5], s[6:7], v[2:3]
	v_dual_lshrrev_b32 v2, 6, v7 :: v_dual_lshlrev_b32 v7, 2, v16
	v_lshlrev_b32_e32 v38, 2, v6
	v_mad_u32 v11, s25, v16, v11
	s_delay_alu instid0(VALU_DEP_3)
	v_lshl_or_b32 v36, v2, 8, v9
	v_mul_u64_e32 v[0:1], s[20:21], v[4:5]
	v_mul_u64_e32 v[4:5], s[14:15], v[4:5]
	v_lshl_or_b32 v15, v8, 4, v7
	v_dual_mov_b32 v7, v3 :: v_dual_lshlrev_b32 v2, 1, v2
	s_cmp_eq_f32 s33, 0
	s_delay_alu instid0(VALU_DEP_2)
	v_add_nc_u32_e32 v37, 0x400, v15
	v_add_nc_u64_e32 v[8:9], s[6:7], v[10:11]
	s_wait_xcnt 0x0
	s_cselect_b32 s1, -1, 0
	v_add_nc_u64_e32 v[10:11], s[34:35], v[6:7]
	s_wait_kmcnt 0x0
	v_cmp_gt_i64_e64 s0, s[28:29], 0
	s_lshl_b64 s[6:7], s[8:9], 1
	s_lshl_b64 s[20:21], s[20:21], 4
	;; [unrolled: 1-line block ×3, first 2 shown]
	v_lshlrev_b64_e32 v[6:7], 1, v[8:9]
	s_lshl_b64 s[8:9], s[22:23], 2
	v_lshlrev_b64_e32 v[10:11], 2, v[10:11]
	s_lshl_b64 s[14:15], s[20:21], 2
	s_lshl_b64 s[16:17], s[16:17], 2
	v_lshl_add_u64 v[8:9], v[12:13], 1, s[6:7]
	v_cndmask_b32_e64 v12, 0, 1, s0
	v_lshl_add_u64 v[6:7], s[26:27], 1, v[6:7]
	s_lshl_b64 s[6:7], s[24:25], 3
	s_lshl_b64 s[20:21], s[34:35], 2
	v_add_nc_u64_e32 v[8:9], v[8:9], v[2:3]
	v_cmp_ne_u32_e64 s0, 1, v12
	s_branch .LBB175_3
.LBB175_2:                              ;   in Loop: Header=BB175_3 Depth=1
	s_add_co_i32 s2, s2, 0x10000
	s_delay_alu instid0(SALU_CYCLE_1)
	s_cmp_lt_i32 s2, s31
	s_cbranch_scc0 .LBB175_10
.LBB175_3:                              ; =>This Loop Header: Depth=1
                                        ;     Child Loop BB175_5 Depth 2
	s_wait_xcnt 0x0
	v_dual_mov_b32 v2, s2 :: v_dual_mov_b32 v29, 0
	v_dual_mov_b32 v28, 0 :: v_dual_mov_b32 v27, 0
	;; [unrolled: 1-line block ×3, first 2 shown]
	s_clause 0x1
	global_load_b64 v[20:21], v2, s[12:13] scale_offset
	global_load_b64 v[30:31], v2, s[18:19] scale_offset
	v_dual_mov_b32 v24, 0 :: v_dual_mov_b32 v23, 0
	v_dual_mov_b32 v22, 0 :: v_dual_mov_b32 v19, 0
	;; [unrolled: 1-line block ×5, first 2 shown]
	v_mov_b32_e32 v12, 0
	s_and_b32 vcc_lo, exec_lo, s0
	s_cbranch_vccnz .LBB175_6
; %bb.4:                                ;   in Loop: Header=BB175_3 Depth=1
	s_lshl_b64 s[22:23], s[2:3], 3
	v_mov_b32_e32 v12, 0
	s_add_nc_u64 s[24:25], s[10:11], s[22:23]
	s_add_nc_u64 s[22:23], s[4:5], s[22:23]
	s_clause 0x1
	global_load_b64 v[28:29], v3, s[24:25]
	global_load_b64 v[34:35], v3, s[22:23]
	s_wait_xcnt 0x0
	s_mov_b64 s[22:23], 0
	v_dual_mov_b32 v13, v12 :: v_dual_mov_b32 v14, v12
	v_dual_mov_b32 v15, v12 :: v_dual_mov_b32 v16, v12
	;; [unrolled: 1-line block ×6, first 2 shown]
	v_mov_b32_e32 v27, v12
	s_wait_loadcnt 0x1
	v_add_nc_u64_e32 v[32:33], v[28:29], v[6:7]
	s_wait_loadcnt 0x0
	v_add_nc_u64_e32 v[34:35], v[34:35], v[8:9]
	v_dual_mov_b32 v28, v12 :: v_dual_mov_b32 v29, v12
.LBB175_5:                              ;   Parent Loop BB175_3 Depth=1
                                        ; =>  This Inner Loop Header: Depth=2
	flat_load_u16 v2, v[34:35]
	flat_load_u16 v40, v[32:33]
	s_add_nc_u64 s[22:23], s[22:23], 4
	s_wait_xcnt 0x0
	v_add_nc_u64_e32 v[32:33], s[6:7], v[32:33]
	v_cmp_lt_i64_e64 s24, s[22:23], s[28:29]
	v_add_nc_u64_e32 v[34:35], 8, v[34:35]
	s_and_b32 vcc_lo, exec_lo, s24
	s_wait_loadcnt_dscnt 0x0
	v_dual_lshlrev_b32 v2, 16, v2 :: v_dual_lshlrev_b32 v40, 16, v40
	ds_store_b32 v36, v2
	ds_store_b32 v37, v40
	s_wait_dscnt 0x0
	s_barrier_signal -1
	s_barrier_wait -1
	ds_load_2addr_b32 v[56:57], v38 offset1:16
	ds_load_2addr_b32 v[58:59], v38 offset0:64 offset1:80
	ds_load_2addr_b32 v[60:61], v38 offset0:128 offset1:144
	;; [unrolled: 1-line block ×6, first 2 shown]
	ds_load_b128 v[40:43], v39
	ds_load_b128 v[44:47], v39 offset:256
	ds_load_2addr_b32 v[70:71], v38 offset0:224 offset1:240
	ds_load_b128 v[48:51], v39 offset:512
	ds_load_b128 v[52:55], v39 offset:768
	s_wait_dscnt 0x0
	s_barrier_signal -1
	s_barrier_wait -1
	v_dual_mov_b32 v72, v57 :: v_dual_mov_b32 v73, v56
	v_dual_mov_b32 v56, v59 :: v_dual_mov_b32 v57, v58
	;; [unrolled: 1-line block ×6, first 2 shown]
	v_pk_fma_f32 v[28:29], v[72:73], v[40:41], v[28:29] op_sel_hi:[1,0,1]
	v_pk_fma_f32 v[24:25], v[72:73], v[44:45], v[24:25] op_sel_hi:[1,0,1]
	s_delay_alu instid0(VALU_DEP_4)
	v_pk_fma_f32 v[26:27], v[62:63], v[40:41], v[26:27] op_sel_hi:[1,0,1]
	v_pk_fma_f32 v[18:19], v[72:73], v[48:49], v[18:19] op_sel_hi:[1,0,1]
	;; [unrolled: 1-line block ×6, first 2 shown]
	v_dual_mov_b32 v66, v69 :: v_dual_mov_b32 v67, v68
	v_pk_fma_f32 v[28:29], v[56:57], v[40:41], v[28:29] op_sel:[0,1,0]
	v_pk_fma_f32 v[26:27], v[64:65], v[40:41], v[26:27] op_sel:[0,1,0]
	;; [unrolled: 1-line block ×8, first 2 shown]
	v_dual_mov_b32 v2, v43 :: v_dual_mov_b32 v68, v71
	v_dual_mov_b32 v69, v70 :: v_dual_mov_b32 v70, v47
	;; [unrolled: 1-line block ×3, first 2 shown]
	v_pk_fma_f32 v[28:29], v[58:59], v[42:43], v[28:29] op_sel_hi:[1,0,1]
	v_pk_fma_f32 v[26:27], v[66:67], v[42:43], v[26:27] op_sel_hi:[1,0,1]
	;; [unrolled: 1-line block ×16, first 2 shown]
	s_cbranch_vccnz .LBB175_5
.LBB175_6:                              ;   in Loop: Header=BB175_3 Depth=1
	s_wait_loadcnt 0x0
	v_add_nc_u64_e32 v[30:31], s[8:9], v[30:31]
	s_and_not1_b32 vcc_lo, exec_lo, s1
	s_delay_alu instid0(VALU_DEP_1) | instskip(NEXT) | instid1(VALU_DEP_1)
	v_lshl_add_u64 v[30:31], v[0:1], 2, v[30:31]
	v_add_nc_u64_e32 v[32:33], v[30:31], v[10:11]
	v_add_nc_u64_e32 v[30:31], s[14:15], v[30:31]
	s_cbranch_vccnz .LBB175_8
; %bb.7:                                ;   in Loop: Header=BB175_3 Depth=1
	s_wait_xcnt 0x0
	v_dual_mul_f32 v2, s30, v29 :: v_dual_mul_f32 v40, s30, v28
	s_delay_alu instid0(VALU_DEP_2)
	v_add_nc_u64_e32 v[34:35], s[14:15], v[30:31]
	v_dual_mul_f32 v41, s30, v27 :: v_dual_mul_f32 v42, s30, v26
	s_clause 0x3
	flat_store_b32 v[32:33], v2
	flat_store_b32 v[32:33], v40 offset:64
	flat_store_b32 v[32:33], v41 offset:128
	;; [unrolled: 1-line block ×3, first 2 shown]
	s_wait_xcnt 0x1
	v_add_nc_u64_e32 v[40:41], v[30:31], v[10:11]
	v_dual_mul_f32 v2, s30, v25 :: v_dual_mul_f32 v44, s30, v24
	s_wait_xcnt 0x0
	v_add_nc_u64_e32 v[42:43], v[34:35], v[10:11]
	v_add_nc_u64_e32 v[34:35], s[14:15], v[34:35]
	v_dual_mul_f32 v45, s30, v23 :: v_dual_mul_f32 v46, s30, v22
	s_clause 0x3
	flat_store_b32 v[40:41], v2
	flat_store_b32 v[40:41], v44 offset:64
	flat_store_b32 v[40:41], v45 offset:128
	;; [unrolled: 1-line block ×3, first 2 shown]
	s_wait_xcnt 0x0
	v_dual_mul_f32 v2, s30, v19 :: v_dual_mul_f32 v40, s30, v18
	v_dual_mul_f32 v41, s30, v17 :: v_dual_mul_f32 v44, s30, v16
	v_add_nc_u64_e32 v[34:35], v[34:35], v[10:11]
	s_clause 0x3
	flat_store_b32 v[42:43], v2
	flat_store_b32 v[42:43], v40 offset:64
	flat_store_b32 v[42:43], v41 offset:128
	;; [unrolled: 1-line block ×3, first 2 shown]
	s_wait_xcnt 0x2
	v_dual_mul_f32 v2, s30, v15 :: v_dual_mul_f32 v40, s30, v14
	s_wait_xcnt 0x0
	v_dual_mul_f32 v41, s30, v13 :: v_dual_mul_f32 v42, s30, v12
	s_clause 0x3
	flat_store_b32 v[34:35], v2
	flat_store_b32 v[34:35], v40 offset:64
	flat_store_b32 v[34:35], v41 offset:128
	;; [unrolled: 1-line block ×3, first 2 shown]
	s_cbranch_execnz .LBB175_2
	s_branch .LBB175_9
.LBB175_8:                              ;   in Loop: Header=BB175_3 Depth=1
.LBB175_9:                              ;   in Loop: Header=BB175_3 Depth=1
	v_add_nc_u64_e32 v[20:21], s[16:17], v[20:21]
	s_delay_alu instid0(VALU_DEP_1) | instskip(SKIP_1) | instid1(VALU_DEP_1)
	v_lshl_add_u64 v[20:21], v[4:5], 2, v[20:21]
	s_wait_xcnt 0x0
	v_add_nc_u64_e32 v[34:35], v[20:21], v[10:11]
	v_add_nc_u64_e32 v[20:21], s[20:21], v[20:21]
	flat_load_b32 v2, v[34:35]
	s_wait_loadcnt_dscnt 0x0
	v_mul_f32_e32 v2, s33, v2
	s_delay_alu instid0(VALU_DEP_1) | instskip(SKIP_4) | instid1(VALU_DEP_1)
	v_fmac_f32_e32 v2, s30, v29
	flat_store_b32 v[32:33], v2
	flat_load_b32 v2, v[34:35] offset:64
	s_wait_loadcnt_dscnt 0x0
	v_mul_f32_e32 v2, s33, v2
	v_fmac_f32_e32 v2, s30, v28
	v_add_nc_u64_e32 v[28:29], v[20:21], v[10:11]
	v_add_nc_u64_e32 v[20:21], s[20:21], v[20:21]
	flat_store_b32 v[32:33], v2 offset:64
	flat_load_b32 v2, v[34:35] offset:128
	s_wait_loadcnt_dscnt 0x0
	v_mul_f32_e32 v2, s33, v2
	s_delay_alu instid0(VALU_DEP_1) | instskip(SKIP_4) | instid1(VALU_DEP_1)
	v_fmac_f32_e32 v2, s30, v27
	flat_store_b32 v[32:33], v2 offset:128
	flat_load_b32 v2, v[34:35] offset:192
	s_wait_loadcnt_dscnt 0x0
	v_mul_f32_e32 v2, s33, v2
	v_fmac_f32_e32 v2, s30, v26
	v_add_nc_u64_e32 v[26:27], v[30:31], v[10:11]
	flat_store_b32 v[32:33], v2 offset:192
	flat_load_b32 v2, v[28:29]
	s_wait_loadcnt_dscnt 0x0
	v_mul_f32_e32 v2, s33, v2
	s_delay_alu instid0(VALU_DEP_1) | instskip(SKIP_4) | instid1(VALU_DEP_1)
	v_fmac_f32_e32 v2, s30, v25
	flat_store_b32 v[26:27], v2
	flat_load_b32 v2, v[28:29] offset:64
	s_wait_loadcnt_dscnt 0x0
	v_mul_f32_e32 v2, s33, v2
	v_fmac_f32_e32 v2, s30, v24
	v_add_nc_u64_e32 v[24:25], v[20:21], v[10:11]
	flat_store_b32 v[26:27], v2 offset:64
	flat_load_b32 v2, v[28:29] offset:128
	s_wait_loadcnt_dscnt 0x0
	v_mul_f32_e32 v2, s33, v2
	s_delay_alu instid0(VALU_DEP_1) | instskip(SKIP_4) | instid1(VALU_DEP_1)
	v_fmac_f32_e32 v2, s30, v23
	flat_store_b32 v[26:27], v2 offset:128
	flat_load_b32 v2, v[28:29] offset:192
	s_wait_loadcnt_dscnt 0x0
	v_mul_f32_e32 v2, s33, v2
	v_fmac_f32_e32 v2, s30, v22
	v_add_nc_u64_e32 v[22:23], s[14:15], v[30:31]
	flat_store_b32 v[26:27], v2 offset:192
	flat_load_b32 v2, v[24:25]
	v_add_nc_u64_e32 v[26:27], v[22:23], v[10:11]
	s_wait_loadcnt_dscnt 0x0
	v_mul_f32_e32 v2, s33, v2
	s_delay_alu instid0(VALU_DEP_1) | instskip(SKIP_4) | instid1(VALU_DEP_1)
	v_fmac_f32_e32 v2, s30, v19
	flat_store_b32 v[26:27], v2
	flat_load_b32 v2, v[24:25] offset:64
	s_wait_loadcnt_dscnt 0x0
	v_mul_f32_e32 v2, s33, v2
	v_fmac_f32_e32 v2, s30, v18
	v_add_nc_u64_e32 v[18:19], s[20:21], v[20:21]
	flat_store_b32 v[26:27], v2 offset:64
	flat_load_b32 v2, v[24:25] offset:128
	v_add_nc_u64_e32 v[18:19], v[18:19], v[10:11]
	s_wait_loadcnt_dscnt 0x0
	v_mul_f32_e32 v2, s33, v2
	s_delay_alu instid0(VALU_DEP_1) | instskip(SKIP_4) | instid1(VALU_DEP_1)
	v_fmac_f32_e32 v2, s30, v17
	flat_store_b32 v[26:27], v2 offset:128
	flat_load_b32 v2, v[24:25] offset:192
	s_wait_loadcnt_dscnt 0x0
	v_mul_f32_e32 v2, s33, v2
	v_fmac_f32_e32 v2, s30, v16
	v_add_nc_u64_e32 v[16:17], s[14:15], v[22:23]
	flat_store_b32 v[26:27], v2 offset:192
	flat_load_b32 v2, v[18:19]
	v_add_nc_u64_e32 v[16:17], v[16:17], v[10:11]
	s_wait_loadcnt_dscnt 0x0
	v_mul_f32_e32 v2, s33, v2
	s_delay_alu instid0(VALU_DEP_1) | instskip(SKIP_4) | instid1(VALU_DEP_1)
	v_fmac_f32_e32 v2, s30, v15
	flat_store_b32 v[16:17], v2
	flat_load_b32 v2, v[18:19] offset:64
	s_wait_loadcnt_dscnt 0x0
	v_mul_f32_e32 v2, s33, v2
	v_fmac_f32_e32 v2, s30, v14
	flat_store_b32 v[16:17], v2 offset:64
	flat_load_b32 v2, v[18:19] offset:128
	s_wait_loadcnt_dscnt 0x0
	v_mul_f32_e32 v2, s33, v2
	s_delay_alu instid0(VALU_DEP_1) | instskip(SKIP_4) | instid1(VALU_DEP_1)
	v_fmac_f32_e32 v2, s30, v13
	flat_store_b32 v[16:17], v2 offset:128
	flat_load_b32 v2, v[18:19] offset:192
	s_wait_loadcnt_dscnt 0x0
	v_mul_f32_e32 v2, s33, v2
	v_fmac_f32_e32 v2, s30, v12
	flat_store_b32 v[16:17], v2 offset:192
	s_branch .LBB175_2
.LBB175_10:
	s_sendmsg sendmsg(MSG_DEALLOC_VGPRS)
	s_endpgm
	.section	.rodata,"a",@progbits
	.p2align	6, 0x0
	.amdhsa_kernel _ZN12_GLOBAL__N_127rocblas_gemm_batched_kernelIfLi16ELi16ELi64ELi64ELi4ELi64ELi4ELi4ELi64ELc84ELc67EKPK16rocblas_bfloat16KPKfKPfEEvlllT_PT11_llSC_llSA_PT12_llPT13_lli
		.amdhsa_group_segment_fixed_size 2048
		.amdhsa_private_segment_fixed_size 0
		.amdhsa_kernarg_size 140
		.amdhsa_user_sgpr_count 2
		.amdhsa_user_sgpr_dispatch_ptr 0
		.amdhsa_user_sgpr_queue_ptr 0
		.amdhsa_user_sgpr_kernarg_segment_ptr 1
		.amdhsa_user_sgpr_dispatch_id 0
		.amdhsa_user_sgpr_kernarg_preload_length 0
		.amdhsa_user_sgpr_kernarg_preload_offset 0
		.amdhsa_user_sgpr_private_segment_size 0
		.amdhsa_wavefront_size32 1
		.amdhsa_uses_dynamic_stack 0
		.amdhsa_enable_private_segment 0
		.amdhsa_system_sgpr_workgroup_id_x 1
		.amdhsa_system_sgpr_workgroup_id_y 1
		.amdhsa_system_sgpr_workgroup_id_z 1
		.amdhsa_system_sgpr_workgroup_info 0
		.amdhsa_system_vgpr_workitem_id 1
		.amdhsa_next_free_vgpr 78
		.amdhsa_next_free_sgpr 36
		.amdhsa_named_barrier_count 0
		.amdhsa_reserve_vcc 1
		.amdhsa_float_round_mode_32 0
		.amdhsa_float_round_mode_16_64 0
		.amdhsa_float_denorm_mode_32 3
		.amdhsa_float_denorm_mode_16_64 3
		.amdhsa_fp16_overflow 0
		.amdhsa_memory_ordered 1
		.amdhsa_forward_progress 1
		.amdhsa_inst_pref_size 19
		.amdhsa_round_robin_scheduling 0
		.amdhsa_exception_fp_ieee_invalid_op 0
		.amdhsa_exception_fp_denorm_src 0
		.amdhsa_exception_fp_ieee_div_zero 0
		.amdhsa_exception_fp_ieee_overflow 0
		.amdhsa_exception_fp_ieee_underflow 0
		.amdhsa_exception_fp_ieee_inexact 0
		.amdhsa_exception_int_div_zero 0
	.end_amdhsa_kernel
	.section	.text._ZN12_GLOBAL__N_127rocblas_gemm_batched_kernelIfLi16ELi16ELi64ELi64ELi4ELi64ELi4ELi4ELi64ELc84ELc67EKPK16rocblas_bfloat16KPKfKPfEEvlllT_PT11_llSC_llSA_PT12_llPT13_lli,"axG",@progbits,_ZN12_GLOBAL__N_127rocblas_gemm_batched_kernelIfLi16ELi16ELi64ELi64ELi4ELi64ELi4ELi4ELi64ELc84ELc67EKPK16rocblas_bfloat16KPKfKPfEEvlllT_PT11_llSC_llSA_PT12_llPT13_lli,comdat
.Lfunc_end175:
	.size	_ZN12_GLOBAL__N_127rocblas_gemm_batched_kernelIfLi16ELi16ELi64ELi64ELi4ELi64ELi4ELi4ELi64ELc84ELc67EKPK16rocblas_bfloat16KPKfKPfEEvlllT_PT11_llSC_llSA_PT12_llPT13_lli, .Lfunc_end175-_ZN12_GLOBAL__N_127rocblas_gemm_batched_kernelIfLi16ELi16ELi64ELi64ELi4ELi64ELi4ELi4ELi64ELc84ELc67EKPK16rocblas_bfloat16KPKfKPfEEvlllT_PT11_llSC_llSA_PT12_llPT13_lli
                                        ; -- End function
	.set _ZN12_GLOBAL__N_127rocblas_gemm_batched_kernelIfLi16ELi16ELi64ELi64ELi4ELi64ELi4ELi4ELi64ELc84ELc67EKPK16rocblas_bfloat16KPKfKPfEEvlllT_PT11_llSC_llSA_PT12_llPT13_lli.num_vgpr, 78
	.set _ZN12_GLOBAL__N_127rocblas_gemm_batched_kernelIfLi16ELi16ELi64ELi64ELi4ELi64ELi4ELi4ELi64ELc84ELc67EKPK16rocblas_bfloat16KPKfKPfEEvlllT_PT11_llSC_llSA_PT12_llPT13_lli.num_agpr, 0
	.set _ZN12_GLOBAL__N_127rocblas_gemm_batched_kernelIfLi16ELi16ELi64ELi64ELi4ELi64ELi4ELi4ELi64ELc84ELc67EKPK16rocblas_bfloat16KPKfKPfEEvlllT_PT11_llSC_llSA_PT12_llPT13_lli.numbered_sgpr, 36
	.set _ZN12_GLOBAL__N_127rocblas_gemm_batched_kernelIfLi16ELi16ELi64ELi64ELi4ELi64ELi4ELi4ELi64ELc84ELc67EKPK16rocblas_bfloat16KPKfKPfEEvlllT_PT11_llSC_llSA_PT12_llPT13_lli.num_named_barrier, 0
	.set _ZN12_GLOBAL__N_127rocblas_gemm_batched_kernelIfLi16ELi16ELi64ELi64ELi4ELi64ELi4ELi4ELi64ELc84ELc67EKPK16rocblas_bfloat16KPKfKPfEEvlllT_PT11_llSC_llSA_PT12_llPT13_lli.private_seg_size, 0
	.set _ZN12_GLOBAL__N_127rocblas_gemm_batched_kernelIfLi16ELi16ELi64ELi64ELi4ELi64ELi4ELi4ELi64ELc84ELc67EKPK16rocblas_bfloat16KPKfKPfEEvlllT_PT11_llSC_llSA_PT12_llPT13_lli.uses_vcc, 1
	.set _ZN12_GLOBAL__N_127rocblas_gemm_batched_kernelIfLi16ELi16ELi64ELi64ELi4ELi64ELi4ELi4ELi64ELc84ELc67EKPK16rocblas_bfloat16KPKfKPfEEvlllT_PT11_llSC_llSA_PT12_llPT13_lli.uses_flat_scratch, 1
	.set _ZN12_GLOBAL__N_127rocblas_gemm_batched_kernelIfLi16ELi16ELi64ELi64ELi4ELi64ELi4ELi4ELi64ELc84ELc67EKPK16rocblas_bfloat16KPKfKPfEEvlllT_PT11_llSC_llSA_PT12_llPT13_lli.has_dyn_sized_stack, 0
	.set _ZN12_GLOBAL__N_127rocblas_gemm_batched_kernelIfLi16ELi16ELi64ELi64ELi4ELi64ELi4ELi4ELi64ELc84ELc67EKPK16rocblas_bfloat16KPKfKPfEEvlllT_PT11_llSC_llSA_PT12_llPT13_lli.has_recursion, 0
	.set _ZN12_GLOBAL__N_127rocblas_gemm_batched_kernelIfLi16ELi16ELi64ELi64ELi4ELi64ELi4ELi4ELi64ELc84ELc67EKPK16rocblas_bfloat16KPKfKPfEEvlllT_PT11_llSC_llSA_PT12_llPT13_lli.has_indirect_call, 0
	.section	.AMDGPU.csdata,"",@progbits
; Kernel info:
; codeLenInByte = 2376
; TotalNumSgprs: 38
; NumVgprs: 78
; ScratchSize: 0
; MemoryBound: 0
; FloatMode: 240
; IeeeMode: 1
; LDSByteSize: 2048 bytes/workgroup (compile time only)
; SGPRBlocks: 0
; VGPRBlocks: 4
; NumSGPRsForWavesPerEU: 38
; NumVGPRsForWavesPerEU: 78
; NamedBarCnt: 0
; Occupancy: 12
; WaveLimiterHint : 1
; COMPUTE_PGM_RSRC2:SCRATCH_EN: 0
; COMPUTE_PGM_RSRC2:USER_SGPR: 2
; COMPUTE_PGM_RSRC2:TRAP_HANDLER: 0
; COMPUTE_PGM_RSRC2:TGID_X_EN: 1
; COMPUTE_PGM_RSRC2:TGID_Y_EN: 1
; COMPUTE_PGM_RSRC2:TGID_Z_EN: 1
; COMPUTE_PGM_RSRC2:TIDIG_COMP_CNT: 1
	.section	.text._ZN12_GLOBAL__N_127rocblas_gemm_batched_kernelIfLi16ELi16ELi32ELi32ELi8ELi32ELi8ELi8ELi32ELc78ELc78EKPK16rocblas_bfloat16KPKfKPfEEvlllT_PT11_llSC_llSA_PT12_llPT13_lli,"axG",@progbits,_ZN12_GLOBAL__N_127rocblas_gemm_batched_kernelIfLi16ELi16ELi32ELi32ELi8ELi32ELi8ELi8ELi32ELc78ELc78EKPK16rocblas_bfloat16KPKfKPfEEvlllT_PT11_llSC_llSA_PT12_llPT13_lli,comdat
	.globl	_ZN12_GLOBAL__N_127rocblas_gemm_batched_kernelIfLi16ELi16ELi32ELi32ELi8ELi32ELi8ELi8ELi32ELc78ELc78EKPK16rocblas_bfloat16KPKfKPfEEvlllT_PT11_llSC_llSA_PT12_llPT13_lli ; -- Begin function _ZN12_GLOBAL__N_127rocblas_gemm_batched_kernelIfLi16ELi16ELi32ELi32ELi8ELi32ELi8ELi8ELi32ELc78ELc78EKPK16rocblas_bfloat16KPKfKPfEEvlllT_PT11_llSC_llSA_PT12_llPT13_lli
	.p2align	8
	.type	_ZN12_GLOBAL__N_127rocblas_gemm_batched_kernelIfLi16ELi16ELi32ELi32ELi8ELi32ELi8ELi8ELi32ELc78ELc78EKPK16rocblas_bfloat16KPKfKPfEEvlllT_PT11_llSC_llSA_PT12_llPT13_lli,@function
_ZN12_GLOBAL__N_127rocblas_gemm_batched_kernelIfLi16ELi16ELi32ELi32ELi8ELi32ELi8ELi8ELi32ELc78ELc78EKPK16rocblas_bfloat16KPKfKPfEEvlllT_PT11_llSC_llSA_PT12_llPT13_lli: ; @_ZN12_GLOBAL__N_127rocblas_gemm_batched_kernelIfLi16ELi16ELi32ELi32ELi8ELi32ELi8ELi8ELi32ELc78ELc78EKPK16rocblas_bfloat16KPKfKPfEEvlllT_PT11_llSC_llSA_PT12_llPT13_lli
; %bb.0:
	s_load_b32 s31, s[0:1], 0x88
	s_bfe_u32 s2, ttmp6, 0x40014
	s_lshr_b32 s3, ttmp7, 16
	s_add_co_i32 s2, s2, 1
	s_bfe_u32 s4, ttmp6, 0x40008
	s_mul_i32 s2, s3, s2
	s_getreg_b32 s12, hwreg(HW_REG_IB_STS2, 6, 4)
	s_add_co_i32 s4, s4, s2
	s_cmp_eq_u32 s12, 0
	s_cselect_b32 s2, s3, s4
	s_mov_b32 s3, 0
	s_wait_kmcnt 0x0
	s_cmp_ge_i32 s2, s31
	s_cbranch_scc1 .LBB176_10
; %bb.1:
	v_bfe_u32 v2, v0, 10, 10
	v_and_b32_e32 v6, 0x3ff, v0
	s_clause 0x1
	s_load_b256 s[4:11], s[0:1], 0x20
	s_load_b128 s[20:23], s[0:1], 0x40
	s_bfe_u32 s14, ttmp6, 0x4000c
	s_bfe_u32 s15, ttmp6, 0x40010
	s_add_co_i32 s14, s14, 1
	s_and_b32 s16, ttmp7, 0xffff
	s_add_co_i32 s15, s15, 1
	v_lshl_add_u32 v14, v2, 4, v6
	v_mov_b32_e32 v3, 0
	s_and_b32 s13, ttmp6, 15
	s_mul_i32 s14, ttmp9, s14
	s_mul_i32 s15, s16, s15
	s_bfe_u32 s17, ttmp6, 0x40004
	s_add_co_i32 s13, s13, s14
	s_add_co_i32 s17, s17, s15
	s_cmp_eq_u32 s12, 0
	v_dual_mov_b32 v9, v3 :: v_dual_lshrrev_b32 v8, 3, v14
	v_lshrrev_b32_e32 v16, 5, v14
	s_cselect_b32 s12, s16, s17
	s_cselect_b32 s28, ttmp9, s13
	s_lshl_b32 s34, s12, 5
	s_mov_b32 s35, s3
	s_clause 0x2
	s_load_b128 s[24:27], s[0:1], 0x78
	s_load_b256 s[12:19], s[0:1], 0x58
	s_load_b32 s33, s[0:1], 0x50
	v_add_nc_u64_e32 v[4:5], s[34:35], v[8:9]
	s_ashr_i32 s29, s28, 31
	v_dual_mov_b32 v7, v3 :: v_dual_bitop2_b32 v17, 7, v0 bitop3:0x40
	v_dual_mov_b32 v15, v3 :: v_dual_bitop2_b32 v14, 31, v14 bitop3:0x40
	v_lshlrev_b32_e32 v24, 2, v6
	s_wait_kmcnt 0x0
	s_delay_alu instid0(VALU_DEP_4)
	v_mul_u64_e32 v[10:11], s[20:21], v[4:5]
	s_lshl_b64 s[20:21], s[28:29], 5
	v_add_nc_u64_e32 v[4:5], s[34:35], v[2:3]
	v_mad_nc_u64_u32 v[12:13], s6, v16, s[20:21]
	s_load_b96 s[28:30], s[0:1], 0x10
	v_lshlrev_b32_e32 v9, 2, v17
	v_lshl_add_u32 v25, v2, 5, 0x400
	v_lshlrev_b32_e32 v2, 2, v14
	v_mul_u64_e32 v[0:1], s[24:25], v[4:5]
	v_mul_u64_e32 v[4:5], s[14:15], v[4:5]
	v_lshl_or_b32 v18, v8, 5, v9
	v_add_nc_u64_e32 v[8:9], s[20:21], v[6:7]
	v_mad_u32 v13, s7, v16, v13
	s_cmp_eq_f32 s33, 0
	v_lshl_or_b32 v26, v16, 7, v2
	v_lshlrev_b32_e32 v2, 1, v17
	v_add_nc_u32_e32 v27, 0x400, v18
	s_wait_xcnt 0x0
	s_cselect_b32 s1, -1, 0
	s_lshl_b64 s[20:21], s[22:23], 1
	v_lshlrev_b64_e32 v[8:9], 2, v[8:9]
	s_lshl_b64 s[14:15], s[14:15], 4
	s_lshl_b64 s[6:7], s[6:7], 4
	s_wait_kmcnt 0x0
	v_cmp_gt_i64_e64 s0, s[28:29], 0
	v_add_nc_u64_e32 v[6:7], v[12:13], v[14:15]
	s_lshl_b64 s[16:17], s[16:17], 2
	v_cndmask_b32_e64 v14, 0, 1, s0
	v_lshl_add_u64 v[10:11], v[10:11], 1, s[20:21]
	s_delay_alu instid0(VALU_DEP_3) | instskip(SKIP_1) | instid1(VALU_DEP_3)
	v_lshlrev_b64_e32 v[12:13], 1, v[6:7]
	s_lshl_b64 s[20:21], s[24:25], 4
	v_cmp_ne_u32_e64 s0, 1, v14
	s_delay_alu instid0(VALU_DEP_3) | instskip(NEXT) | instid1(VALU_DEP_3)
	v_add_nc_u64_e32 v[6:7], v[10:11], v[2:3]
	v_lshl_add_u64 v[10:11], s[8:9], 1, v[12:13]
	s_lshl_b64 s[8:9], s[26:27], 2
	s_branch .LBB176_3
.LBB176_2:                              ;   in Loop: Header=BB176_3 Depth=1
	s_add_co_i32 s2, s2, 0x10000
	s_delay_alu instid0(SALU_CYCLE_1)
	s_cmp_lt_i32 s2, s31
	s_cbranch_scc0 .LBB176_10
.LBB176_3:                              ; =>This Loop Header: Depth=1
                                        ;     Child Loop BB176_5 Depth 2
	s_wait_xcnt 0x0
	v_dual_mov_b32 v2, s2 :: v_dual_mov_b32 v19, 0
	v_dual_mov_b32 v18, 0 :: v_dual_mov_b32 v15, 0
	v_mov_b32_e32 v14, 0
	s_clause 0x1
	global_load_b64 v[12:13], v2, s[12:13] scale_offset
	global_load_b64 v[16:17], v2, s[18:19] scale_offset
	s_and_b32 vcc_lo, exec_lo, s0
	s_cbranch_vccnz .LBB176_6
; %bb.4:                                ;   in Loop: Header=BB176_3 Depth=1
	s_lshl_b64 s[22:23], s[2:3], 3
	v_mov_b32_e32 v14, 0
	s_add_nc_u64 s[24:25], s[10:11], s[22:23]
	s_add_nc_u64 s[22:23], s[4:5], s[22:23]
	s_clause 0x1
	global_load_b64 v[18:19], v3, s[24:25]
	global_load_b64 v[22:23], v3, s[22:23]
	s_wait_xcnt 0x0
	s_mov_b64 s[22:23], 0
	v_mov_b32_e32 v15, v14
	s_wait_loadcnt 0x1
	v_add_nc_u64_e32 v[20:21], v[18:19], v[6:7]
	s_wait_loadcnt 0x0
	v_add_nc_u64_e32 v[22:23], v[22:23], v[10:11]
	v_dual_mov_b32 v18, v14 :: v_dual_mov_b32 v19, v14
.LBB176_5:                              ;   Parent Loop BB176_3 Depth=1
                                        ; =>  This Inner Loop Header: Depth=2
	flat_load_u16 v2, v[22:23]
	flat_load_u16 v28, v[20:21]
	s_add_nc_u64 s[22:23], s[22:23], 8
	s_wait_xcnt 0x0
	v_add_nc_u64_e32 v[20:21], 16, v[20:21]
	v_cmp_lt_i64_e64 s24, s[22:23], s[28:29]
	v_add_nc_u64_e32 v[22:23], s[6:7], v[22:23]
	s_and_b32 vcc_lo, exec_lo, s24
	s_wait_loadcnt_dscnt 0x0
	v_dual_lshlrev_b32 v2, 16, v2 :: v_dual_lshlrev_b32 v28, 16, v28
	ds_store_b32 v26, v2
	ds_store_b32 v27, v28
	s_wait_dscnt 0x0
	s_barrier_signal -1
	s_barrier_wait -1
	ds_load_2addr_b32 v[44:45], v24 offset1:16
	ds_load_2addr_b32 v[46:47], v24 offset0:32 offset1:48
	ds_load_b128 v[28:31], v25
	ds_load_2addr_b32 v[48:49], v24 offset0:64 offset1:80
	ds_load_b128 v[32:35], v25 offset:512
	ds_load_2addr_b32 v[50:51], v24 offset0:96 offset1:112
	ds_load_b128 v[36:39], v25 offset:16
	;; [unrolled: 2-line block ×3, first 2 shown]
	ds_load_2addr_b32 v[54:55], v24 offset0:160 offset1:176
	ds_load_2addr_b32 v[56:57], v24 offset0:192 offset1:208
	;; [unrolled: 1-line block ×3, first 2 shown]
	s_wait_dscnt 0x0
	s_barrier_signal -1
	s_barrier_wait -1
	v_dual_mov_b32 v60, v45 :: v_dual_mov_b32 v61, v44
	v_dual_mov_b32 v44, v47 :: v_dual_mov_b32 v45, v46
	;; [unrolled: 1-line block ×3, first 2 shown]
	s_delay_alu instid0(VALU_DEP_3) | instskip(SKIP_3) | instid1(VALU_DEP_4)
	v_pk_fma_f32 v[18:19], v[60:61], v[28:29], v[18:19] op_sel_hi:[1,0,1]
	v_pk_fma_f32 v[14:15], v[60:61], v[32:33], v[14:15] op_sel_hi:[1,0,1]
	v_dual_mov_b32 v48, v51 :: v_dual_mov_b32 v49, v50
	v_mov_b32_e32 v2, v31
	v_pk_fma_f32 v[18:19], v[44:45], v[28:29], v[18:19] op_sel:[0,1,0]
	s_delay_alu instid0(VALU_DEP_4) | instskip(SKIP_2) | instid1(VALU_DEP_4)
	v_pk_fma_f32 v[14:15], v[44:45], v[32:33], v[14:15] op_sel:[0,1,0]
	v_dual_mov_b32 v28, v35 :: v_dual_mov_b32 v32, v59
	v_mov_b32_e32 v33, v58
	v_pk_fma_f32 v[18:19], v[46:47], v[30:31], v[18:19] op_sel_hi:[1,0,1]
	s_delay_alu instid0(VALU_DEP_4) | instskip(SKIP_1) | instid1(VALU_DEP_3)
	v_pk_fma_f32 v[14:15], v[46:47], v[34:35], v[14:15] op_sel_hi:[1,0,1]
	v_dual_mov_b32 v30, v53 :: v_dual_mov_b32 v31, v52
	v_pk_fma_f32 v[18:19], v[48:49], v[2:3], v[18:19] op_sel_hi:[1,0,1]
	s_delay_alu instid0(VALU_DEP_3) | instskip(SKIP_2) | instid1(VALU_DEP_4)
	v_pk_fma_f32 v[14:15], v[48:49], v[28:29], v[14:15] op_sel_hi:[1,0,1]
	v_dual_mov_b32 v28, v55 :: v_dual_mov_b32 v29, v54
	v_mov_b32_e32 v2, v39
	v_pk_fma_f32 v[18:19], v[30:31], v[36:37], v[18:19] op_sel_hi:[1,0,1]
	s_delay_alu instid0(VALU_DEP_4) | instskip(SKIP_1) | instid1(VALU_DEP_3)
	v_pk_fma_f32 v[14:15], v[30:31], v[40:41], v[14:15] op_sel_hi:[1,0,1]
	v_dual_mov_b32 v30, v57 :: v_dual_mov_b32 v31, v56
	v_pk_fma_f32 v[18:19], v[28:29], v[36:37], v[18:19] op_sel:[0,1,0]
	s_delay_alu instid0(VALU_DEP_3) | instskip(SKIP_1) | instid1(VALU_DEP_3)
	v_pk_fma_f32 v[14:15], v[28:29], v[40:41], v[14:15] op_sel:[0,1,0]
	v_mov_b32_e32 v28, v43
	v_pk_fma_f32 v[18:19], v[30:31], v[38:39], v[18:19] op_sel_hi:[1,0,1]
	s_delay_alu instid0(VALU_DEP_3) | instskip(NEXT) | instid1(VALU_DEP_2)
	v_pk_fma_f32 v[14:15], v[30:31], v[42:43], v[14:15] op_sel_hi:[1,0,1]
	v_pk_fma_f32 v[18:19], v[32:33], v[2:3], v[18:19] op_sel_hi:[1,0,1]
	s_delay_alu instid0(VALU_DEP_2)
	v_pk_fma_f32 v[14:15], v[32:33], v[28:29], v[14:15] op_sel_hi:[1,0,1]
	s_cbranch_vccnz .LBB176_5
.LBB176_6:                              ;   in Loop: Header=BB176_3 Depth=1
	s_wait_loadcnt 0x0
	v_add_nc_u64_e32 v[16:17], s[8:9], v[16:17]
	s_and_not1_b32 vcc_lo, exec_lo, s1
	s_delay_alu instid0(VALU_DEP_1) | instskip(NEXT) | instid1(VALU_DEP_1)
	v_lshl_add_u64 v[16:17], v[0:1], 2, v[16:17]
	v_add_nc_u64_e32 v[20:21], v[16:17], v[8:9]
	v_lshl_add_u64 v[16:17], s[20:21], 2, v[16:17]
	s_cbranch_vccnz .LBB176_8
; %bb.7:                                ;   in Loop: Header=BB176_3 Depth=1
	s_delay_alu instid0(VALU_DEP_1)
	v_add_nc_u64_e32 v[22:23], v[16:17], v[8:9]
	s_wait_xcnt 0x0
	v_dual_mul_f32 v2, s30, v19 :: v_dual_mul_f32 v28, s30, v18
	v_dual_mul_f32 v29, s30, v15 :: v_dual_mul_f32 v30, s30, v14
	s_clause 0x3
	flat_store_b32 v[20:21], v2
	flat_store_b32 v[20:21], v28 offset:64
	flat_store_b32 v[22:23], v29
	flat_store_b32 v[22:23], v30 offset:64
	s_cbranch_execnz .LBB176_2
	s_branch .LBB176_9
.LBB176_8:                              ;   in Loop: Header=BB176_3 Depth=1
.LBB176_9:                              ;   in Loop: Header=BB176_3 Depth=1
	v_add_nc_u64_e32 v[12:13], s[16:17], v[12:13]
	s_delay_alu instid0(VALU_DEP_2) | instskip(NEXT) | instid1(VALU_DEP_2)
	v_add_nc_u64_e32 v[16:17], v[16:17], v[8:9]
	v_lshl_add_u64 v[12:13], v[4:5], 2, v[12:13]
	s_wait_xcnt 0x0
	s_delay_alu instid0(VALU_DEP_1) | instskip(SKIP_1) | instid1(VALU_DEP_1)
	v_add_nc_u64_e32 v[22:23], v[12:13], v[8:9]
	v_lshl_add_u64 v[12:13], s[14:15], 2, v[12:13]
	v_add_nc_u64_e32 v[12:13], v[12:13], v[8:9]
	flat_load_b32 v2, v[22:23]
	s_wait_loadcnt_dscnt 0x0
	v_mul_f32_e32 v2, s33, v2
	s_delay_alu instid0(VALU_DEP_1) | instskip(SKIP_4) | instid1(VALU_DEP_1)
	v_fmac_f32_e32 v2, s30, v19
	flat_store_b32 v[20:21], v2
	flat_load_b32 v2, v[22:23] offset:64
	s_wait_loadcnt_dscnt 0x0
	v_mul_f32_e32 v2, s33, v2
	v_fmac_f32_e32 v2, s30, v18
	flat_store_b32 v[20:21], v2 offset:64
	flat_load_b32 v2, v[12:13]
	s_wait_loadcnt_dscnt 0x0
	v_mul_f32_e32 v2, s33, v2
	s_delay_alu instid0(VALU_DEP_1) | instskip(SKIP_4) | instid1(VALU_DEP_1)
	v_fmac_f32_e32 v2, s30, v15
	flat_store_b32 v[16:17], v2
	flat_load_b32 v2, v[12:13] offset:64
	s_wait_loadcnt_dscnt 0x0
	v_mul_f32_e32 v2, s33, v2
	v_fmac_f32_e32 v2, s30, v14
	flat_store_b32 v[16:17], v2 offset:64
	s_branch .LBB176_2
.LBB176_10:
	s_endpgm
	.section	.rodata,"a",@progbits
	.p2align	6, 0x0
	.amdhsa_kernel _ZN12_GLOBAL__N_127rocblas_gemm_batched_kernelIfLi16ELi16ELi32ELi32ELi8ELi32ELi8ELi8ELi32ELc78ELc78EKPK16rocblas_bfloat16KPKfKPfEEvlllT_PT11_llSC_llSA_PT12_llPT13_lli
		.amdhsa_group_segment_fixed_size 2048
		.amdhsa_private_segment_fixed_size 0
		.amdhsa_kernarg_size 140
		.amdhsa_user_sgpr_count 2
		.amdhsa_user_sgpr_dispatch_ptr 0
		.amdhsa_user_sgpr_queue_ptr 0
		.amdhsa_user_sgpr_kernarg_segment_ptr 1
		.amdhsa_user_sgpr_dispatch_id 0
		.amdhsa_user_sgpr_kernarg_preload_length 0
		.amdhsa_user_sgpr_kernarg_preload_offset 0
		.amdhsa_user_sgpr_private_segment_size 0
		.amdhsa_wavefront_size32 1
		.amdhsa_uses_dynamic_stack 0
		.amdhsa_enable_private_segment 0
		.amdhsa_system_sgpr_workgroup_id_x 1
		.amdhsa_system_sgpr_workgroup_id_y 1
		.amdhsa_system_sgpr_workgroup_id_z 1
		.amdhsa_system_sgpr_workgroup_info 0
		.amdhsa_system_vgpr_workitem_id 1
		.amdhsa_next_free_vgpr 62
		.amdhsa_next_free_sgpr 36
		.amdhsa_named_barrier_count 0
		.amdhsa_reserve_vcc 1
		.amdhsa_float_round_mode_32 0
		.amdhsa_float_round_mode_16_64 0
		.amdhsa_float_denorm_mode_32 3
		.amdhsa_float_denorm_mode_16_64 3
		.amdhsa_fp16_overflow 0
		.amdhsa_memory_ordered 1
		.amdhsa_forward_progress 1
		.amdhsa_inst_pref_size 12
		.amdhsa_round_robin_scheduling 0
		.amdhsa_exception_fp_ieee_invalid_op 0
		.amdhsa_exception_fp_denorm_src 0
		.amdhsa_exception_fp_ieee_div_zero 0
		.amdhsa_exception_fp_ieee_overflow 0
		.amdhsa_exception_fp_ieee_underflow 0
		.amdhsa_exception_fp_ieee_inexact 0
		.amdhsa_exception_int_div_zero 0
	.end_amdhsa_kernel
	.section	.text._ZN12_GLOBAL__N_127rocblas_gemm_batched_kernelIfLi16ELi16ELi32ELi32ELi8ELi32ELi8ELi8ELi32ELc78ELc78EKPK16rocblas_bfloat16KPKfKPfEEvlllT_PT11_llSC_llSA_PT12_llPT13_lli,"axG",@progbits,_ZN12_GLOBAL__N_127rocblas_gemm_batched_kernelIfLi16ELi16ELi32ELi32ELi8ELi32ELi8ELi8ELi32ELc78ELc78EKPK16rocblas_bfloat16KPKfKPfEEvlllT_PT11_llSC_llSA_PT12_llPT13_lli,comdat
.Lfunc_end176:
	.size	_ZN12_GLOBAL__N_127rocblas_gemm_batched_kernelIfLi16ELi16ELi32ELi32ELi8ELi32ELi8ELi8ELi32ELc78ELc78EKPK16rocblas_bfloat16KPKfKPfEEvlllT_PT11_llSC_llSA_PT12_llPT13_lli, .Lfunc_end176-_ZN12_GLOBAL__N_127rocblas_gemm_batched_kernelIfLi16ELi16ELi32ELi32ELi8ELi32ELi8ELi8ELi32ELc78ELc78EKPK16rocblas_bfloat16KPKfKPfEEvlllT_PT11_llSC_llSA_PT12_llPT13_lli
                                        ; -- End function
	.set _ZN12_GLOBAL__N_127rocblas_gemm_batched_kernelIfLi16ELi16ELi32ELi32ELi8ELi32ELi8ELi8ELi32ELc78ELc78EKPK16rocblas_bfloat16KPKfKPfEEvlllT_PT11_llSC_llSA_PT12_llPT13_lli.num_vgpr, 62
	.set _ZN12_GLOBAL__N_127rocblas_gemm_batched_kernelIfLi16ELi16ELi32ELi32ELi8ELi32ELi8ELi8ELi32ELc78ELc78EKPK16rocblas_bfloat16KPKfKPfEEvlllT_PT11_llSC_llSA_PT12_llPT13_lli.num_agpr, 0
	.set _ZN12_GLOBAL__N_127rocblas_gemm_batched_kernelIfLi16ELi16ELi32ELi32ELi8ELi32ELi8ELi8ELi32ELc78ELc78EKPK16rocblas_bfloat16KPKfKPfEEvlllT_PT11_llSC_llSA_PT12_llPT13_lli.numbered_sgpr, 36
	.set _ZN12_GLOBAL__N_127rocblas_gemm_batched_kernelIfLi16ELi16ELi32ELi32ELi8ELi32ELi8ELi8ELi32ELc78ELc78EKPK16rocblas_bfloat16KPKfKPfEEvlllT_PT11_llSC_llSA_PT12_llPT13_lli.num_named_barrier, 0
	.set _ZN12_GLOBAL__N_127rocblas_gemm_batched_kernelIfLi16ELi16ELi32ELi32ELi8ELi32ELi8ELi8ELi32ELc78ELc78EKPK16rocblas_bfloat16KPKfKPfEEvlllT_PT11_llSC_llSA_PT12_llPT13_lli.private_seg_size, 0
	.set _ZN12_GLOBAL__N_127rocblas_gemm_batched_kernelIfLi16ELi16ELi32ELi32ELi8ELi32ELi8ELi8ELi32ELc78ELc78EKPK16rocblas_bfloat16KPKfKPfEEvlllT_PT11_llSC_llSA_PT12_llPT13_lli.uses_vcc, 1
	.set _ZN12_GLOBAL__N_127rocblas_gemm_batched_kernelIfLi16ELi16ELi32ELi32ELi8ELi32ELi8ELi8ELi32ELc78ELc78EKPK16rocblas_bfloat16KPKfKPfEEvlllT_PT11_llSC_llSA_PT12_llPT13_lli.uses_flat_scratch, 1
	.set _ZN12_GLOBAL__N_127rocblas_gemm_batched_kernelIfLi16ELi16ELi32ELi32ELi8ELi32ELi8ELi8ELi32ELc78ELc78EKPK16rocblas_bfloat16KPKfKPfEEvlllT_PT11_llSC_llSA_PT12_llPT13_lli.has_dyn_sized_stack, 0
	.set _ZN12_GLOBAL__N_127rocblas_gemm_batched_kernelIfLi16ELi16ELi32ELi32ELi8ELi32ELi8ELi8ELi32ELc78ELc78EKPK16rocblas_bfloat16KPKfKPfEEvlllT_PT11_llSC_llSA_PT12_llPT13_lli.has_recursion, 0
	.set _ZN12_GLOBAL__N_127rocblas_gemm_batched_kernelIfLi16ELi16ELi32ELi32ELi8ELi32ELi8ELi8ELi32ELc78ELc78EKPK16rocblas_bfloat16KPKfKPfEEvlllT_PT11_llSC_llSA_PT12_llPT13_lli.has_indirect_call, 0
	.section	.AMDGPU.csdata,"",@progbits
; Kernel info:
; codeLenInByte = 1432
; TotalNumSgprs: 38
; NumVgprs: 62
; ScratchSize: 0
; MemoryBound: 0
; FloatMode: 240
; IeeeMode: 1
; LDSByteSize: 2048 bytes/workgroup (compile time only)
; SGPRBlocks: 0
; VGPRBlocks: 3
; NumSGPRsForWavesPerEU: 38
; NumVGPRsForWavesPerEU: 62
; NamedBarCnt: 0
; Occupancy: 16
; WaveLimiterHint : 1
; COMPUTE_PGM_RSRC2:SCRATCH_EN: 0
; COMPUTE_PGM_RSRC2:USER_SGPR: 2
; COMPUTE_PGM_RSRC2:TRAP_HANDLER: 0
; COMPUTE_PGM_RSRC2:TGID_X_EN: 1
; COMPUTE_PGM_RSRC2:TGID_Y_EN: 1
; COMPUTE_PGM_RSRC2:TGID_Z_EN: 1
; COMPUTE_PGM_RSRC2:TIDIG_COMP_CNT: 1
	.section	.text._ZN12_GLOBAL__N_127rocblas_gemm_batched_kernelIfLi16ELi16ELi32ELi32ELi8ELi32ELi8ELi8ELi32ELc84ELc78EKPK16rocblas_bfloat16KPKfKPfEEvlllT_PT11_llSC_llSA_PT12_llPT13_lli,"axG",@progbits,_ZN12_GLOBAL__N_127rocblas_gemm_batched_kernelIfLi16ELi16ELi32ELi32ELi8ELi32ELi8ELi8ELi32ELc84ELc78EKPK16rocblas_bfloat16KPKfKPfEEvlllT_PT11_llSC_llSA_PT12_llPT13_lli,comdat
	.globl	_ZN12_GLOBAL__N_127rocblas_gemm_batched_kernelIfLi16ELi16ELi32ELi32ELi8ELi32ELi8ELi8ELi32ELc84ELc78EKPK16rocblas_bfloat16KPKfKPfEEvlllT_PT11_llSC_llSA_PT12_llPT13_lli ; -- Begin function _ZN12_GLOBAL__N_127rocblas_gemm_batched_kernelIfLi16ELi16ELi32ELi32ELi8ELi32ELi8ELi8ELi32ELc84ELc78EKPK16rocblas_bfloat16KPKfKPfEEvlllT_PT11_llSC_llSA_PT12_llPT13_lli
	.p2align	8
	.type	_ZN12_GLOBAL__N_127rocblas_gemm_batched_kernelIfLi16ELi16ELi32ELi32ELi8ELi32ELi8ELi8ELi32ELc84ELc78EKPK16rocblas_bfloat16KPKfKPfEEvlllT_PT11_llSC_llSA_PT12_llPT13_lli,@function
_ZN12_GLOBAL__N_127rocblas_gemm_batched_kernelIfLi16ELi16ELi32ELi32ELi8ELi32ELi8ELi8ELi32ELc84ELc78EKPK16rocblas_bfloat16KPKfKPfEEvlllT_PT11_llSC_llSA_PT12_llPT13_lli: ; @_ZN12_GLOBAL__N_127rocblas_gemm_batched_kernelIfLi16ELi16ELi32ELi32ELi8ELi32ELi8ELi8ELi32ELc84ELc78EKPK16rocblas_bfloat16KPKfKPfEEvlllT_PT11_llSC_llSA_PT12_llPT13_lli
; %bb.0:
	s_load_b32 s31, s[0:1], 0x88
	s_bfe_u32 s2, ttmp6, 0x40014
	s_lshr_b32 s3, ttmp7, 16
	s_add_co_i32 s2, s2, 1
	s_bfe_u32 s4, ttmp6, 0x40008
	s_mul_i32 s2, s3, s2
	s_getreg_b32 s12, hwreg(HW_REG_IB_STS2, 6, 4)
	s_add_co_i32 s4, s4, s2
	s_cmp_eq_u32 s12, 0
	s_cselect_b32 s2, s3, s4
	s_mov_b32 s3, 0
	s_wait_kmcnt 0x0
	s_cmp_ge_i32 s2, s31
	s_cbranch_scc1 .LBB177_10
; %bb.1:
	v_bfe_u32 v2, v0, 10, 10
	v_and_b32_e32 v6, 0x3ff, v0
	s_bfe_u32 s13, ttmp6, 0x4000c
	s_bfe_u32 s15, ttmp6, 0x40010
	s_clause 0x2
	s_load_b256 s[4:11], s[0:1], 0x20
	s_load_b128 s[20:23], s[0:1], 0x40
	s_load_b32 s33, s[0:1], 0x50
	s_add_co_i32 s13, s13, 1
	s_and_b32 s16, ttmp7, 0xffff
	s_add_co_i32 s15, s15, 1
	v_lshl_add_u32 v14, v2, 4, v6
	v_mov_b32_e32 v3, 0
	s_and_b32 s14, ttmp6, 15
	s_mul_i32 s13, ttmp9, s13
	s_mul_i32 s15, s16, s15
	s_bfe_u32 s17, ttmp6, 0x40004
	s_add_co_i32 s14, s14, s13
	s_add_co_i32 s17, s17, s15
	s_cmp_eq_u32 s12, 0
	v_dual_mov_b32 v9, v3 :: v_dual_lshrrev_b32 v8, 3, v14
	v_and_b32_e32 v15, 31, v14
	s_cselect_b32 s13, s16, s17
	s_cselect_b32 s12, ttmp9, s14
	s_lshl_b32 s28, s13, 5
	s_mov_b32 s29, s3
	s_ashr_i32 s13, s12, 31
	v_add_nc_u64_e32 v[4:5], s[28:29], v[8:9]
	s_load_b128 s[24:27], s[0:1], 0x78
	s_lshl_b64 s[34:35], s[12:13], 5
	s_load_b256 s[12:19], s[0:1], 0x58
	v_dual_mov_b32 v11, s35 :: v_dual_bitop2_b32 v10, s34, v15 bitop3:0x54
	v_dual_mov_b32 v7, v3 :: v_dual_bitop2_b32 v9, 7, v0 bitop3:0x40
	s_wait_kmcnt 0x0
	v_mul_u64_e32 v[12:13], s[20:21], v[4:5]
	v_add_nc_u64_e32 v[4:5], s[28:29], v[2:3]
	v_mul_u64_e32 v[10:11], s[6:7], v[10:11]
	s_load_b96 s[28:30], s[0:1], 0x10
	s_cmp_eq_f32 s33, 0
	v_dual_lshlrev_b32 v16, 2, v9 :: v_dual_lshlrev_b32 v24, 2, v6
	v_lshl_add_u32 v25, v2, 5, 0x400
	s_wait_xcnt 0x0
	s_cselect_b32 s1, -1, 0
	s_lshl_b64 s[6:7], s[22:23], 1
	v_dual_lshrrev_b32 v17, 5, v14 :: v_dual_lshlrev_b32 v2, 1, v9
	v_lshlrev_b32_e32 v18, 2, v15
	v_mul_u64_e32 v[0:1], s[24:25], v[4:5]
	v_add_nc_u64_e32 v[14:15], s[34:35], v[6:7]
	v_mul_u64_e32 v[4:5], s[14:15], v[4:5]
	v_lshl_or_b32 v16, v8, 5, v16
	s_lshl_b64 s[16:17], s[16:17], 2
	s_delay_alu instid0(VALU_DEP_1)
	v_add_nc_u32_e32 v27, 0x400, v16
	s_wait_kmcnt 0x0
	v_cmp_gt_i64_e64 s0, s[28:29], 0
	v_lshl_add_u64 v[12:13], v[12:13], 1, s[6:7]
	s_lshl_b64 s[6:7], s[8:9], 1
	s_lshl_b64 s[8:9], s[14:15], 4
	v_lshl_add_u64 v[8:9], v[10:11], 1, s[6:7]
	v_lshlrev_b64_e32 v[10:11], 2, v[14:15]
	v_add_nc_u64_e32 v[6:7], v[12:13], v[2:3]
	v_lshlrev_b32_e32 v2, 1, v17
	v_cndmask_b32_e64 v12, 0, 1, s0
	v_lshl_or_b32 v26, v17, 7, v18
	s_lshl_b64 s[6:7], s[24:25], 4
	s_lshl_b64 s[14:15], s[26:27], 2
	v_add_nc_u64_e32 v[8:9], v[8:9], v[2:3]
	v_cmp_ne_u32_e64 s0, 1, v12
	s_branch .LBB177_3
.LBB177_2:                              ;   in Loop: Header=BB177_3 Depth=1
	s_add_co_i32 s2, s2, 0x10000
	s_delay_alu instid0(SALU_CYCLE_1)
	s_cmp_lt_i32 s2, s31
	s_cbranch_scc0 .LBB177_10
.LBB177_3:                              ; =>This Loop Header: Depth=1
                                        ;     Child Loop BB177_5 Depth 2
	s_wait_xcnt 0x0
	v_dual_mov_b32 v2, s2 :: v_dual_mov_b32 v19, 0
	v_dual_mov_b32 v18, 0 :: v_dual_mov_b32 v15, 0
	v_mov_b32_e32 v14, 0
	s_clause 0x1
	global_load_b64 v[12:13], v2, s[12:13] scale_offset
	global_load_b64 v[16:17], v2, s[18:19] scale_offset
	s_and_b32 vcc_lo, exec_lo, s0
	s_cbranch_vccnz .LBB177_6
; %bb.4:                                ;   in Loop: Header=BB177_3 Depth=1
	s_lshl_b64 s[20:21], s[2:3], 3
	v_mov_b32_e32 v14, 0
	s_add_nc_u64 s[22:23], s[10:11], s[20:21]
	s_add_nc_u64 s[20:21], s[4:5], s[20:21]
	s_clause 0x1
	global_load_b64 v[18:19], v3, s[22:23]
	global_load_b64 v[22:23], v3, s[20:21]
	s_wait_xcnt 0x0
	s_mov_b64 s[20:21], 0
	v_mov_b32_e32 v15, v14
	s_wait_loadcnt 0x1
	v_add_nc_u64_e32 v[20:21], v[18:19], v[6:7]
	s_wait_loadcnt 0x0
	v_add_nc_u64_e32 v[22:23], v[22:23], v[8:9]
	v_dual_mov_b32 v18, v14 :: v_dual_mov_b32 v19, v14
.LBB177_5:                              ;   Parent Loop BB177_3 Depth=1
                                        ; =>  This Inner Loop Header: Depth=2
	flat_load_u16 v2, v[22:23]
	flat_load_u16 v28, v[20:21]
	s_add_nc_u64 s[20:21], s[20:21], 8
	s_wait_xcnt 0x0
	v_add_nc_u64_e32 v[20:21], 16, v[20:21]
	v_cmp_lt_i64_e64 s22, s[20:21], s[28:29]
	v_add_nc_u64_e32 v[22:23], 16, v[22:23]
	s_and_b32 vcc_lo, exec_lo, s22
	s_wait_loadcnt_dscnt 0x0
	v_dual_lshlrev_b32 v2, 16, v2 :: v_dual_lshlrev_b32 v28, 16, v28
	ds_store_b32 v26, v2
	ds_store_b32 v27, v28
	s_wait_dscnt 0x0
	s_barrier_signal -1
	s_barrier_wait -1
	ds_load_2addr_b32 v[44:45], v24 offset1:16
	ds_load_2addr_b32 v[46:47], v24 offset0:32 offset1:48
	ds_load_b128 v[28:31], v25
	ds_load_2addr_b32 v[48:49], v24 offset0:64 offset1:80
	ds_load_b128 v[32:35], v25 offset:512
	ds_load_2addr_b32 v[50:51], v24 offset0:96 offset1:112
	ds_load_b128 v[36:39], v25 offset:16
	;; [unrolled: 2-line block ×3, first 2 shown]
	ds_load_2addr_b32 v[54:55], v24 offset0:160 offset1:176
	ds_load_2addr_b32 v[56:57], v24 offset0:192 offset1:208
	;; [unrolled: 1-line block ×3, first 2 shown]
	s_wait_dscnt 0x0
	s_barrier_signal -1
	s_barrier_wait -1
	v_dual_mov_b32 v60, v45 :: v_dual_mov_b32 v61, v44
	v_dual_mov_b32 v44, v47 :: v_dual_mov_b32 v45, v46
	;; [unrolled: 1-line block ×3, first 2 shown]
	s_delay_alu instid0(VALU_DEP_3) | instskip(SKIP_3) | instid1(VALU_DEP_4)
	v_pk_fma_f32 v[18:19], v[60:61], v[28:29], v[18:19] op_sel_hi:[1,0,1]
	v_pk_fma_f32 v[14:15], v[60:61], v[32:33], v[14:15] op_sel_hi:[1,0,1]
	v_dual_mov_b32 v48, v51 :: v_dual_mov_b32 v49, v50
	v_mov_b32_e32 v2, v31
	v_pk_fma_f32 v[18:19], v[44:45], v[28:29], v[18:19] op_sel:[0,1,0]
	s_delay_alu instid0(VALU_DEP_4) | instskip(SKIP_2) | instid1(VALU_DEP_4)
	v_pk_fma_f32 v[14:15], v[44:45], v[32:33], v[14:15] op_sel:[0,1,0]
	v_dual_mov_b32 v28, v35 :: v_dual_mov_b32 v32, v59
	v_mov_b32_e32 v33, v58
	v_pk_fma_f32 v[18:19], v[46:47], v[30:31], v[18:19] op_sel_hi:[1,0,1]
	s_delay_alu instid0(VALU_DEP_4) | instskip(SKIP_1) | instid1(VALU_DEP_3)
	v_pk_fma_f32 v[14:15], v[46:47], v[34:35], v[14:15] op_sel_hi:[1,0,1]
	v_dual_mov_b32 v30, v53 :: v_dual_mov_b32 v31, v52
	v_pk_fma_f32 v[18:19], v[48:49], v[2:3], v[18:19] op_sel_hi:[1,0,1]
	s_delay_alu instid0(VALU_DEP_3) | instskip(SKIP_2) | instid1(VALU_DEP_4)
	v_pk_fma_f32 v[14:15], v[48:49], v[28:29], v[14:15] op_sel_hi:[1,0,1]
	v_dual_mov_b32 v28, v55 :: v_dual_mov_b32 v29, v54
	v_mov_b32_e32 v2, v39
	v_pk_fma_f32 v[18:19], v[30:31], v[36:37], v[18:19] op_sel_hi:[1,0,1]
	s_delay_alu instid0(VALU_DEP_4) | instskip(SKIP_1) | instid1(VALU_DEP_3)
	v_pk_fma_f32 v[14:15], v[30:31], v[40:41], v[14:15] op_sel_hi:[1,0,1]
	v_dual_mov_b32 v30, v57 :: v_dual_mov_b32 v31, v56
	v_pk_fma_f32 v[18:19], v[28:29], v[36:37], v[18:19] op_sel:[0,1,0]
	s_delay_alu instid0(VALU_DEP_3) | instskip(SKIP_1) | instid1(VALU_DEP_3)
	v_pk_fma_f32 v[14:15], v[28:29], v[40:41], v[14:15] op_sel:[0,1,0]
	v_mov_b32_e32 v28, v43
	v_pk_fma_f32 v[18:19], v[30:31], v[38:39], v[18:19] op_sel_hi:[1,0,1]
	s_delay_alu instid0(VALU_DEP_3) | instskip(NEXT) | instid1(VALU_DEP_2)
	v_pk_fma_f32 v[14:15], v[30:31], v[42:43], v[14:15] op_sel_hi:[1,0,1]
	v_pk_fma_f32 v[18:19], v[32:33], v[2:3], v[18:19] op_sel_hi:[1,0,1]
	s_delay_alu instid0(VALU_DEP_2)
	v_pk_fma_f32 v[14:15], v[32:33], v[28:29], v[14:15] op_sel_hi:[1,0,1]
	s_cbranch_vccnz .LBB177_5
.LBB177_6:                              ;   in Loop: Header=BB177_3 Depth=1
	s_wait_loadcnt 0x0
	v_add_nc_u64_e32 v[16:17], s[14:15], v[16:17]
	s_and_not1_b32 vcc_lo, exec_lo, s1
	s_delay_alu instid0(VALU_DEP_1) | instskip(NEXT) | instid1(VALU_DEP_1)
	v_lshl_add_u64 v[16:17], v[0:1], 2, v[16:17]
	v_add_nc_u64_e32 v[20:21], v[16:17], v[10:11]
	v_lshl_add_u64 v[16:17], s[6:7], 2, v[16:17]
	s_cbranch_vccnz .LBB177_8
; %bb.7:                                ;   in Loop: Header=BB177_3 Depth=1
	s_delay_alu instid0(VALU_DEP_1)
	v_add_nc_u64_e32 v[22:23], v[16:17], v[10:11]
	s_wait_xcnt 0x0
	v_dual_mul_f32 v2, s30, v19 :: v_dual_mul_f32 v28, s30, v18
	v_dual_mul_f32 v29, s30, v15 :: v_dual_mul_f32 v30, s30, v14
	s_clause 0x3
	flat_store_b32 v[20:21], v2
	flat_store_b32 v[20:21], v28 offset:64
	flat_store_b32 v[22:23], v29
	flat_store_b32 v[22:23], v30 offset:64
	s_cbranch_execnz .LBB177_2
	s_branch .LBB177_9
.LBB177_8:                              ;   in Loop: Header=BB177_3 Depth=1
.LBB177_9:                              ;   in Loop: Header=BB177_3 Depth=1
	v_add_nc_u64_e32 v[12:13], s[16:17], v[12:13]
	s_delay_alu instid0(VALU_DEP_2) | instskip(NEXT) | instid1(VALU_DEP_2)
	v_add_nc_u64_e32 v[16:17], v[16:17], v[10:11]
	v_lshl_add_u64 v[12:13], v[4:5], 2, v[12:13]
	s_wait_xcnt 0x0
	s_delay_alu instid0(VALU_DEP_1) | instskip(SKIP_1) | instid1(VALU_DEP_1)
	v_add_nc_u64_e32 v[22:23], v[12:13], v[10:11]
	v_lshl_add_u64 v[12:13], s[8:9], 2, v[12:13]
	v_add_nc_u64_e32 v[12:13], v[12:13], v[10:11]
	flat_load_b32 v2, v[22:23]
	s_wait_loadcnt_dscnt 0x0
	v_mul_f32_e32 v2, s33, v2
	s_delay_alu instid0(VALU_DEP_1) | instskip(SKIP_4) | instid1(VALU_DEP_1)
	v_fmac_f32_e32 v2, s30, v19
	flat_store_b32 v[20:21], v2
	flat_load_b32 v2, v[22:23] offset:64
	s_wait_loadcnt_dscnt 0x0
	v_mul_f32_e32 v2, s33, v2
	v_fmac_f32_e32 v2, s30, v18
	flat_store_b32 v[20:21], v2 offset:64
	flat_load_b32 v2, v[12:13]
	s_wait_loadcnt_dscnt 0x0
	v_mul_f32_e32 v2, s33, v2
	s_delay_alu instid0(VALU_DEP_1) | instskip(SKIP_4) | instid1(VALU_DEP_1)
	v_fmac_f32_e32 v2, s30, v15
	flat_store_b32 v[16:17], v2
	flat_load_b32 v2, v[12:13] offset:64
	s_wait_loadcnt_dscnt 0x0
	v_mul_f32_e32 v2, s33, v2
	v_fmac_f32_e32 v2, s30, v14
	flat_store_b32 v[16:17], v2 offset:64
	s_branch .LBB177_2
.LBB177_10:
	s_endpgm
	.section	.rodata,"a",@progbits
	.p2align	6, 0x0
	.amdhsa_kernel _ZN12_GLOBAL__N_127rocblas_gemm_batched_kernelIfLi16ELi16ELi32ELi32ELi8ELi32ELi8ELi8ELi32ELc84ELc78EKPK16rocblas_bfloat16KPKfKPfEEvlllT_PT11_llSC_llSA_PT12_llPT13_lli
		.amdhsa_group_segment_fixed_size 2048
		.amdhsa_private_segment_fixed_size 0
		.amdhsa_kernarg_size 140
		.amdhsa_user_sgpr_count 2
		.amdhsa_user_sgpr_dispatch_ptr 0
		.amdhsa_user_sgpr_queue_ptr 0
		.amdhsa_user_sgpr_kernarg_segment_ptr 1
		.amdhsa_user_sgpr_dispatch_id 0
		.amdhsa_user_sgpr_kernarg_preload_length 0
		.amdhsa_user_sgpr_kernarg_preload_offset 0
		.amdhsa_user_sgpr_private_segment_size 0
		.amdhsa_wavefront_size32 1
		.amdhsa_uses_dynamic_stack 0
		.amdhsa_enable_private_segment 0
		.amdhsa_system_sgpr_workgroup_id_x 1
		.amdhsa_system_sgpr_workgroup_id_y 1
		.amdhsa_system_sgpr_workgroup_id_z 1
		.amdhsa_system_sgpr_workgroup_info 0
		.amdhsa_system_vgpr_workitem_id 1
		.amdhsa_next_free_vgpr 62
		.amdhsa_next_free_sgpr 36
		.amdhsa_named_barrier_count 0
		.amdhsa_reserve_vcc 1
		.amdhsa_float_round_mode_32 0
		.amdhsa_float_round_mode_16_64 0
		.amdhsa_float_denorm_mode_32 3
		.amdhsa_float_denorm_mode_16_64 3
		.amdhsa_fp16_overflow 0
		.amdhsa_memory_ordered 1
		.amdhsa_forward_progress 1
		.amdhsa_inst_pref_size 12
		.amdhsa_round_robin_scheduling 0
		.amdhsa_exception_fp_ieee_invalid_op 0
		.amdhsa_exception_fp_denorm_src 0
		.amdhsa_exception_fp_ieee_div_zero 0
		.amdhsa_exception_fp_ieee_overflow 0
		.amdhsa_exception_fp_ieee_underflow 0
		.amdhsa_exception_fp_ieee_inexact 0
		.amdhsa_exception_int_div_zero 0
	.end_amdhsa_kernel
	.section	.text._ZN12_GLOBAL__N_127rocblas_gemm_batched_kernelIfLi16ELi16ELi32ELi32ELi8ELi32ELi8ELi8ELi32ELc84ELc78EKPK16rocblas_bfloat16KPKfKPfEEvlllT_PT11_llSC_llSA_PT12_llPT13_lli,"axG",@progbits,_ZN12_GLOBAL__N_127rocblas_gemm_batched_kernelIfLi16ELi16ELi32ELi32ELi8ELi32ELi8ELi8ELi32ELc84ELc78EKPK16rocblas_bfloat16KPKfKPfEEvlllT_PT11_llSC_llSA_PT12_llPT13_lli,comdat
.Lfunc_end177:
	.size	_ZN12_GLOBAL__N_127rocblas_gemm_batched_kernelIfLi16ELi16ELi32ELi32ELi8ELi32ELi8ELi8ELi32ELc84ELc78EKPK16rocblas_bfloat16KPKfKPfEEvlllT_PT11_llSC_llSA_PT12_llPT13_lli, .Lfunc_end177-_ZN12_GLOBAL__N_127rocblas_gemm_batched_kernelIfLi16ELi16ELi32ELi32ELi8ELi32ELi8ELi8ELi32ELc84ELc78EKPK16rocblas_bfloat16KPKfKPfEEvlllT_PT11_llSC_llSA_PT12_llPT13_lli
                                        ; -- End function
	.set _ZN12_GLOBAL__N_127rocblas_gemm_batched_kernelIfLi16ELi16ELi32ELi32ELi8ELi32ELi8ELi8ELi32ELc84ELc78EKPK16rocblas_bfloat16KPKfKPfEEvlllT_PT11_llSC_llSA_PT12_llPT13_lli.num_vgpr, 62
	.set _ZN12_GLOBAL__N_127rocblas_gemm_batched_kernelIfLi16ELi16ELi32ELi32ELi8ELi32ELi8ELi8ELi32ELc84ELc78EKPK16rocblas_bfloat16KPKfKPfEEvlllT_PT11_llSC_llSA_PT12_llPT13_lli.num_agpr, 0
	.set _ZN12_GLOBAL__N_127rocblas_gemm_batched_kernelIfLi16ELi16ELi32ELi32ELi8ELi32ELi8ELi8ELi32ELc84ELc78EKPK16rocblas_bfloat16KPKfKPfEEvlllT_PT11_llSC_llSA_PT12_llPT13_lli.numbered_sgpr, 36
	.set _ZN12_GLOBAL__N_127rocblas_gemm_batched_kernelIfLi16ELi16ELi32ELi32ELi8ELi32ELi8ELi8ELi32ELc84ELc78EKPK16rocblas_bfloat16KPKfKPfEEvlllT_PT11_llSC_llSA_PT12_llPT13_lli.num_named_barrier, 0
	.set _ZN12_GLOBAL__N_127rocblas_gemm_batched_kernelIfLi16ELi16ELi32ELi32ELi8ELi32ELi8ELi8ELi32ELc84ELc78EKPK16rocblas_bfloat16KPKfKPfEEvlllT_PT11_llSC_llSA_PT12_llPT13_lli.private_seg_size, 0
	.set _ZN12_GLOBAL__N_127rocblas_gemm_batched_kernelIfLi16ELi16ELi32ELi32ELi8ELi32ELi8ELi8ELi32ELc84ELc78EKPK16rocblas_bfloat16KPKfKPfEEvlllT_PT11_llSC_llSA_PT12_llPT13_lli.uses_vcc, 1
	.set _ZN12_GLOBAL__N_127rocblas_gemm_batched_kernelIfLi16ELi16ELi32ELi32ELi8ELi32ELi8ELi8ELi32ELc84ELc78EKPK16rocblas_bfloat16KPKfKPfEEvlllT_PT11_llSC_llSA_PT12_llPT13_lli.uses_flat_scratch, 1
	.set _ZN12_GLOBAL__N_127rocblas_gemm_batched_kernelIfLi16ELi16ELi32ELi32ELi8ELi32ELi8ELi8ELi32ELc84ELc78EKPK16rocblas_bfloat16KPKfKPfEEvlllT_PT11_llSC_llSA_PT12_llPT13_lli.has_dyn_sized_stack, 0
	.set _ZN12_GLOBAL__N_127rocblas_gemm_batched_kernelIfLi16ELi16ELi32ELi32ELi8ELi32ELi8ELi8ELi32ELc84ELc78EKPK16rocblas_bfloat16KPKfKPfEEvlllT_PT11_llSC_llSA_PT12_llPT13_lli.has_recursion, 0
	.set _ZN12_GLOBAL__N_127rocblas_gemm_batched_kernelIfLi16ELi16ELi32ELi32ELi8ELi32ELi8ELi8ELi32ELc84ELc78EKPK16rocblas_bfloat16KPKfKPfEEvlllT_PT11_llSC_llSA_PT12_llPT13_lli.has_indirect_call, 0
	.section	.AMDGPU.csdata,"",@progbits
; Kernel info:
; codeLenInByte = 1420
; TotalNumSgprs: 38
; NumVgprs: 62
; ScratchSize: 0
; MemoryBound: 0
; FloatMode: 240
; IeeeMode: 1
; LDSByteSize: 2048 bytes/workgroup (compile time only)
; SGPRBlocks: 0
; VGPRBlocks: 3
; NumSGPRsForWavesPerEU: 38
; NumVGPRsForWavesPerEU: 62
; NamedBarCnt: 0
; Occupancy: 16
; WaveLimiterHint : 1
; COMPUTE_PGM_RSRC2:SCRATCH_EN: 0
; COMPUTE_PGM_RSRC2:USER_SGPR: 2
; COMPUTE_PGM_RSRC2:TRAP_HANDLER: 0
; COMPUTE_PGM_RSRC2:TGID_X_EN: 1
; COMPUTE_PGM_RSRC2:TGID_Y_EN: 1
; COMPUTE_PGM_RSRC2:TGID_Z_EN: 1
; COMPUTE_PGM_RSRC2:TIDIG_COMP_CNT: 1
	.section	.text._ZN12_GLOBAL__N_127rocblas_gemm_batched_kernelIfLi16ELi16ELi32ELi32ELi8ELi32ELi8ELi8ELi32ELc78ELc84EKPK16rocblas_bfloat16KPKfKPfEEvlllT_PT11_llSC_llSA_PT12_llPT13_lli,"axG",@progbits,_ZN12_GLOBAL__N_127rocblas_gemm_batched_kernelIfLi16ELi16ELi32ELi32ELi8ELi32ELi8ELi8ELi32ELc78ELc84EKPK16rocblas_bfloat16KPKfKPfEEvlllT_PT11_llSC_llSA_PT12_llPT13_lli,comdat
	.globl	_ZN12_GLOBAL__N_127rocblas_gemm_batched_kernelIfLi16ELi16ELi32ELi32ELi8ELi32ELi8ELi8ELi32ELc78ELc84EKPK16rocblas_bfloat16KPKfKPfEEvlllT_PT11_llSC_llSA_PT12_llPT13_lli ; -- Begin function _ZN12_GLOBAL__N_127rocblas_gemm_batched_kernelIfLi16ELi16ELi32ELi32ELi8ELi32ELi8ELi8ELi32ELc78ELc84EKPK16rocblas_bfloat16KPKfKPfEEvlllT_PT11_llSC_llSA_PT12_llPT13_lli
	.p2align	8
	.type	_ZN12_GLOBAL__N_127rocblas_gemm_batched_kernelIfLi16ELi16ELi32ELi32ELi8ELi32ELi8ELi8ELi32ELc78ELc84EKPK16rocblas_bfloat16KPKfKPfEEvlllT_PT11_llSC_llSA_PT12_llPT13_lli,@function
_ZN12_GLOBAL__N_127rocblas_gemm_batched_kernelIfLi16ELi16ELi32ELi32ELi8ELi32ELi8ELi8ELi32ELc78ELc84EKPK16rocblas_bfloat16KPKfKPfEEvlllT_PT11_llSC_llSA_PT12_llPT13_lli: ; @_ZN12_GLOBAL__N_127rocblas_gemm_batched_kernelIfLi16ELi16ELi32ELi32ELi8ELi32ELi8ELi8ELi32ELc78ELc84EKPK16rocblas_bfloat16KPKfKPfEEvlllT_PT11_llSC_llSA_PT12_llPT13_lli
; %bb.0:
	s_load_b32 s31, s[0:1], 0x88
	s_bfe_u32 s2, ttmp6, 0x40014
	s_lshr_b32 s3, ttmp7, 16
	s_add_co_i32 s2, s2, 1
	s_bfe_u32 s4, ttmp6, 0x40008
	s_mul_i32 s2, s3, s2
	s_getreg_b32 s28, hwreg(HW_REG_IB_STS2, 6, 4)
	s_add_co_i32 s4, s4, s2
	s_cmp_eq_u32 s28, 0
	s_cselect_b32 s2, s3, s4
	s_mov_b32 s3, 0
	s_wait_kmcnt 0x0
	s_cmp_ge_i32 s2, s31
	s_cbranch_scc1 .LBB178_10
; %bb.1:
	s_clause 0x2
	s_load_b256 s[4:11], s[0:1], 0x20
	s_load_b128 s[24:27], s[0:1], 0x40
	s_load_b32 s33, s[0:1], 0x50
	v_bfe_u32 v2, v0, 10, 10
	v_and_b32_e32 v6, 0x3ff, v0
	s_bfe_u32 s29, ttmp6, 0x4000c
	s_bfe_u32 s34, ttmp6, 0x40010
	s_add_co_i32 s29, s29, 1
	s_and_b32 s35, ttmp7, 0xffff
	s_add_co_i32 s34, s34, 1
	v_lshl_add_u32 v1, v2, 4, v6
	v_dual_mov_b32 v3, 0 :: v_dual_bitop2_b32 v0, 7, v0 bitop3:0x40
	s_clause 0x1
	s_load_b128 s[20:23], s[0:1], 0x78
	s_load_b256 s[12:19], s[0:1], 0x58
	s_and_b32 s30, ttmp6, 15
	s_mul_i32 s29, ttmp9, s29
	s_mul_i32 s34, s35, s34
	s_bfe_u32 s36, ttmp6, 0x40004
	s_add_co_i32 s30, s30, s29
	s_add_co_i32 s36, s36, s34
	s_cmp_eq_u32 s28, 0
	v_dual_mov_b32 v9, v3 :: v_dual_lshrrev_b32 v8, 3, v1
	s_cselect_b32 s28, ttmp9, s30
	v_dual_lshrrev_b32 v16, 5, v1 :: v_dual_bitop2_b32 v14, 31, v1 bitop3:0x40
	s_cselect_b32 s30, s35, s36
	s_ashr_i32 s29, s28, 31
	s_wait_kmcnt 0x0
	v_mad_nc_u64_u32 v[10:11], s24, v0, v[8:9]
	s_lshl_b64 s[34:35], s[28:29], 5
	s_lshl_b32 s36, s30, 5
	s_mov_b32 s37, s3
	v_mad_nc_u64_u32 v[12:13], s6, v16, s[34:35]
	v_add_nc_u64_e32 v[4:5], s[36:37], v[2:3]
	s_load_b96 s[28:30], s[0:1], 0x10
	v_dual_lshlrev_b32 v7, 2, v0 :: v_dual_lshlrev_b32 v9, 2, v14
	v_dual_mov_b32 v15, v3 :: v_dual_lshlrev_b32 v26, 2, v6
	v_mad_u32 v11, s25, v0, v11
	s_delay_alu instid0(VALU_DEP_4)
	v_mul_u64_e32 v[0:1], s[20:21], v[4:5]
	v_mul_u64_e32 v[4:5], s[14:15], v[4:5]
	v_lshl_or_b32 v17, v8, 5, v7
	v_mad_u32 v13, s7, v16, v13
	v_mov_b32_e32 v7, v3
	v_lshl_or_b32 v24, v16, 7, v9
	s_cmp_eq_f32 s33, 0
	v_add_nc_u32_e32 v25, 0x400, v17
	v_lshl_add_u32 v2, v2, 5, 0x400
	v_add_nc_u64_e32 v[8:9], s[36:37], v[10:11]
	s_wait_xcnt 0x0
	s_cselect_b32 s1, -1, 0
	s_lshl_b64 s[20:21], s[20:21], 4
	s_lshl_b64 s[14:15], s[14:15], 4
	v_add_nc_u64_e32 v[10:11], v[12:13], v[14:15]
	s_wait_kmcnt 0x0
	v_cmp_gt_i64_e64 s0, s[28:29], 0
	v_add_nc_u64_e32 v[12:13], s[34:35], v[6:7]
	v_lshlrev_b64_e32 v[8:9], 1, v[8:9]
	s_lshl_b64 s[24:25], s[24:25], 4
	s_lshl_b64 s[6:7], s[6:7], 4
	s_lshl_b64 s[16:17], s[16:17], 2
	v_lshlrev_b64_e32 v[10:11], 1, v[10:11]
	v_cndmask_b32_e64 v14, 0, 1, s0
	s_delay_alu instid0(VALU_DEP_3) | instskip(SKIP_1) | instid1(VALU_DEP_3)
	v_lshl_add_u64 v[6:7], s[26:27], 1, v[8:9]
	v_lshlrev_b64_e32 v[8:9], 2, v[12:13]
	v_cmp_ne_u32_e64 s0, 1, v14
	v_lshl_add_u64 v[10:11], s[8:9], 1, v[10:11]
	s_lshl_b64 s[8:9], s[22:23], 2
	s_branch .LBB178_3
.LBB178_2:                              ;   in Loop: Header=BB178_3 Depth=1
	s_add_co_i32 s2, s2, 0x10000
	s_delay_alu instid0(SALU_CYCLE_1)
	s_cmp_lt_i32 s2, s31
	s_cbranch_scc0 .LBB178_10
.LBB178_3:                              ; =>This Loop Header: Depth=1
                                        ;     Child Loop BB178_5 Depth 2
	v_dual_mov_b32 v14, s2 :: v_dual_mov_b32 v19, 0
	v_dual_mov_b32 v18, 0 :: v_dual_mov_b32 v15, 0
	s_and_b32 vcc_lo, exec_lo, s0
	s_clause 0x1
	global_load_b64 v[12:13], v14, s[12:13] scale_offset
	global_load_b64 v[16:17], v14, s[18:19] scale_offset
	s_wait_xcnt 0x0
	v_mov_b32_e32 v14, 0
	s_cbranch_vccnz .LBB178_6
; %bb.4:                                ;   in Loop: Header=BB178_3 Depth=1
	s_lshl_b64 s[22:23], s[2:3], 3
	v_mov_b32_e32 v14, 0
	s_add_nc_u64 s[26:27], s[10:11], s[22:23]
	s_add_nc_u64 s[22:23], s[4:5], s[22:23]
	s_clause 0x1
	global_load_b64 v[18:19], v3, s[26:27]
	global_load_b64 v[22:23], v3, s[22:23]
	s_wait_xcnt 0x0
	s_mov_b64 s[22:23], 0
	v_mov_b32_e32 v15, v14
	s_wait_loadcnt 0x1
	v_add_nc_u64_e32 v[20:21], v[18:19], v[6:7]
	s_wait_loadcnt 0x0
	v_add_nc_u64_e32 v[22:23], v[22:23], v[10:11]
	v_dual_mov_b32 v18, v14 :: v_dual_mov_b32 v19, v14
.LBB178_5:                              ;   Parent Loop BB178_3 Depth=1
                                        ; =>  This Inner Loop Header: Depth=2
	flat_load_u16 v27, v[22:23]
	flat_load_u16 v28, v[20:21]
	s_add_nc_u64 s[22:23], s[22:23], 8
	s_wait_xcnt 0x0
	v_add_nc_u64_e32 v[20:21], s[24:25], v[20:21]
	v_cmp_lt_i64_e64 s26, s[22:23], s[28:29]
	v_add_nc_u64_e32 v[22:23], s[6:7], v[22:23]
	s_and_b32 vcc_lo, exec_lo, s26
	s_wait_loadcnt_dscnt 0x0
	v_dual_lshlrev_b32 v27, 16, v27 :: v_dual_lshlrev_b32 v28, 16, v28
	ds_store_b32 v24, v27
	ds_store_b32 v25, v28
	s_wait_dscnt 0x0
	s_barrier_signal -1
	s_barrier_wait -1
	ds_load_2addr_b32 v[44:45], v26 offset1:16
	ds_load_2addr_b32 v[46:47], v26 offset0:32 offset1:48
	ds_load_b128 v[28:31], v2
	ds_load_2addr_b32 v[48:49], v26 offset0:64 offset1:80
	ds_load_b128 v[32:35], v2 offset:512
	ds_load_2addr_b32 v[50:51], v26 offset0:96 offset1:112
	ds_load_b128 v[36:39], v2 offset:16
	;; [unrolled: 2-line block ×3, first 2 shown]
	ds_load_2addr_b32 v[54:55], v26 offset0:160 offset1:176
	ds_load_2addr_b32 v[56:57], v26 offset0:192 offset1:208
	;; [unrolled: 1-line block ×3, first 2 shown]
	s_wait_dscnt 0x0
	s_barrier_signal -1
	s_barrier_wait -1
	v_dual_mov_b32 v60, v45 :: v_dual_mov_b32 v61, v44
	v_dual_mov_b32 v44, v47 :: v_dual_mov_b32 v45, v46
	v_dual_mov_b32 v46, v49 :: v_dual_mov_b32 v47, v48
	s_delay_alu instid0(VALU_DEP_3) | instskip(SKIP_3) | instid1(VALU_DEP_4)
	v_pk_fma_f32 v[18:19], v[60:61], v[28:29], v[18:19] op_sel_hi:[1,0,1]
	v_pk_fma_f32 v[14:15], v[60:61], v[32:33], v[14:15] op_sel_hi:[1,0,1]
	v_dual_mov_b32 v48, v51 :: v_dual_mov_b32 v49, v50
	v_mov_b32_e32 v50, v31
	v_pk_fma_f32 v[18:19], v[44:45], v[28:29], v[18:19] op_sel:[0,1,0]
	s_delay_alu instid0(VALU_DEP_4) | instskip(SKIP_2) | instid1(VALU_DEP_4)
	v_pk_fma_f32 v[14:15], v[44:45], v[32:33], v[14:15] op_sel:[0,1,0]
	v_dual_mov_b32 v28, v35 :: v_dual_mov_b32 v32, v59
	v_mov_b32_e32 v33, v58
	v_pk_fma_f32 v[18:19], v[46:47], v[30:31], v[18:19] op_sel_hi:[1,0,1]
	s_delay_alu instid0(VALU_DEP_4) | instskip(SKIP_2) | instid1(VALU_DEP_4)
	v_pk_fma_f32 v[14:15], v[46:47], v[34:35], v[14:15] op_sel_hi:[1,0,1]
	v_dual_mov_b32 v30, v53 :: v_dual_mov_b32 v31, v52
	v_mov_b32_e32 v34, v43
	v_pk_fma_f32 v[18:19], v[48:49], v[50:51], v[18:19] op_sel_hi:[1,0,1]
	s_delay_alu instid0(VALU_DEP_4) | instskip(SKIP_1) | instid1(VALU_DEP_3)
	v_pk_fma_f32 v[14:15], v[48:49], v[28:29], v[14:15] op_sel_hi:[1,0,1]
	v_dual_mov_b32 v28, v55 :: v_dual_mov_b32 v29, v54
	v_pk_fma_f32 v[18:19], v[30:31], v[36:37], v[18:19] op_sel_hi:[1,0,1]
	s_delay_alu instid0(VALU_DEP_3) | instskip(SKIP_1) | instid1(VALU_DEP_3)
	v_pk_fma_f32 v[14:15], v[30:31], v[40:41], v[14:15] op_sel_hi:[1,0,1]
	v_dual_mov_b32 v30, v57 :: v_dual_mov_b32 v31, v56
	v_pk_fma_f32 v[18:19], v[28:29], v[36:37], v[18:19] op_sel:[0,1,0]
	s_delay_alu instid0(VALU_DEP_3) | instskip(SKIP_1) | instid1(VALU_DEP_3)
	v_pk_fma_f32 v[14:15], v[28:29], v[40:41], v[14:15] op_sel:[0,1,0]
	v_mov_b32_e32 v28, v39
	v_pk_fma_f32 v[18:19], v[30:31], v[38:39], v[18:19] op_sel_hi:[1,0,1]
	s_delay_alu instid0(VALU_DEP_3) | instskip(NEXT) | instid1(VALU_DEP_2)
	v_pk_fma_f32 v[14:15], v[30:31], v[42:43], v[14:15] op_sel_hi:[1,0,1]
	v_pk_fma_f32 v[18:19], v[32:33], v[28:29], v[18:19] op_sel_hi:[1,0,1]
	s_delay_alu instid0(VALU_DEP_2)
	v_pk_fma_f32 v[14:15], v[32:33], v[34:35], v[14:15] op_sel_hi:[1,0,1]
	s_cbranch_vccnz .LBB178_5
.LBB178_6:                              ;   in Loop: Header=BB178_3 Depth=1
	s_wait_loadcnt 0x0
	v_add_nc_u64_e32 v[16:17], s[8:9], v[16:17]
	s_and_not1_b32 vcc_lo, exec_lo, s1
	s_delay_alu instid0(VALU_DEP_1) | instskip(NEXT) | instid1(VALU_DEP_1)
	v_lshl_add_u64 v[16:17], v[0:1], 2, v[16:17]
	v_add_nc_u64_e32 v[20:21], v[16:17], v[8:9]
	v_lshl_add_u64 v[16:17], s[20:21], 2, v[16:17]
	s_cbranch_vccnz .LBB178_8
; %bb.7:                                ;   in Loop: Header=BB178_3 Depth=1
	s_delay_alu instid0(VALU_DEP_1)
	v_add_nc_u64_e32 v[22:23], v[16:17], v[8:9]
	v_dual_mul_f32 v27, s30, v19 :: v_dual_mul_f32 v28, s30, v18
	v_dual_mul_f32 v29, s30, v15 :: v_dual_mul_f32 v30, s30, v14
	s_clause 0x3
	flat_store_b32 v[20:21], v27
	flat_store_b32 v[20:21], v28 offset:64
	flat_store_b32 v[22:23], v29
	flat_store_b32 v[22:23], v30 offset:64
	s_cbranch_execnz .LBB178_2
	s_branch .LBB178_9
.LBB178_8:                              ;   in Loop: Header=BB178_3 Depth=1
.LBB178_9:                              ;   in Loop: Header=BB178_3 Depth=1
	v_add_nc_u64_e32 v[12:13], s[16:17], v[12:13]
	s_delay_alu instid0(VALU_DEP_2) | instskip(NEXT) | instid1(VALU_DEP_2)
	v_add_nc_u64_e32 v[16:17], v[16:17], v[8:9]
	v_lshl_add_u64 v[12:13], v[4:5], 2, v[12:13]
	s_wait_xcnt 0x0
	s_delay_alu instid0(VALU_DEP_1) | instskip(SKIP_1) | instid1(VALU_DEP_1)
	v_add_nc_u64_e32 v[22:23], v[12:13], v[8:9]
	v_lshl_add_u64 v[12:13], s[14:15], 2, v[12:13]
	v_add_nc_u64_e32 v[12:13], v[12:13], v[8:9]
	flat_load_b32 v27, v[22:23]
	s_wait_loadcnt_dscnt 0x0
	v_mul_f32_e32 v27, s33, v27
	s_delay_alu instid0(VALU_DEP_1) | instskip(SKIP_4) | instid1(VALU_DEP_1)
	v_fmac_f32_e32 v27, s30, v19
	flat_store_b32 v[20:21], v27
	flat_load_b32 v19, v[22:23] offset:64
	s_wait_loadcnt_dscnt 0x0
	v_mul_f32_e32 v19, s33, v19
	v_fmac_f32_e32 v19, s30, v18
	flat_store_b32 v[20:21], v19 offset:64
	flat_load_b32 v18, v[12:13]
	s_wait_loadcnt_dscnt 0x0
	v_mul_f32_e32 v18, s33, v18
	s_delay_alu instid0(VALU_DEP_1)
	v_fmac_f32_e32 v18, s30, v15
	flat_store_b32 v[16:17], v18
	flat_load_b32 v12, v[12:13] offset:64
	s_wait_loadcnt_dscnt 0x0
	s_wait_xcnt 0x0
	v_mul_f32_e32 v12, s33, v12
	s_delay_alu instid0(VALU_DEP_1)
	v_fmac_f32_e32 v12, s30, v14
	flat_store_b32 v[16:17], v12 offset:64
	s_branch .LBB178_2
.LBB178_10:
	s_endpgm
	.section	.rodata,"a",@progbits
	.p2align	6, 0x0
	.amdhsa_kernel _ZN12_GLOBAL__N_127rocblas_gemm_batched_kernelIfLi16ELi16ELi32ELi32ELi8ELi32ELi8ELi8ELi32ELc78ELc84EKPK16rocblas_bfloat16KPKfKPfEEvlllT_PT11_llSC_llSA_PT12_llPT13_lli
		.amdhsa_group_segment_fixed_size 2048
		.amdhsa_private_segment_fixed_size 0
		.amdhsa_kernarg_size 140
		.amdhsa_user_sgpr_count 2
		.amdhsa_user_sgpr_dispatch_ptr 0
		.amdhsa_user_sgpr_queue_ptr 0
		.amdhsa_user_sgpr_kernarg_segment_ptr 1
		.amdhsa_user_sgpr_dispatch_id 0
		.amdhsa_user_sgpr_kernarg_preload_length 0
		.amdhsa_user_sgpr_kernarg_preload_offset 0
		.amdhsa_user_sgpr_private_segment_size 0
		.amdhsa_wavefront_size32 1
		.amdhsa_uses_dynamic_stack 0
		.amdhsa_enable_private_segment 0
		.amdhsa_system_sgpr_workgroup_id_x 1
		.amdhsa_system_sgpr_workgroup_id_y 1
		.amdhsa_system_sgpr_workgroup_id_z 1
		.amdhsa_system_sgpr_workgroup_info 0
		.amdhsa_system_vgpr_workitem_id 1
		.amdhsa_next_free_vgpr 62
		.amdhsa_next_free_sgpr 38
		.amdhsa_named_barrier_count 0
		.amdhsa_reserve_vcc 1
		.amdhsa_float_round_mode_32 0
		.amdhsa_float_round_mode_16_64 0
		.amdhsa_float_denorm_mode_32 3
		.amdhsa_float_denorm_mode_16_64 3
		.amdhsa_fp16_overflow 0
		.amdhsa_memory_ordered 1
		.amdhsa_forward_progress 1
		.amdhsa_inst_pref_size 12
		.amdhsa_round_robin_scheduling 0
		.amdhsa_exception_fp_ieee_invalid_op 0
		.amdhsa_exception_fp_denorm_src 0
		.amdhsa_exception_fp_ieee_div_zero 0
		.amdhsa_exception_fp_ieee_overflow 0
		.amdhsa_exception_fp_ieee_underflow 0
		.amdhsa_exception_fp_ieee_inexact 0
		.amdhsa_exception_int_div_zero 0
	.end_amdhsa_kernel
	.section	.text._ZN12_GLOBAL__N_127rocblas_gemm_batched_kernelIfLi16ELi16ELi32ELi32ELi8ELi32ELi8ELi8ELi32ELc78ELc84EKPK16rocblas_bfloat16KPKfKPfEEvlllT_PT11_llSC_llSA_PT12_llPT13_lli,"axG",@progbits,_ZN12_GLOBAL__N_127rocblas_gemm_batched_kernelIfLi16ELi16ELi32ELi32ELi8ELi32ELi8ELi8ELi32ELc78ELc84EKPK16rocblas_bfloat16KPKfKPfEEvlllT_PT11_llSC_llSA_PT12_llPT13_lli,comdat
.Lfunc_end178:
	.size	_ZN12_GLOBAL__N_127rocblas_gemm_batched_kernelIfLi16ELi16ELi32ELi32ELi8ELi32ELi8ELi8ELi32ELc78ELc84EKPK16rocblas_bfloat16KPKfKPfEEvlllT_PT11_llSC_llSA_PT12_llPT13_lli, .Lfunc_end178-_ZN12_GLOBAL__N_127rocblas_gemm_batched_kernelIfLi16ELi16ELi32ELi32ELi8ELi32ELi8ELi8ELi32ELc78ELc84EKPK16rocblas_bfloat16KPKfKPfEEvlllT_PT11_llSC_llSA_PT12_llPT13_lli
                                        ; -- End function
	.set _ZN12_GLOBAL__N_127rocblas_gemm_batched_kernelIfLi16ELi16ELi32ELi32ELi8ELi32ELi8ELi8ELi32ELc78ELc84EKPK16rocblas_bfloat16KPKfKPfEEvlllT_PT11_llSC_llSA_PT12_llPT13_lli.num_vgpr, 62
	.set _ZN12_GLOBAL__N_127rocblas_gemm_batched_kernelIfLi16ELi16ELi32ELi32ELi8ELi32ELi8ELi8ELi32ELc78ELc84EKPK16rocblas_bfloat16KPKfKPfEEvlllT_PT11_llSC_llSA_PT12_llPT13_lli.num_agpr, 0
	.set _ZN12_GLOBAL__N_127rocblas_gemm_batched_kernelIfLi16ELi16ELi32ELi32ELi8ELi32ELi8ELi8ELi32ELc78ELc84EKPK16rocblas_bfloat16KPKfKPfEEvlllT_PT11_llSC_llSA_PT12_llPT13_lli.numbered_sgpr, 38
	.set _ZN12_GLOBAL__N_127rocblas_gemm_batched_kernelIfLi16ELi16ELi32ELi32ELi8ELi32ELi8ELi8ELi32ELc78ELc84EKPK16rocblas_bfloat16KPKfKPfEEvlllT_PT11_llSC_llSA_PT12_llPT13_lli.num_named_barrier, 0
	.set _ZN12_GLOBAL__N_127rocblas_gemm_batched_kernelIfLi16ELi16ELi32ELi32ELi8ELi32ELi8ELi8ELi32ELc78ELc84EKPK16rocblas_bfloat16KPKfKPfEEvlllT_PT11_llSC_llSA_PT12_llPT13_lli.private_seg_size, 0
	.set _ZN12_GLOBAL__N_127rocblas_gemm_batched_kernelIfLi16ELi16ELi32ELi32ELi8ELi32ELi8ELi8ELi32ELc78ELc84EKPK16rocblas_bfloat16KPKfKPfEEvlllT_PT11_llSC_llSA_PT12_llPT13_lli.uses_vcc, 1
	.set _ZN12_GLOBAL__N_127rocblas_gemm_batched_kernelIfLi16ELi16ELi32ELi32ELi8ELi32ELi8ELi8ELi32ELc78ELc84EKPK16rocblas_bfloat16KPKfKPfEEvlllT_PT11_llSC_llSA_PT12_llPT13_lli.uses_flat_scratch, 1
	.set _ZN12_GLOBAL__N_127rocblas_gemm_batched_kernelIfLi16ELi16ELi32ELi32ELi8ELi32ELi8ELi8ELi32ELc78ELc84EKPK16rocblas_bfloat16KPKfKPfEEvlllT_PT11_llSC_llSA_PT12_llPT13_lli.has_dyn_sized_stack, 0
	.set _ZN12_GLOBAL__N_127rocblas_gemm_batched_kernelIfLi16ELi16ELi32ELi32ELi8ELi32ELi8ELi8ELi32ELc78ELc84EKPK16rocblas_bfloat16KPKfKPfEEvlllT_PT11_llSC_llSA_PT12_llPT13_lli.has_recursion, 0
	.set _ZN12_GLOBAL__N_127rocblas_gemm_batched_kernelIfLi16ELi16ELi32ELi32ELi8ELi32ELi8ELi8ELi32ELc78ELc84EKPK16rocblas_bfloat16KPKfKPfEEvlllT_PT11_llSC_llSA_PT12_llPT13_lli.has_indirect_call, 0
	.section	.AMDGPU.csdata,"",@progbits
; Kernel info:
; codeLenInByte = 1440
; TotalNumSgprs: 40
; NumVgprs: 62
; ScratchSize: 0
; MemoryBound: 0
; FloatMode: 240
; IeeeMode: 1
; LDSByteSize: 2048 bytes/workgroup (compile time only)
; SGPRBlocks: 0
; VGPRBlocks: 3
; NumSGPRsForWavesPerEU: 40
; NumVGPRsForWavesPerEU: 62
; NamedBarCnt: 0
; Occupancy: 16
; WaveLimiterHint : 1
; COMPUTE_PGM_RSRC2:SCRATCH_EN: 0
; COMPUTE_PGM_RSRC2:USER_SGPR: 2
; COMPUTE_PGM_RSRC2:TRAP_HANDLER: 0
; COMPUTE_PGM_RSRC2:TGID_X_EN: 1
; COMPUTE_PGM_RSRC2:TGID_Y_EN: 1
; COMPUTE_PGM_RSRC2:TGID_Z_EN: 1
; COMPUTE_PGM_RSRC2:TIDIG_COMP_CNT: 1
	.section	.text._ZN12_GLOBAL__N_127rocblas_gemm_batched_kernelIfLi16ELi16ELi32ELi32ELi8ELi32ELi8ELi8ELi32ELc84ELc84EKPK16rocblas_bfloat16KPKfKPfEEvlllT_PT11_llSC_llSA_PT12_llPT13_lli,"axG",@progbits,_ZN12_GLOBAL__N_127rocblas_gemm_batched_kernelIfLi16ELi16ELi32ELi32ELi8ELi32ELi8ELi8ELi32ELc84ELc84EKPK16rocblas_bfloat16KPKfKPfEEvlllT_PT11_llSC_llSA_PT12_llPT13_lli,comdat
	.globl	_ZN12_GLOBAL__N_127rocblas_gemm_batched_kernelIfLi16ELi16ELi32ELi32ELi8ELi32ELi8ELi8ELi32ELc84ELc84EKPK16rocblas_bfloat16KPKfKPfEEvlllT_PT11_llSC_llSA_PT12_llPT13_lli ; -- Begin function _ZN12_GLOBAL__N_127rocblas_gemm_batched_kernelIfLi16ELi16ELi32ELi32ELi8ELi32ELi8ELi8ELi32ELc84ELc84EKPK16rocblas_bfloat16KPKfKPfEEvlllT_PT11_llSC_llSA_PT12_llPT13_lli
	.p2align	8
	.type	_ZN12_GLOBAL__N_127rocblas_gemm_batched_kernelIfLi16ELi16ELi32ELi32ELi8ELi32ELi8ELi8ELi32ELc84ELc84EKPK16rocblas_bfloat16KPKfKPfEEvlllT_PT11_llSC_llSA_PT12_llPT13_lli,@function
_ZN12_GLOBAL__N_127rocblas_gemm_batched_kernelIfLi16ELi16ELi32ELi32ELi8ELi32ELi8ELi8ELi32ELc84ELc84EKPK16rocblas_bfloat16KPKfKPfEEvlllT_PT11_llSC_llSA_PT12_llPT13_lli: ; @_ZN12_GLOBAL__N_127rocblas_gemm_batched_kernelIfLi16ELi16ELi32ELi32ELi8ELi32ELi8ELi8ELi32ELc84ELc84EKPK16rocblas_bfloat16KPKfKPfEEvlllT_PT11_llSC_llSA_PT12_llPT13_lli
; %bb.0:
	s_load_b32 s31, s[0:1], 0x88
	s_bfe_u32 s2, ttmp6, 0x40014
	s_lshr_b32 s3, ttmp7, 16
	s_add_co_i32 s2, s2, 1
	s_bfe_u32 s4, ttmp6, 0x40008
	s_mul_i32 s2, s3, s2
	s_getreg_b32 s28, hwreg(HW_REG_IB_STS2, 6, 4)
	s_add_co_i32 s4, s4, s2
	s_cmp_eq_u32 s28, 0
	s_cselect_b32 s2, s3, s4
	s_mov_b32 s3, 0
	s_wait_kmcnt 0x0
	s_cmp_ge_i32 s2, s31
	s_cbranch_scc1 .LBB179_10
; %bb.1:
	v_bfe_u32 v2, v0, 10, 10
	v_and_b32_e32 v6, 0x3ff, v0
	s_bfe_u32 s29, ttmp6, 0x4000c
	s_bfe_u32 s33, ttmp6, 0x40010
	s_add_co_i32 s29, s29, 1
	s_and_b32 s34, ttmp7, 0xffff
	s_add_co_i32 s33, s33, 1
	s_clause 0x3
	s_load_b256 s[4:11], s[0:1], 0x20
	s_load_b128 s[24:27], s[0:1], 0x40
	s_load_b128 s[20:23], s[0:1], 0x78
	s_load_b256 s[12:19], s[0:1], 0x58
	s_and_b32 s30, ttmp6, 15
	s_mul_i32 s29, ttmp9, s29
	s_mul_i32 s33, s34, s33
	s_bfe_u32 s35, ttmp6, 0x40004
	v_lshl_add_u32 v7, v2, 4, v6
	s_add_co_i32 s30, s30, s29
	s_add_co_i32 s35, s35, s33
	s_cmp_eq_u32 s28, 0
	s_delay_alu instid0(VALU_DEP_1)
	v_dual_mov_b32 v3, 0 :: v_dual_bitop2_b32 v14, 31, v7 bitop3:0x40
	s_cselect_b32 s28, ttmp9, s30
	s_cselect_b32 s30, s34, s35
	s_ashr_i32 s29, s28, 31
	v_lshrrev_b32_e32 v8, 3, v7
	s_lshl_b64 s[34:35], s[28:29], 5
	s_delay_alu instid0(SALU_CYCLE_1)
	v_dual_mov_b32 v1, s35 :: v_dual_bitop2_b32 v15, 7, v0 bitop3:0x40
	v_dual_mov_b32 v9, v3 :: v_dual_bitop2_b32 v0, s34, v14 bitop3:0x54
	v_lshrrev_b32_e32 v16, 5, v7
	s_load_b32 s33, s[0:1], 0x50
	v_lshlrev_b32_e32 v14, 2, v14
	s_wait_kmcnt 0x0
	v_mul_u64_e32 v[10:11], s[6:7], v[0:1]
	s_lshl_b32 s6, s30, 5
	v_mad_nc_u64_u32 v[12:13], s24, v15, v[8:9]
	s_mov_b32 s7, s3
	s_load_b96 s[28:30], s[0:1], 0x10
	v_add_nc_u64_e32 v[4:5], s[6:7], v[2:3]
	v_dual_lshlrev_b32 v9, 2, v15 :: v_dual_mov_b32 v7, v3
	v_lshlrev_b32_e32 v26, 2, v6
	v_lshl_or_b32 v24, v16, 7, v14
	v_lshl_add_u32 v27, v2, 5, 0x400
	v_lshlrev_b32_e32 v2, 1, v16
	v_mul_u64_e32 v[0:1], s[20:21], v[4:5]
	v_mul_u64_e32 v[4:5], s[14:15], v[4:5]
	v_mad_u32 v13, s25, v15, v13
	v_lshl_or_b32 v15, v8, 5, v9
	s_cmp_eq_f32 s33, 0
	s_delay_alu instid0(VALU_DEP_1)
	v_add_nc_u32_e32 v25, 0x400, v15
	s_wait_xcnt 0x0
	s_cselect_b32 s1, -1, 0
	s_lshl_b64 s[16:17], s[16:17], 2
	s_wait_kmcnt 0x0
	v_cmp_gt_i64_e64 s0, s[28:29], 0
	s_delay_alu instid0(VALU_DEP_4)
	v_add_nc_u64_e32 v[8:9], s[6:7], v[12:13]
	v_add_nc_u64_e32 v[12:13], s[34:35], v[6:7]
	s_lshl_b64 s[6:7], s[8:9], 1
	s_lshl_b64 s[8:9], s[14:15], 4
	;; [unrolled: 1-line block ×3, first 2 shown]
	v_cndmask_b32_e64 v16, 0, 1, s0
	s_delay_alu instid0(VALU_DEP_3)
	v_lshlrev_b64_e32 v[14:15], 1, v[8:9]
	v_lshl_add_u64 v[6:7], v[10:11], 1, s[6:7]
	v_lshlrev_b64_e32 v[8:9], 2, v[12:13]
	s_lshl_b64 s[6:7], s[20:21], 4
	v_cmp_ne_u32_e64 s0, 1, v16
	s_lshl_b64 s[20:21], s[22:23], 2
	v_add_nc_u64_e32 v[6:7], v[6:7], v[2:3]
	v_lshl_add_u64 v[10:11], s[26:27], 1, v[14:15]
	s_branch .LBB179_3
.LBB179_2:                              ;   in Loop: Header=BB179_3 Depth=1
	s_add_co_i32 s2, s2, 0x10000
	s_delay_alu instid0(SALU_CYCLE_1)
	s_cmp_lt_i32 s2, s31
	s_cbranch_scc0 .LBB179_10
.LBB179_3:                              ; =>This Loop Header: Depth=1
                                        ;     Child Loop BB179_5 Depth 2
	s_wait_xcnt 0x0
	v_dual_mov_b32 v2, s2 :: v_dual_mov_b32 v19, 0
	v_dual_mov_b32 v18, 0 :: v_dual_mov_b32 v15, 0
	v_mov_b32_e32 v14, 0
	s_clause 0x1
	global_load_b64 v[12:13], v2, s[12:13] scale_offset
	global_load_b64 v[16:17], v2, s[18:19] scale_offset
	s_and_b32 vcc_lo, exec_lo, s0
	s_cbranch_vccnz .LBB179_6
; %bb.4:                                ;   in Loop: Header=BB179_3 Depth=1
	s_lshl_b64 s[22:23], s[2:3], 3
	v_mov_b32_e32 v14, 0
	s_add_nc_u64 s[24:25], s[10:11], s[22:23]
	s_add_nc_u64 s[22:23], s[4:5], s[22:23]
	s_clause 0x1
	global_load_b64 v[18:19], v3, s[24:25]
	global_load_b64 v[22:23], v3, s[22:23]
	s_wait_xcnt 0x0
	s_mov_b64 s[22:23], 0
	v_mov_b32_e32 v15, v14
	s_wait_loadcnt 0x1
	v_add_nc_u64_e32 v[20:21], v[18:19], v[10:11]
	s_wait_loadcnt 0x0
	v_add_nc_u64_e32 v[22:23], v[22:23], v[6:7]
	v_dual_mov_b32 v18, v14 :: v_dual_mov_b32 v19, v14
.LBB179_5:                              ;   Parent Loop BB179_3 Depth=1
                                        ; =>  This Inner Loop Header: Depth=2
	flat_load_u16 v2, v[22:23]
	flat_load_u16 v28, v[20:21]
	s_add_nc_u64 s[22:23], s[22:23], 8
	s_wait_xcnt 0x0
	v_add_nc_u64_e32 v[20:21], s[14:15], v[20:21]
	v_cmp_lt_i64_e64 s24, s[22:23], s[28:29]
	v_add_nc_u64_e32 v[22:23], 16, v[22:23]
	s_and_b32 vcc_lo, exec_lo, s24
	s_wait_loadcnt_dscnt 0x0
	v_dual_lshlrev_b32 v2, 16, v2 :: v_dual_lshlrev_b32 v28, 16, v28
	ds_store_b32 v24, v2
	ds_store_b32 v25, v28
	s_wait_dscnt 0x0
	s_barrier_signal -1
	s_barrier_wait -1
	ds_load_2addr_b32 v[44:45], v26 offset1:16
	ds_load_2addr_b32 v[46:47], v26 offset0:32 offset1:48
	ds_load_b128 v[28:31], v27
	ds_load_2addr_b32 v[48:49], v26 offset0:64 offset1:80
	ds_load_b128 v[32:35], v27 offset:512
	ds_load_2addr_b32 v[50:51], v26 offset0:96 offset1:112
	ds_load_b128 v[36:39], v27 offset:16
	;; [unrolled: 2-line block ×3, first 2 shown]
	ds_load_2addr_b32 v[54:55], v26 offset0:160 offset1:176
	ds_load_2addr_b32 v[56:57], v26 offset0:192 offset1:208
	;; [unrolled: 1-line block ×3, first 2 shown]
	s_wait_dscnt 0x0
	s_barrier_signal -1
	s_barrier_wait -1
	v_dual_mov_b32 v60, v45 :: v_dual_mov_b32 v61, v44
	v_dual_mov_b32 v44, v47 :: v_dual_mov_b32 v45, v46
	;; [unrolled: 1-line block ×3, first 2 shown]
	s_delay_alu instid0(VALU_DEP_3) | instskip(SKIP_3) | instid1(VALU_DEP_4)
	v_pk_fma_f32 v[18:19], v[60:61], v[28:29], v[18:19] op_sel_hi:[1,0,1]
	v_pk_fma_f32 v[14:15], v[60:61], v[32:33], v[14:15] op_sel_hi:[1,0,1]
	v_dual_mov_b32 v48, v51 :: v_dual_mov_b32 v49, v50
	v_mov_b32_e32 v2, v31
	v_pk_fma_f32 v[18:19], v[44:45], v[28:29], v[18:19] op_sel:[0,1,0]
	s_delay_alu instid0(VALU_DEP_4) | instskip(SKIP_2) | instid1(VALU_DEP_4)
	v_pk_fma_f32 v[14:15], v[44:45], v[32:33], v[14:15] op_sel:[0,1,0]
	v_dual_mov_b32 v28, v35 :: v_dual_mov_b32 v32, v59
	v_mov_b32_e32 v33, v58
	v_pk_fma_f32 v[18:19], v[46:47], v[30:31], v[18:19] op_sel_hi:[1,0,1]
	s_delay_alu instid0(VALU_DEP_4) | instskip(SKIP_1) | instid1(VALU_DEP_3)
	v_pk_fma_f32 v[14:15], v[46:47], v[34:35], v[14:15] op_sel_hi:[1,0,1]
	v_dual_mov_b32 v30, v53 :: v_dual_mov_b32 v31, v52
	v_pk_fma_f32 v[18:19], v[48:49], v[2:3], v[18:19] op_sel_hi:[1,0,1]
	s_delay_alu instid0(VALU_DEP_3) | instskip(SKIP_2) | instid1(VALU_DEP_4)
	v_pk_fma_f32 v[14:15], v[48:49], v[28:29], v[14:15] op_sel_hi:[1,0,1]
	v_dual_mov_b32 v28, v55 :: v_dual_mov_b32 v29, v54
	v_mov_b32_e32 v2, v39
	v_pk_fma_f32 v[18:19], v[30:31], v[36:37], v[18:19] op_sel_hi:[1,0,1]
	s_delay_alu instid0(VALU_DEP_4) | instskip(SKIP_1) | instid1(VALU_DEP_3)
	v_pk_fma_f32 v[14:15], v[30:31], v[40:41], v[14:15] op_sel_hi:[1,0,1]
	v_dual_mov_b32 v30, v57 :: v_dual_mov_b32 v31, v56
	v_pk_fma_f32 v[18:19], v[28:29], v[36:37], v[18:19] op_sel:[0,1,0]
	s_delay_alu instid0(VALU_DEP_3) | instskip(SKIP_1) | instid1(VALU_DEP_3)
	v_pk_fma_f32 v[14:15], v[28:29], v[40:41], v[14:15] op_sel:[0,1,0]
	v_mov_b32_e32 v28, v43
	v_pk_fma_f32 v[18:19], v[30:31], v[38:39], v[18:19] op_sel_hi:[1,0,1]
	s_delay_alu instid0(VALU_DEP_3) | instskip(NEXT) | instid1(VALU_DEP_2)
	v_pk_fma_f32 v[14:15], v[30:31], v[42:43], v[14:15] op_sel_hi:[1,0,1]
	v_pk_fma_f32 v[18:19], v[32:33], v[2:3], v[18:19] op_sel_hi:[1,0,1]
	s_delay_alu instid0(VALU_DEP_2)
	v_pk_fma_f32 v[14:15], v[32:33], v[28:29], v[14:15] op_sel_hi:[1,0,1]
	s_cbranch_vccnz .LBB179_5
.LBB179_6:                              ;   in Loop: Header=BB179_3 Depth=1
	s_wait_loadcnt 0x0
	v_add_nc_u64_e32 v[16:17], s[20:21], v[16:17]
	s_and_not1_b32 vcc_lo, exec_lo, s1
	s_delay_alu instid0(VALU_DEP_1) | instskip(NEXT) | instid1(VALU_DEP_1)
	v_lshl_add_u64 v[16:17], v[0:1], 2, v[16:17]
	v_add_nc_u64_e32 v[20:21], v[16:17], v[8:9]
	v_lshl_add_u64 v[16:17], s[6:7], 2, v[16:17]
	s_cbranch_vccnz .LBB179_8
; %bb.7:                                ;   in Loop: Header=BB179_3 Depth=1
	s_delay_alu instid0(VALU_DEP_1)
	v_add_nc_u64_e32 v[22:23], v[16:17], v[8:9]
	s_wait_xcnt 0x0
	v_dual_mul_f32 v2, s30, v19 :: v_dual_mul_f32 v28, s30, v18
	v_dual_mul_f32 v29, s30, v15 :: v_dual_mul_f32 v30, s30, v14
	s_clause 0x3
	flat_store_b32 v[20:21], v2
	flat_store_b32 v[20:21], v28 offset:64
	flat_store_b32 v[22:23], v29
	flat_store_b32 v[22:23], v30 offset:64
	s_cbranch_execnz .LBB179_2
	s_branch .LBB179_9
.LBB179_8:                              ;   in Loop: Header=BB179_3 Depth=1
.LBB179_9:                              ;   in Loop: Header=BB179_3 Depth=1
	v_add_nc_u64_e32 v[12:13], s[16:17], v[12:13]
	s_delay_alu instid0(VALU_DEP_2) | instskip(NEXT) | instid1(VALU_DEP_2)
	v_add_nc_u64_e32 v[16:17], v[16:17], v[8:9]
	v_lshl_add_u64 v[12:13], v[4:5], 2, v[12:13]
	s_wait_xcnt 0x0
	s_delay_alu instid0(VALU_DEP_1) | instskip(SKIP_1) | instid1(VALU_DEP_1)
	v_add_nc_u64_e32 v[22:23], v[12:13], v[8:9]
	v_lshl_add_u64 v[12:13], s[8:9], 2, v[12:13]
	v_add_nc_u64_e32 v[12:13], v[12:13], v[8:9]
	flat_load_b32 v2, v[22:23]
	s_wait_loadcnt_dscnt 0x0
	v_mul_f32_e32 v2, s33, v2
	s_delay_alu instid0(VALU_DEP_1) | instskip(SKIP_4) | instid1(VALU_DEP_1)
	v_fmac_f32_e32 v2, s30, v19
	flat_store_b32 v[20:21], v2
	flat_load_b32 v2, v[22:23] offset:64
	s_wait_loadcnt_dscnt 0x0
	v_mul_f32_e32 v2, s33, v2
	v_fmac_f32_e32 v2, s30, v18
	flat_store_b32 v[20:21], v2 offset:64
	flat_load_b32 v2, v[12:13]
	s_wait_loadcnt_dscnt 0x0
	v_mul_f32_e32 v2, s33, v2
	s_delay_alu instid0(VALU_DEP_1) | instskip(SKIP_4) | instid1(VALU_DEP_1)
	v_fmac_f32_e32 v2, s30, v15
	flat_store_b32 v[16:17], v2
	flat_load_b32 v2, v[12:13] offset:64
	s_wait_loadcnt_dscnt 0x0
	v_mul_f32_e32 v2, s33, v2
	v_fmac_f32_e32 v2, s30, v14
	flat_store_b32 v[16:17], v2 offset:64
	s_branch .LBB179_2
.LBB179_10:
	s_endpgm
	.section	.rodata,"a",@progbits
	.p2align	6, 0x0
	.amdhsa_kernel _ZN12_GLOBAL__N_127rocblas_gemm_batched_kernelIfLi16ELi16ELi32ELi32ELi8ELi32ELi8ELi8ELi32ELc84ELc84EKPK16rocblas_bfloat16KPKfKPfEEvlllT_PT11_llSC_llSA_PT12_llPT13_lli
		.amdhsa_group_segment_fixed_size 2048
		.amdhsa_private_segment_fixed_size 0
		.amdhsa_kernarg_size 140
		.amdhsa_user_sgpr_count 2
		.amdhsa_user_sgpr_dispatch_ptr 0
		.amdhsa_user_sgpr_queue_ptr 0
		.amdhsa_user_sgpr_kernarg_segment_ptr 1
		.amdhsa_user_sgpr_dispatch_id 0
		.amdhsa_user_sgpr_kernarg_preload_length 0
		.amdhsa_user_sgpr_kernarg_preload_offset 0
		.amdhsa_user_sgpr_private_segment_size 0
		.amdhsa_wavefront_size32 1
		.amdhsa_uses_dynamic_stack 0
		.amdhsa_enable_private_segment 0
		.amdhsa_system_sgpr_workgroup_id_x 1
		.amdhsa_system_sgpr_workgroup_id_y 1
		.amdhsa_system_sgpr_workgroup_id_z 1
		.amdhsa_system_sgpr_workgroup_info 0
		.amdhsa_system_vgpr_workitem_id 1
		.amdhsa_next_free_vgpr 62
		.amdhsa_next_free_sgpr 36
		.amdhsa_named_barrier_count 0
		.amdhsa_reserve_vcc 1
		.amdhsa_float_round_mode_32 0
		.amdhsa_float_round_mode_16_64 0
		.amdhsa_float_denorm_mode_32 3
		.amdhsa_float_denorm_mode_16_64 3
		.amdhsa_fp16_overflow 0
		.amdhsa_memory_ordered 1
		.amdhsa_forward_progress 1
		.amdhsa_inst_pref_size 12
		.amdhsa_round_robin_scheduling 0
		.amdhsa_exception_fp_ieee_invalid_op 0
		.amdhsa_exception_fp_denorm_src 0
		.amdhsa_exception_fp_ieee_div_zero 0
		.amdhsa_exception_fp_ieee_overflow 0
		.amdhsa_exception_fp_ieee_underflow 0
		.amdhsa_exception_fp_ieee_inexact 0
		.amdhsa_exception_int_div_zero 0
	.end_amdhsa_kernel
	.section	.text._ZN12_GLOBAL__N_127rocblas_gemm_batched_kernelIfLi16ELi16ELi32ELi32ELi8ELi32ELi8ELi8ELi32ELc84ELc84EKPK16rocblas_bfloat16KPKfKPfEEvlllT_PT11_llSC_llSA_PT12_llPT13_lli,"axG",@progbits,_ZN12_GLOBAL__N_127rocblas_gemm_batched_kernelIfLi16ELi16ELi32ELi32ELi8ELi32ELi8ELi8ELi32ELc84ELc84EKPK16rocblas_bfloat16KPKfKPfEEvlllT_PT11_llSC_llSA_PT12_llPT13_lli,comdat
.Lfunc_end179:
	.size	_ZN12_GLOBAL__N_127rocblas_gemm_batched_kernelIfLi16ELi16ELi32ELi32ELi8ELi32ELi8ELi8ELi32ELc84ELc84EKPK16rocblas_bfloat16KPKfKPfEEvlllT_PT11_llSC_llSA_PT12_llPT13_lli, .Lfunc_end179-_ZN12_GLOBAL__N_127rocblas_gemm_batched_kernelIfLi16ELi16ELi32ELi32ELi8ELi32ELi8ELi8ELi32ELc84ELc84EKPK16rocblas_bfloat16KPKfKPfEEvlllT_PT11_llSC_llSA_PT12_llPT13_lli
                                        ; -- End function
	.set _ZN12_GLOBAL__N_127rocblas_gemm_batched_kernelIfLi16ELi16ELi32ELi32ELi8ELi32ELi8ELi8ELi32ELc84ELc84EKPK16rocblas_bfloat16KPKfKPfEEvlllT_PT11_llSC_llSA_PT12_llPT13_lli.num_vgpr, 62
	.set _ZN12_GLOBAL__N_127rocblas_gemm_batched_kernelIfLi16ELi16ELi32ELi32ELi8ELi32ELi8ELi8ELi32ELc84ELc84EKPK16rocblas_bfloat16KPKfKPfEEvlllT_PT11_llSC_llSA_PT12_llPT13_lli.num_agpr, 0
	.set _ZN12_GLOBAL__N_127rocblas_gemm_batched_kernelIfLi16ELi16ELi32ELi32ELi8ELi32ELi8ELi8ELi32ELc84ELc84EKPK16rocblas_bfloat16KPKfKPfEEvlllT_PT11_llSC_llSA_PT12_llPT13_lli.numbered_sgpr, 36
	.set _ZN12_GLOBAL__N_127rocblas_gemm_batched_kernelIfLi16ELi16ELi32ELi32ELi8ELi32ELi8ELi8ELi32ELc84ELc84EKPK16rocblas_bfloat16KPKfKPfEEvlllT_PT11_llSC_llSA_PT12_llPT13_lli.num_named_barrier, 0
	.set _ZN12_GLOBAL__N_127rocblas_gemm_batched_kernelIfLi16ELi16ELi32ELi32ELi8ELi32ELi8ELi8ELi32ELc84ELc84EKPK16rocblas_bfloat16KPKfKPfEEvlllT_PT11_llSC_llSA_PT12_llPT13_lli.private_seg_size, 0
	.set _ZN12_GLOBAL__N_127rocblas_gemm_batched_kernelIfLi16ELi16ELi32ELi32ELi8ELi32ELi8ELi8ELi32ELc84ELc84EKPK16rocblas_bfloat16KPKfKPfEEvlllT_PT11_llSC_llSA_PT12_llPT13_lli.uses_vcc, 1
	.set _ZN12_GLOBAL__N_127rocblas_gemm_batched_kernelIfLi16ELi16ELi32ELi32ELi8ELi32ELi8ELi8ELi32ELc84ELc84EKPK16rocblas_bfloat16KPKfKPfEEvlllT_PT11_llSC_llSA_PT12_llPT13_lli.uses_flat_scratch, 1
	.set _ZN12_GLOBAL__N_127rocblas_gemm_batched_kernelIfLi16ELi16ELi32ELi32ELi8ELi32ELi8ELi8ELi32ELc84ELc84EKPK16rocblas_bfloat16KPKfKPfEEvlllT_PT11_llSC_llSA_PT12_llPT13_lli.has_dyn_sized_stack, 0
	.set _ZN12_GLOBAL__N_127rocblas_gemm_batched_kernelIfLi16ELi16ELi32ELi32ELi8ELi32ELi8ELi8ELi32ELc84ELc84EKPK16rocblas_bfloat16KPKfKPfEEvlllT_PT11_llSC_llSA_PT12_llPT13_lli.has_recursion, 0
	.set _ZN12_GLOBAL__N_127rocblas_gemm_batched_kernelIfLi16ELi16ELi32ELi32ELi8ELi32ELi8ELi8ELi32ELc84ELc84EKPK16rocblas_bfloat16KPKfKPfEEvlllT_PT11_llSC_llSA_PT12_llPT13_lli.has_indirect_call, 0
	.section	.AMDGPU.csdata,"",@progbits
; Kernel info:
; codeLenInByte = 1444
; TotalNumSgprs: 38
; NumVgprs: 62
; ScratchSize: 0
; MemoryBound: 0
; FloatMode: 240
; IeeeMode: 1
; LDSByteSize: 2048 bytes/workgroup (compile time only)
; SGPRBlocks: 0
; VGPRBlocks: 3
; NumSGPRsForWavesPerEU: 38
; NumVGPRsForWavesPerEU: 62
; NamedBarCnt: 0
; Occupancy: 16
; WaveLimiterHint : 1
; COMPUTE_PGM_RSRC2:SCRATCH_EN: 0
; COMPUTE_PGM_RSRC2:USER_SGPR: 2
; COMPUTE_PGM_RSRC2:TRAP_HANDLER: 0
; COMPUTE_PGM_RSRC2:TGID_X_EN: 1
; COMPUTE_PGM_RSRC2:TGID_Y_EN: 1
; COMPUTE_PGM_RSRC2:TGID_Z_EN: 1
; COMPUTE_PGM_RSRC2:TIDIG_COMP_CNT: 1
	.section	.text._ZN12_GLOBAL__N_127rocblas_gemm_batched_kernelIfLi16ELi16ELi32ELi32ELi8ELi32ELi8ELi8ELi32ELc67ELc67EKPK16rocblas_bfloat16KPKfKPfEEvlllT_PT11_llSC_llSA_PT12_llPT13_lli,"axG",@progbits,_ZN12_GLOBAL__N_127rocblas_gemm_batched_kernelIfLi16ELi16ELi32ELi32ELi8ELi32ELi8ELi8ELi32ELc67ELc67EKPK16rocblas_bfloat16KPKfKPfEEvlllT_PT11_llSC_llSA_PT12_llPT13_lli,comdat
	.globl	_ZN12_GLOBAL__N_127rocblas_gemm_batched_kernelIfLi16ELi16ELi32ELi32ELi8ELi32ELi8ELi8ELi32ELc67ELc67EKPK16rocblas_bfloat16KPKfKPfEEvlllT_PT11_llSC_llSA_PT12_llPT13_lli ; -- Begin function _ZN12_GLOBAL__N_127rocblas_gemm_batched_kernelIfLi16ELi16ELi32ELi32ELi8ELi32ELi8ELi8ELi32ELc67ELc67EKPK16rocblas_bfloat16KPKfKPfEEvlllT_PT11_llSC_llSA_PT12_llPT13_lli
	.p2align	8
	.type	_ZN12_GLOBAL__N_127rocblas_gemm_batched_kernelIfLi16ELi16ELi32ELi32ELi8ELi32ELi8ELi8ELi32ELc67ELc67EKPK16rocblas_bfloat16KPKfKPfEEvlllT_PT11_llSC_llSA_PT12_llPT13_lli,@function
_ZN12_GLOBAL__N_127rocblas_gemm_batched_kernelIfLi16ELi16ELi32ELi32ELi8ELi32ELi8ELi8ELi32ELc67ELc67EKPK16rocblas_bfloat16KPKfKPfEEvlllT_PT11_llSC_llSA_PT12_llPT13_lli: ; @_ZN12_GLOBAL__N_127rocblas_gemm_batched_kernelIfLi16ELi16ELi32ELi32ELi8ELi32ELi8ELi8ELi32ELc67ELc67EKPK16rocblas_bfloat16KPKfKPfEEvlllT_PT11_llSC_llSA_PT12_llPT13_lli
; %bb.0:
	s_load_b32 s31, s[0:1], 0x88
	s_bfe_u32 s2, ttmp6, 0x40014
	s_lshr_b32 s3, ttmp7, 16
	s_add_co_i32 s2, s2, 1
	s_bfe_u32 s4, ttmp6, 0x40008
	s_mul_i32 s2, s3, s2
	s_getreg_b32 s28, hwreg(HW_REG_IB_STS2, 6, 4)
	s_add_co_i32 s4, s4, s2
	s_cmp_eq_u32 s28, 0
	s_cselect_b32 s2, s3, s4
	s_mov_b32 s3, 0
	s_wait_kmcnt 0x0
	s_cmp_ge_i32 s2, s31
	s_cbranch_scc1 .LBB180_10
; %bb.1:
	v_bfe_u32 v2, v0, 10, 10
	v_and_b32_e32 v6, 0x3ff, v0
	s_bfe_u32 s29, ttmp6, 0x4000c
	s_bfe_u32 s33, ttmp6, 0x40010
	s_add_co_i32 s29, s29, 1
	s_and_b32 s34, ttmp7, 0xffff
	s_add_co_i32 s33, s33, 1
	s_clause 0x3
	s_load_b256 s[4:11], s[0:1], 0x20
	s_load_b128 s[24:27], s[0:1], 0x40
	s_load_b128 s[20:23], s[0:1], 0x78
	s_load_b256 s[12:19], s[0:1], 0x58
	s_and_b32 s30, ttmp6, 15
	s_mul_i32 s29, ttmp9, s29
	s_mul_i32 s33, s34, s33
	s_bfe_u32 s35, ttmp6, 0x40004
	v_lshl_add_u32 v7, v2, 4, v6
	s_add_co_i32 s30, s30, s29
	s_add_co_i32 s35, s35, s33
	s_cmp_eq_u32 s28, 0
	s_delay_alu instid0(VALU_DEP_1)
	v_dual_mov_b32 v3, 0 :: v_dual_bitop2_b32 v14, 31, v7 bitop3:0x40
	s_cselect_b32 s28, ttmp9, s30
	s_cselect_b32 s30, s34, s35
	s_ashr_i32 s29, s28, 31
	v_lshrrev_b32_e32 v8, 3, v7
	s_lshl_b64 s[34:35], s[28:29], 5
	s_delay_alu instid0(SALU_CYCLE_1)
	v_dual_mov_b32 v1, s35 :: v_dual_bitop2_b32 v15, 7, v0 bitop3:0x40
	v_dual_mov_b32 v9, v3 :: v_dual_bitop2_b32 v0, s34, v14 bitop3:0x54
	v_lshrrev_b32_e32 v16, 5, v7
	s_load_b32 s33, s[0:1], 0x50
	v_lshlrev_b32_e32 v14, 2, v14
	s_wait_kmcnt 0x0
	v_mul_u64_e32 v[10:11], s[6:7], v[0:1]
	s_lshl_b32 s6, s30, 5
	v_mad_nc_u64_u32 v[12:13], s24, v15, v[8:9]
	s_mov_b32 s7, s3
	s_load_b96 s[28:30], s[0:1], 0x10
	v_add_nc_u64_e32 v[4:5], s[6:7], v[2:3]
	v_dual_lshlrev_b32 v9, 2, v15 :: v_dual_mov_b32 v7, v3
	v_lshlrev_b32_e32 v26, 2, v6
	v_lshl_or_b32 v24, v16, 7, v14
	v_lshl_add_u32 v27, v2, 5, 0x400
	v_lshlrev_b32_e32 v2, 1, v16
	v_mul_u64_e32 v[0:1], s[20:21], v[4:5]
	v_mul_u64_e32 v[4:5], s[14:15], v[4:5]
	v_mad_u32 v13, s25, v15, v13
	v_lshl_or_b32 v15, v8, 5, v9
	s_cmp_eq_f32 s33, 0
	s_delay_alu instid0(VALU_DEP_1)
	v_add_nc_u32_e32 v25, 0x400, v15
	s_wait_xcnt 0x0
	s_cselect_b32 s1, -1, 0
	s_lshl_b64 s[16:17], s[16:17], 2
	s_wait_kmcnt 0x0
	v_cmp_gt_i64_e64 s0, s[28:29], 0
	s_delay_alu instid0(VALU_DEP_4)
	v_add_nc_u64_e32 v[8:9], s[6:7], v[12:13]
	v_add_nc_u64_e32 v[12:13], s[34:35], v[6:7]
	s_lshl_b64 s[6:7], s[8:9], 1
	s_lshl_b64 s[8:9], s[14:15], 4
	;; [unrolled: 1-line block ×3, first 2 shown]
	v_cndmask_b32_e64 v16, 0, 1, s0
	s_delay_alu instid0(VALU_DEP_3)
	v_lshlrev_b64_e32 v[14:15], 1, v[8:9]
	v_lshl_add_u64 v[6:7], v[10:11], 1, s[6:7]
	v_lshlrev_b64_e32 v[8:9], 2, v[12:13]
	s_lshl_b64 s[6:7], s[20:21], 4
	v_cmp_ne_u32_e64 s0, 1, v16
	s_lshl_b64 s[20:21], s[22:23], 2
	v_add_nc_u64_e32 v[6:7], v[6:7], v[2:3]
	v_lshl_add_u64 v[10:11], s[26:27], 1, v[14:15]
	s_branch .LBB180_3
.LBB180_2:                              ;   in Loop: Header=BB180_3 Depth=1
	s_add_co_i32 s2, s2, 0x10000
	s_delay_alu instid0(SALU_CYCLE_1)
	s_cmp_lt_i32 s2, s31
	s_cbranch_scc0 .LBB180_10
.LBB180_3:                              ; =>This Loop Header: Depth=1
                                        ;     Child Loop BB180_5 Depth 2
	s_wait_xcnt 0x0
	v_dual_mov_b32 v2, s2 :: v_dual_mov_b32 v19, 0
	v_dual_mov_b32 v18, 0 :: v_dual_mov_b32 v15, 0
	v_mov_b32_e32 v14, 0
	s_clause 0x1
	global_load_b64 v[12:13], v2, s[12:13] scale_offset
	global_load_b64 v[16:17], v2, s[18:19] scale_offset
	s_and_b32 vcc_lo, exec_lo, s0
	s_cbranch_vccnz .LBB180_6
; %bb.4:                                ;   in Loop: Header=BB180_3 Depth=1
	s_lshl_b64 s[22:23], s[2:3], 3
	v_mov_b32_e32 v14, 0
	s_add_nc_u64 s[24:25], s[10:11], s[22:23]
	s_add_nc_u64 s[22:23], s[4:5], s[22:23]
	s_clause 0x1
	global_load_b64 v[18:19], v3, s[24:25]
	global_load_b64 v[22:23], v3, s[22:23]
	s_wait_xcnt 0x0
	s_mov_b64 s[22:23], 0
	v_mov_b32_e32 v15, v14
	s_wait_loadcnt 0x1
	v_add_nc_u64_e32 v[20:21], v[18:19], v[10:11]
	s_wait_loadcnt 0x0
	v_add_nc_u64_e32 v[22:23], v[22:23], v[6:7]
	v_dual_mov_b32 v18, v14 :: v_dual_mov_b32 v19, v14
.LBB180_5:                              ;   Parent Loop BB180_3 Depth=1
                                        ; =>  This Inner Loop Header: Depth=2
	flat_load_u16 v2, v[22:23]
	flat_load_u16 v28, v[20:21]
	s_add_nc_u64 s[22:23], s[22:23], 8
	s_wait_xcnt 0x0
	v_add_nc_u64_e32 v[20:21], s[14:15], v[20:21]
	v_cmp_lt_i64_e64 s24, s[22:23], s[28:29]
	v_add_nc_u64_e32 v[22:23], 16, v[22:23]
	s_and_b32 vcc_lo, exec_lo, s24
	s_wait_loadcnt_dscnt 0x0
	v_dual_lshlrev_b32 v2, 16, v2 :: v_dual_lshlrev_b32 v28, 16, v28
	ds_store_b32 v24, v2
	ds_store_b32 v25, v28
	s_wait_dscnt 0x0
	s_barrier_signal -1
	s_barrier_wait -1
	ds_load_2addr_b32 v[44:45], v26 offset1:16
	ds_load_2addr_b32 v[46:47], v26 offset0:32 offset1:48
	ds_load_b128 v[28:31], v27
	ds_load_2addr_b32 v[48:49], v26 offset0:64 offset1:80
	ds_load_b128 v[32:35], v27 offset:512
	ds_load_2addr_b32 v[50:51], v26 offset0:96 offset1:112
	ds_load_b128 v[36:39], v27 offset:16
	ds_load_2addr_b32 v[52:53], v26 offset0:128 offset1:144
	ds_load_b128 v[40:43], v27 offset:528
	ds_load_2addr_b32 v[54:55], v26 offset0:160 offset1:176
	ds_load_2addr_b32 v[56:57], v26 offset0:192 offset1:208
	;; [unrolled: 1-line block ×3, first 2 shown]
	s_wait_dscnt 0x0
	s_barrier_signal -1
	s_barrier_wait -1
	v_dual_mov_b32 v60, v45 :: v_dual_mov_b32 v61, v44
	v_dual_mov_b32 v44, v47 :: v_dual_mov_b32 v45, v46
	;; [unrolled: 1-line block ×3, first 2 shown]
	s_delay_alu instid0(VALU_DEP_3) | instskip(SKIP_3) | instid1(VALU_DEP_4)
	v_pk_fma_f32 v[18:19], v[60:61], v[28:29], v[18:19] op_sel_hi:[1,0,1]
	v_pk_fma_f32 v[14:15], v[60:61], v[32:33], v[14:15] op_sel_hi:[1,0,1]
	v_dual_mov_b32 v48, v51 :: v_dual_mov_b32 v49, v50
	v_mov_b32_e32 v2, v31
	v_pk_fma_f32 v[18:19], v[44:45], v[28:29], v[18:19] op_sel:[0,1,0]
	s_delay_alu instid0(VALU_DEP_4) | instskip(SKIP_2) | instid1(VALU_DEP_4)
	v_pk_fma_f32 v[14:15], v[44:45], v[32:33], v[14:15] op_sel:[0,1,0]
	v_dual_mov_b32 v28, v35 :: v_dual_mov_b32 v32, v59
	v_mov_b32_e32 v33, v58
	v_pk_fma_f32 v[18:19], v[46:47], v[30:31], v[18:19] op_sel_hi:[1,0,1]
	s_delay_alu instid0(VALU_DEP_4) | instskip(SKIP_1) | instid1(VALU_DEP_3)
	v_pk_fma_f32 v[14:15], v[46:47], v[34:35], v[14:15] op_sel_hi:[1,0,1]
	v_dual_mov_b32 v30, v53 :: v_dual_mov_b32 v31, v52
	v_pk_fma_f32 v[18:19], v[48:49], v[2:3], v[18:19] op_sel_hi:[1,0,1]
	s_delay_alu instid0(VALU_DEP_3) | instskip(SKIP_2) | instid1(VALU_DEP_4)
	v_pk_fma_f32 v[14:15], v[48:49], v[28:29], v[14:15] op_sel_hi:[1,0,1]
	v_dual_mov_b32 v28, v55 :: v_dual_mov_b32 v29, v54
	v_mov_b32_e32 v2, v39
	v_pk_fma_f32 v[18:19], v[30:31], v[36:37], v[18:19] op_sel_hi:[1,0,1]
	s_delay_alu instid0(VALU_DEP_4) | instskip(SKIP_1) | instid1(VALU_DEP_3)
	v_pk_fma_f32 v[14:15], v[30:31], v[40:41], v[14:15] op_sel_hi:[1,0,1]
	v_dual_mov_b32 v30, v57 :: v_dual_mov_b32 v31, v56
	v_pk_fma_f32 v[18:19], v[28:29], v[36:37], v[18:19] op_sel:[0,1,0]
	s_delay_alu instid0(VALU_DEP_3) | instskip(SKIP_1) | instid1(VALU_DEP_3)
	v_pk_fma_f32 v[14:15], v[28:29], v[40:41], v[14:15] op_sel:[0,1,0]
	v_mov_b32_e32 v28, v43
	v_pk_fma_f32 v[18:19], v[30:31], v[38:39], v[18:19] op_sel_hi:[1,0,1]
	s_delay_alu instid0(VALU_DEP_3) | instskip(NEXT) | instid1(VALU_DEP_2)
	v_pk_fma_f32 v[14:15], v[30:31], v[42:43], v[14:15] op_sel_hi:[1,0,1]
	v_pk_fma_f32 v[18:19], v[32:33], v[2:3], v[18:19] op_sel_hi:[1,0,1]
	s_delay_alu instid0(VALU_DEP_2)
	v_pk_fma_f32 v[14:15], v[32:33], v[28:29], v[14:15] op_sel_hi:[1,0,1]
	s_cbranch_vccnz .LBB180_5
.LBB180_6:                              ;   in Loop: Header=BB180_3 Depth=1
	s_wait_loadcnt 0x0
	v_add_nc_u64_e32 v[16:17], s[20:21], v[16:17]
	s_and_not1_b32 vcc_lo, exec_lo, s1
	s_delay_alu instid0(VALU_DEP_1) | instskip(NEXT) | instid1(VALU_DEP_1)
	v_lshl_add_u64 v[16:17], v[0:1], 2, v[16:17]
	v_add_nc_u64_e32 v[20:21], v[16:17], v[8:9]
	v_lshl_add_u64 v[16:17], s[6:7], 2, v[16:17]
	s_cbranch_vccnz .LBB180_8
; %bb.7:                                ;   in Loop: Header=BB180_3 Depth=1
	s_delay_alu instid0(VALU_DEP_1)
	v_add_nc_u64_e32 v[22:23], v[16:17], v[8:9]
	s_wait_xcnt 0x0
	v_dual_mul_f32 v2, s30, v19 :: v_dual_mul_f32 v28, s30, v18
	v_dual_mul_f32 v29, s30, v15 :: v_dual_mul_f32 v30, s30, v14
	s_clause 0x3
	flat_store_b32 v[20:21], v2
	flat_store_b32 v[20:21], v28 offset:64
	flat_store_b32 v[22:23], v29
	flat_store_b32 v[22:23], v30 offset:64
	s_cbranch_execnz .LBB180_2
	s_branch .LBB180_9
.LBB180_8:                              ;   in Loop: Header=BB180_3 Depth=1
.LBB180_9:                              ;   in Loop: Header=BB180_3 Depth=1
	v_add_nc_u64_e32 v[12:13], s[16:17], v[12:13]
	s_delay_alu instid0(VALU_DEP_2) | instskip(NEXT) | instid1(VALU_DEP_2)
	v_add_nc_u64_e32 v[16:17], v[16:17], v[8:9]
	v_lshl_add_u64 v[12:13], v[4:5], 2, v[12:13]
	s_wait_xcnt 0x0
	s_delay_alu instid0(VALU_DEP_1) | instskip(SKIP_1) | instid1(VALU_DEP_1)
	v_add_nc_u64_e32 v[22:23], v[12:13], v[8:9]
	v_lshl_add_u64 v[12:13], s[8:9], 2, v[12:13]
	v_add_nc_u64_e32 v[12:13], v[12:13], v[8:9]
	flat_load_b32 v2, v[22:23]
	s_wait_loadcnt_dscnt 0x0
	v_mul_f32_e32 v2, s33, v2
	s_delay_alu instid0(VALU_DEP_1) | instskip(SKIP_4) | instid1(VALU_DEP_1)
	v_fmac_f32_e32 v2, s30, v19
	flat_store_b32 v[20:21], v2
	flat_load_b32 v2, v[22:23] offset:64
	s_wait_loadcnt_dscnt 0x0
	v_mul_f32_e32 v2, s33, v2
	v_fmac_f32_e32 v2, s30, v18
	flat_store_b32 v[20:21], v2 offset:64
	flat_load_b32 v2, v[12:13]
	s_wait_loadcnt_dscnt 0x0
	v_mul_f32_e32 v2, s33, v2
	s_delay_alu instid0(VALU_DEP_1) | instskip(SKIP_4) | instid1(VALU_DEP_1)
	v_fmac_f32_e32 v2, s30, v15
	flat_store_b32 v[16:17], v2
	flat_load_b32 v2, v[12:13] offset:64
	s_wait_loadcnt_dscnt 0x0
	v_mul_f32_e32 v2, s33, v2
	v_fmac_f32_e32 v2, s30, v14
	flat_store_b32 v[16:17], v2 offset:64
	s_branch .LBB180_2
.LBB180_10:
	s_endpgm
	.section	.rodata,"a",@progbits
	.p2align	6, 0x0
	.amdhsa_kernel _ZN12_GLOBAL__N_127rocblas_gemm_batched_kernelIfLi16ELi16ELi32ELi32ELi8ELi32ELi8ELi8ELi32ELc67ELc67EKPK16rocblas_bfloat16KPKfKPfEEvlllT_PT11_llSC_llSA_PT12_llPT13_lli
		.amdhsa_group_segment_fixed_size 2048
		.amdhsa_private_segment_fixed_size 0
		.amdhsa_kernarg_size 140
		.amdhsa_user_sgpr_count 2
		.amdhsa_user_sgpr_dispatch_ptr 0
		.amdhsa_user_sgpr_queue_ptr 0
		.amdhsa_user_sgpr_kernarg_segment_ptr 1
		.amdhsa_user_sgpr_dispatch_id 0
		.amdhsa_user_sgpr_kernarg_preload_length 0
		.amdhsa_user_sgpr_kernarg_preload_offset 0
		.amdhsa_user_sgpr_private_segment_size 0
		.amdhsa_wavefront_size32 1
		.amdhsa_uses_dynamic_stack 0
		.amdhsa_enable_private_segment 0
		.amdhsa_system_sgpr_workgroup_id_x 1
		.amdhsa_system_sgpr_workgroup_id_y 1
		.amdhsa_system_sgpr_workgroup_id_z 1
		.amdhsa_system_sgpr_workgroup_info 0
		.amdhsa_system_vgpr_workitem_id 1
		.amdhsa_next_free_vgpr 62
		.amdhsa_next_free_sgpr 36
		.amdhsa_named_barrier_count 0
		.amdhsa_reserve_vcc 1
		.amdhsa_float_round_mode_32 0
		.amdhsa_float_round_mode_16_64 0
		.amdhsa_float_denorm_mode_32 3
		.amdhsa_float_denorm_mode_16_64 3
		.amdhsa_fp16_overflow 0
		.amdhsa_memory_ordered 1
		.amdhsa_forward_progress 1
		.amdhsa_inst_pref_size 12
		.amdhsa_round_robin_scheduling 0
		.amdhsa_exception_fp_ieee_invalid_op 0
		.amdhsa_exception_fp_denorm_src 0
		.amdhsa_exception_fp_ieee_div_zero 0
		.amdhsa_exception_fp_ieee_overflow 0
		.amdhsa_exception_fp_ieee_underflow 0
		.amdhsa_exception_fp_ieee_inexact 0
		.amdhsa_exception_int_div_zero 0
	.end_amdhsa_kernel
	.section	.text._ZN12_GLOBAL__N_127rocblas_gemm_batched_kernelIfLi16ELi16ELi32ELi32ELi8ELi32ELi8ELi8ELi32ELc67ELc67EKPK16rocblas_bfloat16KPKfKPfEEvlllT_PT11_llSC_llSA_PT12_llPT13_lli,"axG",@progbits,_ZN12_GLOBAL__N_127rocblas_gemm_batched_kernelIfLi16ELi16ELi32ELi32ELi8ELi32ELi8ELi8ELi32ELc67ELc67EKPK16rocblas_bfloat16KPKfKPfEEvlllT_PT11_llSC_llSA_PT12_llPT13_lli,comdat
.Lfunc_end180:
	.size	_ZN12_GLOBAL__N_127rocblas_gemm_batched_kernelIfLi16ELi16ELi32ELi32ELi8ELi32ELi8ELi8ELi32ELc67ELc67EKPK16rocblas_bfloat16KPKfKPfEEvlllT_PT11_llSC_llSA_PT12_llPT13_lli, .Lfunc_end180-_ZN12_GLOBAL__N_127rocblas_gemm_batched_kernelIfLi16ELi16ELi32ELi32ELi8ELi32ELi8ELi8ELi32ELc67ELc67EKPK16rocblas_bfloat16KPKfKPfEEvlllT_PT11_llSC_llSA_PT12_llPT13_lli
                                        ; -- End function
	.set _ZN12_GLOBAL__N_127rocblas_gemm_batched_kernelIfLi16ELi16ELi32ELi32ELi8ELi32ELi8ELi8ELi32ELc67ELc67EKPK16rocblas_bfloat16KPKfKPfEEvlllT_PT11_llSC_llSA_PT12_llPT13_lli.num_vgpr, 62
	.set _ZN12_GLOBAL__N_127rocblas_gemm_batched_kernelIfLi16ELi16ELi32ELi32ELi8ELi32ELi8ELi8ELi32ELc67ELc67EKPK16rocblas_bfloat16KPKfKPfEEvlllT_PT11_llSC_llSA_PT12_llPT13_lli.num_agpr, 0
	.set _ZN12_GLOBAL__N_127rocblas_gemm_batched_kernelIfLi16ELi16ELi32ELi32ELi8ELi32ELi8ELi8ELi32ELc67ELc67EKPK16rocblas_bfloat16KPKfKPfEEvlllT_PT11_llSC_llSA_PT12_llPT13_lli.numbered_sgpr, 36
	.set _ZN12_GLOBAL__N_127rocblas_gemm_batched_kernelIfLi16ELi16ELi32ELi32ELi8ELi32ELi8ELi8ELi32ELc67ELc67EKPK16rocblas_bfloat16KPKfKPfEEvlllT_PT11_llSC_llSA_PT12_llPT13_lli.num_named_barrier, 0
	.set _ZN12_GLOBAL__N_127rocblas_gemm_batched_kernelIfLi16ELi16ELi32ELi32ELi8ELi32ELi8ELi8ELi32ELc67ELc67EKPK16rocblas_bfloat16KPKfKPfEEvlllT_PT11_llSC_llSA_PT12_llPT13_lli.private_seg_size, 0
	.set _ZN12_GLOBAL__N_127rocblas_gemm_batched_kernelIfLi16ELi16ELi32ELi32ELi8ELi32ELi8ELi8ELi32ELc67ELc67EKPK16rocblas_bfloat16KPKfKPfEEvlllT_PT11_llSC_llSA_PT12_llPT13_lli.uses_vcc, 1
	.set _ZN12_GLOBAL__N_127rocblas_gemm_batched_kernelIfLi16ELi16ELi32ELi32ELi8ELi32ELi8ELi8ELi32ELc67ELc67EKPK16rocblas_bfloat16KPKfKPfEEvlllT_PT11_llSC_llSA_PT12_llPT13_lli.uses_flat_scratch, 1
	.set _ZN12_GLOBAL__N_127rocblas_gemm_batched_kernelIfLi16ELi16ELi32ELi32ELi8ELi32ELi8ELi8ELi32ELc67ELc67EKPK16rocblas_bfloat16KPKfKPfEEvlllT_PT11_llSC_llSA_PT12_llPT13_lli.has_dyn_sized_stack, 0
	.set _ZN12_GLOBAL__N_127rocblas_gemm_batched_kernelIfLi16ELi16ELi32ELi32ELi8ELi32ELi8ELi8ELi32ELc67ELc67EKPK16rocblas_bfloat16KPKfKPfEEvlllT_PT11_llSC_llSA_PT12_llPT13_lli.has_recursion, 0
	.set _ZN12_GLOBAL__N_127rocblas_gemm_batched_kernelIfLi16ELi16ELi32ELi32ELi8ELi32ELi8ELi8ELi32ELc67ELc67EKPK16rocblas_bfloat16KPKfKPfEEvlllT_PT11_llSC_llSA_PT12_llPT13_lli.has_indirect_call, 0
	.section	.AMDGPU.csdata,"",@progbits
; Kernel info:
; codeLenInByte = 1444
; TotalNumSgprs: 38
; NumVgprs: 62
; ScratchSize: 0
; MemoryBound: 0
; FloatMode: 240
; IeeeMode: 1
; LDSByteSize: 2048 bytes/workgroup (compile time only)
; SGPRBlocks: 0
; VGPRBlocks: 3
; NumSGPRsForWavesPerEU: 38
; NumVGPRsForWavesPerEU: 62
; NamedBarCnt: 0
; Occupancy: 16
; WaveLimiterHint : 1
; COMPUTE_PGM_RSRC2:SCRATCH_EN: 0
; COMPUTE_PGM_RSRC2:USER_SGPR: 2
; COMPUTE_PGM_RSRC2:TRAP_HANDLER: 0
; COMPUTE_PGM_RSRC2:TGID_X_EN: 1
; COMPUTE_PGM_RSRC2:TGID_Y_EN: 1
; COMPUTE_PGM_RSRC2:TGID_Z_EN: 1
; COMPUTE_PGM_RSRC2:TIDIG_COMP_CNT: 1
	.section	.text._ZN12_GLOBAL__N_127rocblas_gemm_batched_kernelIfLi16ELi16ELi32ELi32ELi8ELi32ELi8ELi8ELi32ELc67ELc78EKPK16rocblas_bfloat16KPKfKPfEEvlllT_PT11_llSC_llSA_PT12_llPT13_lli,"axG",@progbits,_ZN12_GLOBAL__N_127rocblas_gemm_batched_kernelIfLi16ELi16ELi32ELi32ELi8ELi32ELi8ELi8ELi32ELc67ELc78EKPK16rocblas_bfloat16KPKfKPfEEvlllT_PT11_llSC_llSA_PT12_llPT13_lli,comdat
	.globl	_ZN12_GLOBAL__N_127rocblas_gemm_batched_kernelIfLi16ELi16ELi32ELi32ELi8ELi32ELi8ELi8ELi32ELc67ELc78EKPK16rocblas_bfloat16KPKfKPfEEvlllT_PT11_llSC_llSA_PT12_llPT13_lli ; -- Begin function _ZN12_GLOBAL__N_127rocblas_gemm_batched_kernelIfLi16ELi16ELi32ELi32ELi8ELi32ELi8ELi8ELi32ELc67ELc78EKPK16rocblas_bfloat16KPKfKPfEEvlllT_PT11_llSC_llSA_PT12_llPT13_lli
	.p2align	8
	.type	_ZN12_GLOBAL__N_127rocblas_gemm_batched_kernelIfLi16ELi16ELi32ELi32ELi8ELi32ELi8ELi8ELi32ELc67ELc78EKPK16rocblas_bfloat16KPKfKPfEEvlllT_PT11_llSC_llSA_PT12_llPT13_lli,@function
_ZN12_GLOBAL__N_127rocblas_gemm_batched_kernelIfLi16ELi16ELi32ELi32ELi8ELi32ELi8ELi8ELi32ELc67ELc78EKPK16rocblas_bfloat16KPKfKPfEEvlllT_PT11_llSC_llSA_PT12_llPT13_lli: ; @_ZN12_GLOBAL__N_127rocblas_gemm_batched_kernelIfLi16ELi16ELi32ELi32ELi8ELi32ELi8ELi8ELi32ELc67ELc78EKPK16rocblas_bfloat16KPKfKPfEEvlllT_PT11_llSC_llSA_PT12_llPT13_lli
; %bb.0:
	s_load_b32 s31, s[0:1], 0x88
	s_bfe_u32 s2, ttmp6, 0x40014
	s_lshr_b32 s3, ttmp7, 16
	s_add_co_i32 s2, s2, 1
	s_bfe_u32 s4, ttmp6, 0x40008
	s_mul_i32 s2, s3, s2
	s_getreg_b32 s12, hwreg(HW_REG_IB_STS2, 6, 4)
	s_add_co_i32 s4, s4, s2
	s_cmp_eq_u32 s12, 0
	s_cselect_b32 s2, s3, s4
	s_mov_b32 s3, 0
	s_wait_kmcnt 0x0
	s_cmp_ge_i32 s2, s31
	s_cbranch_scc1 .LBB181_10
; %bb.1:
	v_bfe_u32 v2, v0, 10, 10
	v_and_b32_e32 v6, 0x3ff, v0
	s_bfe_u32 s13, ttmp6, 0x4000c
	s_bfe_u32 s15, ttmp6, 0x40010
	s_clause 0x2
	s_load_b256 s[4:11], s[0:1], 0x20
	s_load_b128 s[20:23], s[0:1], 0x40
	s_load_b32 s33, s[0:1], 0x50
	s_add_co_i32 s13, s13, 1
	s_and_b32 s16, ttmp7, 0xffff
	s_add_co_i32 s15, s15, 1
	v_lshl_add_u32 v14, v2, 4, v6
	v_mov_b32_e32 v3, 0
	s_and_b32 s14, ttmp6, 15
	s_mul_i32 s13, ttmp9, s13
	s_mul_i32 s15, s16, s15
	s_bfe_u32 s17, ttmp6, 0x40004
	s_add_co_i32 s14, s14, s13
	s_add_co_i32 s17, s17, s15
	s_cmp_eq_u32 s12, 0
	v_dual_mov_b32 v9, v3 :: v_dual_lshrrev_b32 v8, 3, v14
	v_and_b32_e32 v15, 31, v14
	s_cselect_b32 s13, s16, s17
	s_cselect_b32 s12, ttmp9, s14
	s_lshl_b32 s28, s13, 5
	s_mov_b32 s29, s3
	s_ashr_i32 s13, s12, 31
	v_add_nc_u64_e32 v[4:5], s[28:29], v[8:9]
	s_load_b128 s[24:27], s[0:1], 0x78
	s_lshl_b64 s[34:35], s[12:13], 5
	s_load_b256 s[12:19], s[0:1], 0x58
	v_dual_mov_b32 v11, s35 :: v_dual_bitop2_b32 v10, s34, v15 bitop3:0x54
	v_dual_mov_b32 v7, v3 :: v_dual_bitop2_b32 v9, 7, v0 bitop3:0x40
	s_wait_kmcnt 0x0
	v_mul_u64_e32 v[12:13], s[20:21], v[4:5]
	v_add_nc_u64_e32 v[4:5], s[28:29], v[2:3]
	v_mul_u64_e32 v[10:11], s[6:7], v[10:11]
	s_load_b96 s[28:30], s[0:1], 0x10
	s_cmp_eq_f32 s33, 0
	v_dual_lshlrev_b32 v16, 2, v9 :: v_dual_lshlrev_b32 v24, 2, v6
	v_lshl_add_u32 v25, v2, 5, 0x400
	s_wait_xcnt 0x0
	s_cselect_b32 s1, -1, 0
	s_lshl_b64 s[6:7], s[22:23], 1
	v_dual_lshrrev_b32 v17, 5, v14 :: v_dual_lshlrev_b32 v2, 1, v9
	v_lshlrev_b32_e32 v18, 2, v15
	v_mul_u64_e32 v[0:1], s[24:25], v[4:5]
	v_add_nc_u64_e32 v[14:15], s[34:35], v[6:7]
	v_mul_u64_e32 v[4:5], s[14:15], v[4:5]
	v_lshl_or_b32 v16, v8, 5, v16
	s_lshl_b64 s[16:17], s[16:17], 2
	s_delay_alu instid0(VALU_DEP_1)
	v_add_nc_u32_e32 v27, 0x400, v16
	s_wait_kmcnt 0x0
	v_cmp_gt_i64_e64 s0, s[28:29], 0
	v_lshl_add_u64 v[12:13], v[12:13], 1, s[6:7]
	s_lshl_b64 s[6:7], s[8:9], 1
	s_lshl_b64 s[8:9], s[14:15], 4
	v_lshl_add_u64 v[8:9], v[10:11], 1, s[6:7]
	v_lshlrev_b64_e32 v[10:11], 2, v[14:15]
	v_add_nc_u64_e32 v[6:7], v[12:13], v[2:3]
	v_lshlrev_b32_e32 v2, 1, v17
	v_cndmask_b32_e64 v12, 0, 1, s0
	v_lshl_or_b32 v26, v17, 7, v18
	s_lshl_b64 s[6:7], s[24:25], 4
	s_lshl_b64 s[14:15], s[26:27], 2
	v_add_nc_u64_e32 v[8:9], v[8:9], v[2:3]
	v_cmp_ne_u32_e64 s0, 1, v12
	s_branch .LBB181_3
.LBB181_2:                              ;   in Loop: Header=BB181_3 Depth=1
	s_add_co_i32 s2, s2, 0x10000
	s_delay_alu instid0(SALU_CYCLE_1)
	s_cmp_lt_i32 s2, s31
	s_cbranch_scc0 .LBB181_10
.LBB181_3:                              ; =>This Loop Header: Depth=1
                                        ;     Child Loop BB181_5 Depth 2
	s_wait_xcnt 0x0
	v_dual_mov_b32 v2, s2 :: v_dual_mov_b32 v19, 0
	v_dual_mov_b32 v18, 0 :: v_dual_mov_b32 v15, 0
	v_mov_b32_e32 v14, 0
	s_clause 0x1
	global_load_b64 v[12:13], v2, s[12:13] scale_offset
	global_load_b64 v[16:17], v2, s[18:19] scale_offset
	s_and_b32 vcc_lo, exec_lo, s0
	s_cbranch_vccnz .LBB181_6
; %bb.4:                                ;   in Loop: Header=BB181_3 Depth=1
	s_lshl_b64 s[20:21], s[2:3], 3
	v_mov_b32_e32 v14, 0
	s_add_nc_u64 s[22:23], s[10:11], s[20:21]
	s_add_nc_u64 s[20:21], s[4:5], s[20:21]
	s_clause 0x1
	global_load_b64 v[18:19], v3, s[22:23]
	global_load_b64 v[22:23], v3, s[20:21]
	s_wait_xcnt 0x0
	s_mov_b64 s[20:21], 0
	v_mov_b32_e32 v15, v14
	s_wait_loadcnt 0x1
	v_add_nc_u64_e32 v[20:21], v[18:19], v[6:7]
	s_wait_loadcnt 0x0
	v_add_nc_u64_e32 v[22:23], v[22:23], v[8:9]
	v_dual_mov_b32 v18, v14 :: v_dual_mov_b32 v19, v14
.LBB181_5:                              ;   Parent Loop BB181_3 Depth=1
                                        ; =>  This Inner Loop Header: Depth=2
	flat_load_u16 v2, v[22:23]
	flat_load_u16 v28, v[20:21]
	s_add_nc_u64 s[20:21], s[20:21], 8
	s_wait_xcnt 0x0
	v_add_nc_u64_e32 v[20:21], 16, v[20:21]
	v_cmp_lt_i64_e64 s22, s[20:21], s[28:29]
	v_add_nc_u64_e32 v[22:23], 16, v[22:23]
	s_and_b32 vcc_lo, exec_lo, s22
	s_wait_loadcnt_dscnt 0x0
	v_dual_lshlrev_b32 v2, 16, v2 :: v_dual_lshlrev_b32 v28, 16, v28
	ds_store_b32 v26, v2
	ds_store_b32 v27, v28
	s_wait_dscnt 0x0
	s_barrier_signal -1
	s_barrier_wait -1
	ds_load_2addr_b32 v[44:45], v24 offset1:16
	ds_load_2addr_b32 v[46:47], v24 offset0:32 offset1:48
	ds_load_b128 v[28:31], v25
	ds_load_2addr_b32 v[48:49], v24 offset0:64 offset1:80
	ds_load_b128 v[32:35], v25 offset:512
	ds_load_2addr_b32 v[50:51], v24 offset0:96 offset1:112
	ds_load_b128 v[36:39], v25 offset:16
	;; [unrolled: 2-line block ×3, first 2 shown]
	ds_load_2addr_b32 v[54:55], v24 offset0:160 offset1:176
	ds_load_2addr_b32 v[56:57], v24 offset0:192 offset1:208
	;; [unrolled: 1-line block ×3, first 2 shown]
	s_wait_dscnt 0x0
	s_barrier_signal -1
	s_barrier_wait -1
	v_dual_mov_b32 v60, v45 :: v_dual_mov_b32 v61, v44
	v_dual_mov_b32 v44, v47 :: v_dual_mov_b32 v45, v46
	;; [unrolled: 1-line block ×3, first 2 shown]
	s_delay_alu instid0(VALU_DEP_3) | instskip(SKIP_3) | instid1(VALU_DEP_4)
	v_pk_fma_f32 v[18:19], v[60:61], v[28:29], v[18:19] op_sel_hi:[1,0,1]
	v_pk_fma_f32 v[14:15], v[60:61], v[32:33], v[14:15] op_sel_hi:[1,0,1]
	v_dual_mov_b32 v48, v51 :: v_dual_mov_b32 v49, v50
	v_mov_b32_e32 v2, v31
	v_pk_fma_f32 v[18:19], v[44:45], v[28:29], v[18:19] op_sel:[0,1,0]
	s_delay_alu instid0(VALU_DEP_4) | instskip(SKIP_2) | instid1(VALU_DEP_4)
	v_pk_fma_f32 v[14:15], v[44:45], v[32:33], v[14:15] op_sel:[0,1,0]
	v_dual_mov_b32 v28, v35 :: v_dual_mov_b32 v32, v59
	v_mov_b32_e32 v33, v58
	v_pk_fma_f32 v[18:19], v[46:47], v[30:31], v[18:19] op_sel_hi:[1,0,1]
	s_delay_alu instid0(VALU_DEP_4) | instskip(SKIP_1) | instid1(VALU_DEP_3)
	v_pk_fma_f32 v[14:15], v[46:47], v[34:35], v[14:15] op_sel_hi:[1,0,1]
	v_dual_mov_b32 v30, v53 :: v_dual_mov_b32 v31, v52
	v_pk_fma_f32 v[18:19], v[48:49], v[2:3], v[18:19] op_sel_hi:[1,0,1]
	s_delay_alu instid0(VALU_DEP_3) | instskip(SKIP_2) | instid1(VALU_DEP_4)
	v_pk_fma_f32 v[14:15], v[48:49], v[28:29], v[14:15] op_sel_hi:[1,0,1]
	v_dual_mov_b32 v28, v55 :: v_dual_mov_b32 v29, v54
	v_mov_b32_e32 v2, v39
	v_pk_fma_f32 v[18:19], v[30:31], v[36:37], v[18:19] op_sel_hi:[1,0,1]
	s_delay_alu instid0(VALU_DEP_4) | instskip(SKIP_1) | instid1(VALU_DEP_3)
	v_pk_fma_f32 v[14:15], v[30:31], v[40:41], v[14:15] op_sel_hi:[1,0,1]
	v_dual_mov_b32 v30, v57 :: v_dual_mov_b32 v31, v56
	v_pk_fma_f32 v[18:19], v[28:29], v[36:37], v[18:19] op_sel:[0,1,0]
	s_delay_alu instid0(VALU_DEP_3) | instskip(SKIP_1) | instid1(VALU_DEP_3)
	v_pk_fma_f32 v[14:15], v[28:29], v[40:41], v[14:15] op_sel:[0,1,0]
	v_mov_b32_e32 v28, v43
	v_pk_fma_f32 v[18:19], v[30:31], v[38:39], v[18:19] op_sel_hi:[1,0,1]
	s_delay_alu instid0(VALU_DEP_3) | instskip(NEXT) | instid1(VALU_DEP_2)
	v_pk_fma_f32 v[14:15], v[30:31], v[42:43], v[14:15] op_sel_hi:[1,0,1]
	v_pk_fma_f32 v[18:19], v[32:33], v[2:3], v[18:19] op_sel_hi:[1,0,1]
	s_delay_alu instid0(VALU_DEP_2)
	v_pk_fma_f32 v[14:15], v[32:33], v[28:29], v[14:15] op_sel_hi:[1,0,1]
	s_cbranch_vccnz .LBB181_5
.LBB181_6:                              ;   in Loop: Header=BB181_3 Depth=1
	s_wait_loadcnt 0x0
	v_add_nc_u64_e32 v[16:17], s[14:15], v[16:17]
	s_and_not1_b32 vcc_lo, exec_lo, s1
	s_delay_alu instid0(VALU_DEP_1) | instskip(NEXT) | instid1(VALU_DEP_1)
	v_lshl_add_u64 v[16:17], v[0:1], 2, v[16:17]
	v_add_nc_u64_e32 v[20:21], v[16:17], v[10:11]
	v_lshl_add_u64 v[16:17], s[6:7], 2, v[16:17]
	s_cbranch_vccnz .LBB181_8
; %bb.7:                                ;   in Loop: Header=BB181_3 Depth=1
	s_delay_alu instid0(VALU_DEP_1)
	v_add_nc_u64_e32 v[22:23], v[16:17], v[10:11]
	s_wait_xcnt 0x0
	v_dual_mul_f32 v2, s30, v19 :: v_dual_mul_f32 v28, s30, v18
	v_dual_mul_f32 v29, s30, v15 :: v_dual_mul_f32 v30, s30, v14
	s_clause 0x3
	flat_store_b32 v[20:21], v2
	flat_store_b32 v[20:21], v28 offset:64
	flat_store_b32 v[22:23], v29
	flat_store_b32 v[22:23], v30 offset:64
	s_cbranch_execnz .LBB181_2
	s_branch .LBB181_9
.LBB181_8:                              ;   in Loop: Header=BB181_3 Depth=1
.LBB181_9:                              ;   in Loop: Header=BB181_3 Depth=1
	v_add_nc_u64_e32 v[12:13], s[16:17], v[12:13]
	s_delay_alu instid0(VALU_DEP_2) | instskip(NEXT) | instid1(VALU_DEP_2)
	v_add_nc_u64_e32 v[16:17], v[16:17], v[10:11]
	v_lshl_add_u64 v[12:13], v[4:5], 2, v[12:13]
	s_wait_xcnt 0x0
	s_delay_alu instid0(VALU_DEP_1) | instskip(SKIP_1) | instid1(VALU_DEP_1)
	v_add_nc_u64_e32 v[22:23], v[12:13], v[10:11]
	v_lshl_add_u64 v[12:13], s[8:9], 2, v[12:13]
	v_add_nc_u64_e32 v[12:13], v[12:13], v[10:11]
	flat_load_b32 v2, v[22:23]
	s_wait_loadcnt_dscnt 0x0
	v_mul_f32_e32 v2, s33, v2
	s_delay_alu instid0(VALU_DEP_1) | instskip(SKIP_4) | instid1(VALU_DEP_1)
	v_fmac_f32_e32 v2, s30, v19
	flat_store_b32 v[20:21], v2
	flat_load_b32 v2, v[22:23] offset:64
	s_wait_loadcnt_dscnt 0x0
	v_mul_f32_e32 v2, s33, v2
	v_fmac_f32_e32 v2, s30, v18
	flat_store_b32 v[20:21], v2 offset:64
	flat_load_b32 v2, v[12:13]
	s_wait_loadcnt_dscnt 0x0
	v_mul_f32_e32 v2, s33, v2
	s_delay_alu instid0(VALU_DEP_1) | instskip(SKIP_4) | instid1(VALU_DEP_1)
	v_fmac_f32_e32 v2, s30, v15
	flat_store_b32 v[16:17], v2
	flat_load_b32 v2, v[12:13] offset:64
	s_wait_loadcnt_dscnt 0x0
	v_mul_f32_e32 v2, s33, v2
	v_fmac_f32_e32 v2, s30, v14
	flat_store_b32 v[16:17], v2 offset:64
	s_branch .LBB181_2
.LBB181_10:
	s_endpgm
	.section	.rodata,"a",@progbits
	.p2align	6, 0x0
	.amdhsa_kernel _ZN12_GLOBAL__N_127rocblas_gemm_batched_kernelIfLi16ELi16ELi32ELi32ELi8ELi32ELi8ELi8ELi32ELc67ELc78EKPK16rocblas_bfloat16KPKfKPfEEvlllT_PT11_llSC_llSA_PT12_llPT13_lli
		.amdhsa_group_segment_fixed_size 2048
		.amdhsa_private_segment_fixed_size 0
		.amdhsa_kernarg_size 140
		.amdhsa_user_sgpr_count 2
		.amdhsa_user_sgpr_dispatch_ptr 0
		.amdhsa_user_sgpr_queue_ptr 0
		.amdhsa_user_sgpr_kernarg_segment_ptr 1
		.amdhsa_user_sgpr_dispatch_id 0
		.amdhsa_user_sgpr_kernarg_preload_length 0
		.amdhsa_user_sgpr_kernarg_preload_offset 0
		.amdhsa_user_sgpr_private_segment_size 0
		.amdhsa_wavefront_size32 1
		.amdhsa_uses_dynamic_stack 0
		.amdhsa_enable_private_segment 0
		.amdhsa_system_sgpr_workgroup_id_x 1
		.amdhsa_system_sgpr_workgroup_id_y 1
		.amdhsa_system_sgpr_workgroup_id_z 1
		.amdhsa_system_sgpr_workgroup_info 0
		.amdhsa_system_vgpr_workitem_id 1
		.amdhsa_next_free_vgpr 62
		.amdhsa_next_free_sgpr 36
		.amdhsa_named_barrier_count 0
		.amdhsa_reserve_vcc 1
		.amdhsa_float_round_mode_32 0
		.amdhsa_float_round_mode_16_64 0
		.amdhsa_float_denorm_mode_32 3
		.amdhsa_float_denorm_mode_16_64 3
		.amdhsa_fp16_overflow 0
		.amdhsa_memory_ordered 1
		.amdhsa_forward_progress 1
		.amdhsa_inst_pref_size 12
		.amdhsa_round_robin_scheduling 0
		.amdhsa_exception_fp_ieee_invalid_op 0
		.amdhsa_exception_fp_denorm_src 0
		.amdhsa_exception_fp_ieee_div_zero 0
		.amdhsa_exception_fp_ieee_overflow 0
		.amdhsa_exception_fp_ieee_underflow 0
		.amdhsa_exception_fp_ieee_inexact 0
		.amdhsa_exception_int_div_zero 0
	.end_amdhsa_kernel
	.section	.text._ZN12_GLOBAL__N_127rocblas_gemm_batched_kernelIfLi16ELi16ELi32ELi32ELi8ELi32ELi8ELi8ELi32ELc67ELc78EKPK16rocblas_bfloat16KPKfKPfEEvlllT_PT11_llSC_llSA_PT12_llPT13_lli,"axG",@progbits,_ZN12_GLOBAL__N_127rocblas_gemm_batched_kernelIfLi16ELi16ELi32ELi32ELi8ELi32ELi8ELi8ELi32ELc67ELc78EKPK16rocblas_bfloat16KPKfKPfEEvlllT_PT11_llSC_llSA_PT12_llPT13_lli,comdat
.Lfunc_end181:
	.size	_ZN12_GLOBAL__N_127rocblas_gemm_batched_kernelIfLi16ELi16ELi32ELi32ELi8ELi32ELi8ELi8ELi32ELc67ELc78EKPK16rocblas_bfloat16KPKfKPfEEvlllT_PT11_llSC_llSA_PT12_llPT13_lli, .Lfunc_end181-_ZN12_GLOBAL__N_127rocblas_gemm_batched_kernelIfLi16ELi16ELi32ELi32ELi8ELi32ELi8ELi8ELi32ELc67ELc78EKPK16rocblas_bfloat16KPKfKPfEEvlllT_PT11_llSC_llSA_PT12_llPT13_lli
                                        ; -- End function
	.set _ZN12_GLOBAL__N_127rocblas_gemm_batched_kernelIfLi16ELi16ELi32ELi32ELi8ELi32ELi8ELi8ELi32ELc67ELc78EKPK16rocblas_bfloat16KPKfKPfEEvlllT_PT11_llSC_llSA_PT12_llPT13_lli.num_vgpr, 62
	.set _ZN12_GLOBAL__N_127rocblas_gemm_batched_kernelIfLi16ELi16ELi32ELi32ELi8ELi32ELi8ELi8ELi32ELc67ELc78EKPK16rocblas_bfloat16KPKfKPfEEvlllT_PT11_llSC_llSA_PT12_llPT13_lli.num_agpr, 0
	.set _ZN12_GLOBAL__N_127rocblas_gemm_batched_kernelIfLi16ELi16ELi32ELi32ELi8ELi32ELi8ELi8ELi32ELc67ELc78EKPK16rocblas_bfloat16KPKfKPfEEvlllT_PT11_llSC_llSA_PT12_llPT13_lli.numbered_sgpr, 36
	.set _ZN12_GLOBAL__N_127rocblas_gemm_batched_kernelIfLi16ELi16ELi32ELi32ELi8ELi32ELi8ELi8ELi32ELc67ELc78EKPK16rocblas_bfloat16KPKfKPfEEvlllT_PT11_llSC_llSA_PT12_llPT13_lli.num_named_barrier, 0
	.set _ZN12_GLOBAL__N_127rocblas_gemm_batched_kernelIfLi16ELi16ELi32ELi32ELi8ELi32ELi8ELi8ELi32ELc67ELc78EKPK16rocblas_bfloat16KPKfKPfEEvlllT_PT11_llSC_llSA_PT12_llPT13_lli.private_seg_size, 0
	.set _ZN12_GLOBAL__N_127rocblas_gemm_batched_kernelIfLi16ELi16ELi32ELi32ELi8ELi32ELi8ELi8ELi32ELc67ELc78EKPK16rocblas_bfloat16KPKfKPfEEvlllT_PT11_llSC_llSA_PT12_llPT13_lli.uses_vcc, 1
	.set _ZN12_GLOBAL__N_127rocblas_gemm_batched_kernelIfLi16ELi16ELi32ELi32ELi8ELi32ELi8ELi8ELi32ELc67ELc78EKPK16rocblas_bfloat16KPKfKPfEEvlllT_PT11_llSC_llSA_PT12_llPT13_lli.uses_flat_scratch, 1
	.set _ZN12_GLOBAL__N_127rocblas_gemm_batched_kernelIfLi16ELi16ELi32ELi32ELi8ELi32ELi8ELi8ELi32ELc67ELc78EKPK16rocblas_bfloat16KPKfKPfEEvlllT_PT11_llSC_llSA_PT12_llPT13_lli.has_dyn_sized_stack, 0
	.set _ZN12_GLOBAL__N_127rocblas_gemm_batched_kernelIfLi16ELi16ELi32ELi32ELi8ELi32ELi8ELi8ELi32ELc67ELc78EKPK16rocblas_bfloat16KPKfKPfEEvlllT_PT11_llSC_llSA_PT12_llPT13_lli.has_recursion, 0
	.set _ZN12_GLOBAL__N_127rocblas_gemm_batched_kernelIfLi16ELi16ELi32ELi32ELi8ELi32ELi8ELi8ELi32ELc67ELc78EKPK16rocblas_bfloat16KPKfKPfEEvlllT_PT11_llSC_llSA_PT12_llPT13_lli.has_indirect_call, 0
	.section	.AMDGPU.csdata,"",@progbits
; Kernel info:
; codeLenInByte = 1420
; TotalNumSgprs: 38
; NumVgprs: 62
; ScratchSize: 0
; MemoryBound: 0
; FloatMode: 240
; IeeeMode: 1
; LDSByteSize: 2048 bytes/workgroup (compile time only)
; SGPRBlocks: 0
; VGPRBlocks: 3
; NumSGPRsForWavesPerEU: 38
; NumVGPRsForWavesPerEU: 62
; NamedBarCnt: 0
; Occupancy: 16
; WaveLimiterHint : 1
; COMPUTE_PGM_RSRC2:SCRATCH_EN: 0
; COMPUTE_PGM_RSRC2:USER_SGPR: 2
; COMPUTE_PGM_RSRC2:TRAP_HANDLER: 0
; COMPUTE_PGM_RSRC2:TGID_X_EN: 1
; COMPUTE_PGM_RSRC2:TGID_Y_EN: 1
; COMPUTE_PGM_RSRC2:TGID_Z_EN: 1
; COMPUTE_PGM_RSRC2:TIDIG_COMP_CNT: 1
	.section	.text._ZN12_GLOBAL__N_127rocblas_gemm_batched_kernelIfLi16ELi16ELi32ELi32ELi8ELi32ELi8ELi8ELi32ELc67ELc84EKPK16rocblas_bfloat16KPKfKPfEEvlllT_PT11_llSC_llSA_PT12_llPT13_lli,"axG",@progbits,_ZN12_GLOBAL__N_127rocblas_gemm_batched_kernelIfLi16ELi16ELi32ELi32ELi8ELi32ELi8ELi8ELi32ELc67ELc84EKPK16rocblas_bfloat16KPKfKPfEEvlllT_PT11_llSC_llSA_PT12_llPT13_lli,comdat
	.globl	_ZN12_GLOBAL__N_127rocblas_gemm_batched_kernelIfLi16ELi16ELi32ELi32ELi8ELi32ELi8ELi8ELi32ELc67ELc84EKPK16rocblas_bfloat16KPKfKPfEEvlllT_PT11_llSC_llSA_PT12_llPT13_lli ; -- Begin function _ZN12_GLOBAL__N_127rocblas_gemm_batched_kernelIfLi16ELi16ELi32ELi32ELi8ELi32ELi8ELi8ELi32ELc67ELc84EKPK16rocblas_bfloat16KPKfKPfEEvlllT_PT11_llSC_llSA_PT12_llPT13_lli
	.p2align	8
	.type	_ZN12_GLOBAL__N_127rocblas_gemm_batched_kernelIfLi16ELi16ELi32ELi32ELi8ELi32ELi8ELi8ELi32ELc67ELc84EKPK16rocblas_bfloat16KPKfKPfEEvlllT_PT11_llSC_llSA_PT12_llPT13_lli,@function
_ZN12_GLOBAL__N_127rocblas_gemm_batched_kernelIfLi16ELi16ELi32ELi32ELi8ELi32ELi8ELi8ELi32ELc67ELc84EKPK16rocblas_bfloat16KPKfKPfEEvlllT_PT11_llSC_llSA_PT12_llPT13_lli: ; @_ZN12_GLOBAL__N_127rocblas_gemm_batched_kernelIfLi16ELi16ELi32ELi32ELi8ELi32ELi8ELi8ELi32ELc67ELc84EKPK16rocblas_bfloat16KPKfKPfEEvlllT_PT11_llSC_llSA_PT12_llPT13_lli
; %bb.0:
	s_load_b32 s31, s[0:1], 0x88
	s_bfe_u32 s2, ttmp6, 0x40014
	s_lshr_b32 s3, ttmp7, 16
	s_add_co_i32 s2, s2, 1
	s_bfe_u32 s4, ttmp6, 0x40008
	s_mul_i32 s2, s3, s2
	s_getreg_b32 s28, hwreg(HW_REG_IB_STS2, 6, 4)
	s_add_co_i32 s4, s4, s2
	s_cmp_eq_u32 s28, 0
	s_cselect_b32 s2, s3, s4
	s_mov_b32 s3, 0
	s_wait_kmcnt 0x0
	s_cmp_ge_i32 s2, s31
	s_cbranch_scc1 .LBB182_10
; %bb.1:
	v_bfe_u32 v2, v0, 10, 10
	v_and_b32_e32 v6, 0x3ff, v0
	s_bfe_u32 s29, ttmp6, 0x4000c
	s_bfe_u32 s33, ttmp6, 0x40010
	s_add_co_i32 s29, s29, 1
	s_and_b32 s34, ttmp7, 0xffff
	s_add_co_i32 s33, s33, 1
	s_clause 0x3
	s_load_b256 s[4:11], s[0:1], 0x20
	s_load_b128 s[24:27], s[0:1], 0x40
	s_load_b128 s[20:23], s[0:1], 0x78
	s_load_b256 s[12:19], s[0:1], 0x58
	s_and_b32 s30, ttmp6, 15
	s_mul_i32 s29, ttmp9, s29
	s_mul_i32 s33, s34, s33
	s_bfe_u32 s35, ttmp6, 0x40004
	v_lshl_add_u32 v7, v2, 4, v6
	s_add_co_i32 s30, s30, s29
	s_add_co_i32 s35, s35, s33
	s_cmp_eq_u32 s28, 0
	s_delay_alu instid0(VALU_DEP_1)
	v_dual_mov_b32 v3, 0 :: v_dual_bitop2_b32 v14, 31, v7 bitop3:0x40
	s_cselect_b32 s28, ttmp9, s30
	s_cselect_b32 s30, s34, s35
	s_ashr_i32 s29, s28, 31
	v_lshrrev_b32_e32 v8, 3, v7
	s_lshl_b64 s[34:35], s[28:29], 5
	s_delay_alu instid0(SALU_CYCLE_1)
	v_dual_mov_b32 v1, s35 :: v_dual_bitop2_b32 v15, 7, v0 bitop3:0x40
	v_dual_mov_b32 v9, v3 :: v_dual_bitop2_b32 v0, s34, v14 bitop3:0x54
	v_lshrrev_b32_e32 v16, 5, v7
	s_load_b32 s33, s[0:1], 0x50
	v_lshlrev_b32_e32 v14, 2, v14
	s_wait_kmcnt 0x0
	v_mul_u64_e32 v[10:11], s[6:7], v[0:1]
	s_lshl_b32 s6, s30, 5
	v_mad_nc_u64_u32 v[12:13], s24, v15, v[8:9]
	s_mov_b32 s7, s3
	s_load_b96 s[28:30], s[0:1], 0x10
	v_add_nc_u64_e32 v[4:5], s[6:7], v[2:3]
	v_dual_lshlrev_b32 v9, 2, v15 :: v_dual_mov_b32 v7, v3
	v_lshlrev_b32_e32 v26, 2, v6
	v_lshl_or_b32 v24, v16, 7, v14
	v_lshl_add_u32 v27, v2, 5, 0x400
	v_lshlrev_b32_e32 v2, 1, v16
	v_mul_u64_e32 v[0:1], s[20:21], v[4:5]
	v_mul_u64_e32 v[4:5], s[14:15], v[4:5]
	v_mad_u32 v13, s25, v15, v13
	v_lshl_or_b32 v15, v8, 5, v9
	s_cmp_eq_f32 s33, 0
	s_delay_alu instid0(VALU_DEP_1)
	v_add_nc_u32_e32 v25, 0x400, v15
	s_wait_xcnt 0x0
	s_cselect_b32 s1, -1, 0
	s_lshl_b64 s[16:17], s[16:17], 2
	s_wait_kmcnt 0x0
	v_cmp_gt_i64_e64 s0, s[28:29], 0
	s_delay_alu instid0(VALU_DEP_4)
	v_add_nc_u64_e32 v[8:9], s[6:7], v[12:13]
	v_add_nc_u64_e32 v[12:13], s[34:35], v[6:7]
	s_lshl_b64 s[6:7], s[8:9], 1
	s_lshl_b64 s[8:9], s[14:15], 4
	;; [unrolled: 1-line block ×3, first 2 shown]
	v_cndmask_b32_e64 v16, 0, 1, s0
	s_delay_alu instid0(VALU_DEP_3)
	v_lshlrev_b64_e32 v[14:15], 1, v[8:9]
	v_lshl_add_u64 v[6:7], v[10:11], 1, s[6:7]
	v_lshlrev_b64_e32 v[8:9], 2, v[12:13]
	s_lshl_b64 s[6:7], s[20:21], 4
	v_cmp_ne_u32_e64 s0, 1, v16
	s_lshl_b64 s[20:21], s[22:23], 2
	v_add_nc_u64_e32 v[6:7], v[6:7], v[2:3]
	v_lshl_add_u64 v[10:11], s[26:27], 1, v[14:15]
	s_branch .LBB182_3
.LBB182_2:                              ;   in Loop: Header=BB182_3 Depth=1
	s_add_co_i32 s2, s2, 0x10000
	s_delay_alu instid0(SALU_CYCLE_1)
	s_cmp_lt_i32 s2, s31
	s_cbranch_scc0 .LBB182_10
.LBB182_3:                              ; =>This Loop Header: Depth=1
                                        ;     Child Loop BB182_5 Depth 2
	s_wait_xcnt 0x0
	v_dual_mov_b32 v2, s2 :: v_dual_mov_b32 v19, 0
	v_dual_mov_b32 v18, 0 :: v_dual_mov_b32 v15, 0
	v_mov_b32_e32 v14, 0
	s_clause 0x1
	global_load_b64 v[12:13], v2, s[12:13] scale_offset
	global_load_b64 v[16:17], v2, s[18:19] scale_offset
	s_and_b32 vcc_lo, exec_lo, s0
	s_cbranch_vccnz .LBB182_6
; %bb.4:                                ;   in Loop: Header=BB182_3 Depth=1
	s_lshl_b64 s[22:23], s[2:3], 3
	v_mov_b32_e32 v14, 0
	s_add_nc_u64 s[24:25], s[10:11], s[22:23]
	s_add_nc_u64 s[22:23], s[4:5], s[22:23]
	s_clause 0x1
	global_load_b64 v[18:19], v3, s[24:25]
	global_load_b64 v[22:23], v3, s[22:23]
	s_wait_xcnt 0x0
	s_mov_b64 s[22:23], 0
	v_mov_b32_e32 v15, v14
	s_wait_loadcnt 0x1
	v_add_nc_u64_e32 v[20:21], v[18:19], v[10:11]
	s_wait_loadcnt 0x0
	v_add_nc_u64_e32 v[22:23], v[22:23], v[6:7]
	v_dual_mov_b32 v18, v14 :: v_dual_mov_b32 v19, v14
.LBB182_5:                              ;   Parent Loop BB182_3 Depth=1
                                        ; =>  This Inner Loop Header: Depth=2
	flat_load_u16 v2, v[22:23]
	flat_load_u16 v28, v[20:21]
	s_add_nc_u64 s[22:23], s[22:23], 8
	s_wait_xcnt 0x0
	v_add_nc_u64_e32 v[20:21], s[14:15], v[20:21]
	v_cmp_lt_i64_e64 s24, s[22:23], s[28:29]
	v_add_nc_u64_e32 v[22:23], 16, v[22:23]
	s_and_b32 vcc_lo, exec_lo, s24
	s_wait_loadcnt_dscnt 0x0
	v_dual_lshlrev_b32 v2, 16, v2 :: v_dual_lshlrev_b32 v28, 16, v28
	ds_store_b32 v24, v2
	ds_store_b32 v25, v28
	s_wait_dscnt 0x0
	s_barrier_signal -1
	s_barrier_wait -1
	ds_load_2addr_b32 v[44:45], v26 offset1:16
	ds_load_2addr_b32 v[46:47], v26 offset0:32 offset1:48
	ds_load_b128 v[28:31], v27
	ds_load_2addr_b32 v[48:49], v26 offset0:64 offset1:80
	ds_load_b128 v[32:35], v27 offset:512
	ds_load_2addr_b32 v[50:51], v26 offset0:96 offset1:112
	ds_load_b128 v[36:39], v27 offset:16
	ds_load_2addr_b32 v[52:53], v26 offset0:128 offset1:144
	ds_load_b128 v[40:43], v27 offset:528
	ds_load_2addr_b32 v[54:55], v26 offset0:160 offset1:176
	ds_load_2addr_b32 v[56:57], v26 offset0:192 offset1:208
	;; [unrolled: 1-line block ×3, first 2 shown]
	s_wait_dscnt 0x0
	s_barrier_signal -1
	s_barrier_wait -1
	v_dual_mov_b32 v60, v45 :: v_dual_mov_b32 v61, v44
	v_dual_mov_b32 v44, v47 :: v_dual_mov_b32 v45, v46
	;; [unrolled: 1-line block ×3, first 2 shown]
	s_delay_alu instid0(VALU_DEP_3) | instskip(SKIP_3) | instid1(VALU_DEP_4)
	v_pk_fma_f32 v[18:19], v[60:61], v[28:29], v[18:19] op_sel_hi:[1,0,1]
	v_pk_fma_f32 v[14:15], v[60:61], v[32:33], v[14:15] op_sel_hi:[1,0,1]
	v_dual_mov_b32 v48, v51 :: v_dual_mov_b32 v49, v50
	v_mov_b32_e32 v2, v31
	v_pk_fma_f32 v[18:19], v[44:45], v[28:29], v[18:19] op_sel:[0,1,0]
	s_delay_alu instid0(VALU_DEP_4) | instskip(SKIP_2) | instid1(VALU_DEP_4)
	v_pk_fma_f32 v[14:15], v[44:45], v[32:33], v[14:15] op_sel:[0,1,0]
	v_dual_mov_b32 v28, v35 :: v_dual_mov_b32 v32, v59
	v_mov_b32_e32 v33, v58
	v_pk_fma_f32 v[18:19], v[46:47], v[30:31], v[18:19] op_sel_hi:[1,0,1]
	s_delay_alu instid0(VALU_DEP_4) | instskip(SKIP_1) | instid1(VALU_DEP_3)
	v_pk_fma_f32 v[14:15], v[46:47], v[34:35], v[14:15] op_sel_hi:[1,0,1]
	v_dual_mov_b32 v30, v53 :: v_dual_mov_b32 v31, v52
	v_pk_fma_f32 v[18:19], v[48:49], v[2:3], v[18:19] op_sel_hi:[1,0,1]
	s_delay_alu instid0(VALU_DEP_3) | instskip(SKIP_2) | instid1(VALU_DEP_4)
	v_pk_fma_f32 v[14:15], v[48:49], v[28:29], v[14:15] op_sel_hi:[1,0,1]
	v_dual_mov_b32 v28, v55 :: v_dual_mov_b32 v29, v54
	v_mov_b32_e32 v2, v39
	v_pk_fma_f32 v[18:19], v[30:31], v[36:37], v[18:19] op_sel_hi:[1,0,1]
	s_delay_alu instid0(VALU_DEP_4) | instskip(SKIP_1) | instid1(VALU_DEP_3)
	v_pk_fma_f32 v[14:15], v[30:31], v[40:41], v[14:15] op_sel_hi:[1,0,1]
	v_dual_mov_b32 v30, v57 :: v_dual_mov_b32 v31, v56
	v_pk_fma_f32 v[18:19], v[28:29], v[36:37], v[18:19] op_sel:[0,1,0]
	s_delay_alu instid0(VALU_DEP_3) | instskip(SKIP_1) | instid1(VALU_DEP_3)
	v_pk_fma_f32 v[14:15], v[28:29], v[40:41], v[14:15] op_sel:[0,1,0]
	v_mov_b32_e32 v28, v43
	v_pk_fma_f32 v[18:19], v[30:31], v[38:39], v[18:19] op_sel_hi:[1,0,1]
	s_delay_alu instid0(VALU_DEP_3) | instskip(NEXT) | instid1(VALU_DEP_2)
	v_pk_fma_f32 v[14:15], v[30:31], v[42:43], v[14:15] op_sel_hi:[1,0,1]
	v_pk_fma_f32 v[18:19], v[32:33], v[2:3], v[18:19] op_sel_hi:[1,0,1]
	s_delay_alu instid0(VALU_DEP_2)
	v_pk_fma_f32 v[14:15], v[32:33], v[28:29], v[14:15] op_sel_hi:[1,0,1]
	s_cbranch_vccnz .LBB182_5
.LBB182_6:                              ;   in Loop: Header=BB182_3 Depth=1
	s_wait_loadcnt 0x0
	v_add_nc_u64_e32 v[16:17], s[20:21], v[16:17]
	s_and_not1_b32 vcc_lo, exec_lo, s1
	s_delay_alu instid0(VALU_DEP_1) | instskip(NEXT) | instid1(VALU_DEP_1)
	v_lshl_add_u64 v[16:17], v[0:1], 2, v[16:17]
	v_add_nc_u64_e32 v[20:21], v[16:17], v[8:9]
	v_lshl_add_u64 v[16:17], s[6:7], 2, v[16:17]
	s_cbranch_vccnz .LBB182_8
; %bb.7:                                ;   in Loop: Header=BB182_3 Depth=1
	s_delay_alu instid0(VALU_DEP_1)
	v_add_nc_u64_e32 v[22:23], v[16:17], v[8:9]
	s_wait_xcnt 0x0
	v_dual_mul_f32 v2, s30, v19 :: v_dual_mul_f32 v28, s30, v18
	v_dual_mul_f32 v29, s30, v15 :: v_dual_mul_f32 v30, s30, v14
	s_clause 0x3
	flat_store_b32 v[20:21], v2
	flat_store_b32 v[20:21], v28 offset:64
	flat_store_b32 v[22:23], v29
	flat_store_b32 v[22:23], v30 offset:64
	s_cbranch_execnz .LBB182_2
	s_branch .LBB182_9
.LBB182_8:                              ;   in Loop: Header=BB182_3 Depth=1
.LBB182_9:                              ;   in Loop: Header=BB182_3 Depth=1
	v_add_nc_u64_e32 v[12:13], s[16:17], v[12:13]
	s_delay_alu instid0(VALU_DEP_2) | instskip(NEXT) | instid1(VALU_DEP_2)
	v_add_nc_u64_e32 v[16:17], v[16:17], v[8:9]
	v_lshl_add_u64 v[12:13], v[4:5], 2, v[12:13]
	s_wait_xcnt 0x0
	s_delay_alu instid0(VALU_DEP_1) | instskip(SKIP_1) | instid1(VALU_DEP_1)
	v_add_nc_u64_e32 v[22:23], v[12:13], v[8:9]
	v_lshl_add_u64 v[12:13], s[8:9], 2, v[12:13]
	v_add_nc_u64_e32 v[12:13], v[12:13], v[8:9]
	flat_load_b32 v2, v[22:23]
	s_wait_loadcnt_dscnt 0x0
	v_mul_f32_e32 v2, s33, v2
	s_delay_alu instid0(VALU_DEP_1) | instskip(SKIP_4) | instid1(VALU_DEP_1)
	v_fmac_f32_e32 v2, s30, v19
	flat_store_b32 v[20:21], v2
	flat_load_b32 v2, v[22:23] offset:64
	s_wait_loadcnt_dscnt 0x0
	v_mul_f32_e32 v2, s33, v2
	v_fmac_f32_e32 v2, s30, v18
	flat_store_b32 v[20:21], v2 offset:64
	flat_load_b32 v2, v[12:13]
	s_wait_loadcnt_dscnt 0x0
	v_mul_f32_e32 v2, s33, v2
	s_delay_alu instid0(VALU_DEP_1) | instskip(SKIP_4) | instid1(VALU_DEP_1)
	v_fmac_f32_e32 v2, s30, v15
	flat_store_b32 v[16:17], v2
	flat_load_b32 v2, v[12:13] offset:64
	s_wait_loadcnt_dscnt 0x0
	v_mul_f32_e32 v2, s33, v2
	v_fmac_f32_e32 v2, s30, v14
	flat_store_b32 v[16:17], v2 offset:64
	s_branch .LBB182_2
.LBB182_10:
	s_endpgm
	.section	.rodata,"a",@progbits
	.p2align	6, 0x0
	.amdhsa_kernel _ZN12_GLOBAL__N_127rocblas_gemm_batched_kernelIfLi16ELi16ELi32ELi32ELi8ELi32ELi8ELi8ELi32ELc67ELc84EKPK16rocblas_bfloat16KPKfKPfEEvlllT_PT11_llSC_llSA_PT12_llPT13_lli
		.amdhsa_group_segment_fixed_size 2048
		.amdhsa_private_segment_fixed_size 0
		.amdhsa_kernarg_size 140
		.amdhsa_user_sgpr_count 2
		.amdhsa_user_sgpr_dispatch_ptr 0
		.amdhsa_user_sgpr_queue_ptr 0
		.amdhsa_user_sgpr_kernarg_segment_ptr 1
		.amdhsa_user_sgpr_dispatch_id 0
		.amdhsa_user_sgpr_kernarg_preload_length 0
		.amdhsa_user_sgpr_kernarg_preload_offset 0
		.amdhsa_user_sgpr_private_segment_size 0
		.amdhsa_wavefront_size32 1
		.amdhsa_uses_dynamic_stack 0
		.amdhsa_enable_private_segment 0
		.amdhsa_system_sgpr_workgroup_id_x 1
		.amdhsa_system_sgpr_workgroup_id_y 1
		.amdhsa_system_sgpr_workgroup_id_z 1
		.amdhsa_system_sgpr_workgroup_info 0
		.amdhsa_system_vgpr_workitem_id 1
		.amdhsa_next_free_vgpr 62
		.amdhsa_next_free_sgpr 36
		.amdhsa_named_barrier_count 0
		.amdhsa_reserve_vcc 1
		.amdhsa_float_round_mode_32 0
		.amdhsa_float_round_mode_16_64 0
		.amdhsa_float_denorm_mode_32 3
		.amdhsa_float_denorm_mode_16_64 3
		.amdhsa_fp16_overflow 0
		.amdhsa_memory_ordered 1
		.amdhsa_forward_progress 1
		.amdhsa_inst_pref_size 12
		.amdhsa_round_robin_scheduling 0
		.amdhsa_exception_fp_ieee_invalid_op 0
		.amdhsa_exception_fp_denorm_src 0
		.amdhsa_exception_fp_ieee_div_zero 0
		.amdhsa_exception_fp_ieee_overflow 0
		.amdhsa_exception_fp_ieee_underflow 0
		.amdhsa_exception_fp_ieee_inexact 0
		.amdhsa_exception_int_div_zero 0
	.end_amdhsa_kernel
	.section	.text._ZN12_GLOBAL__N_127rocblas_gemm_batched_kernelIfLi16ELi16ELi32ELi32ELi8ELi32ELi8ELi8ELi32ELc67ELc84EKPK16rocblas_bfloat16KPKfKPfEEvlllT_PT11_llSC_llSA_PT12_llPT13_lli,"axG",@progbits,_ZN12_GLOBAL__N_127rocblas_gemm_batched_kernelIfLi16ELi16ELi32ELi32ELi8ELi32ELi8ELi8ELi32ELc67ELc84EKPK16rocblas_bfloat16KPKfKPfEEvlllT_PT11_llSC_llSA_PT12_llPT13_lli,comdat
.Lfunc_end182:
	.size	_ZN12_GLOBAL__N_127rocblas_gemm_batched_kernelIfLi16ELi16ELi32ELi32ELi8ELi32ELi8ELi8ELi32ELc67ELc84EKPK16rocblas_bfloat16KPKfKPfEEvlllT_PT11_llSC_llSA_PT12_llPT13_lli, .Lfunc_end182-_ZN12_GLOBAL__N_127rocblas_gemm_batched_kernelIfLi16ELi16ELi32ELi32ELi8ELi32ELi8ELi8ELi32ELc67ELc84EKPK16rocblas_bfloat16KPKfKPfEEvlllT_PT11_llSC_llSA_PT12_llPT13_lli
                                        ; -- End function
	.set _ZN12_GLOBAL__N_127rocblas_gemm_batched_kernelIfLi16ELi16ELi32ELi32ELi8ELi32ELi8ELi8ELi32ELc67ELc84EKPK16rocblas_bfloat16KPKfKPfEEvlllT_PT11_llSC_llSA_PT12_llPT13_lli.num_vgpr, 62
	.set _ZN12_GLOBAL__N_127rocblas_gemm_batched_kernelIfLi16ELi16ELi32ELi32ELi8ELi32ELi8ELi8ELi32ELc67ELc84EKPK16rocblas_bfloat16KPKfKPfEEvlllT_PT11_llSC_llSA_PT12_llPT13_lli.num_agpr, 0
	.set _ZN12_GLOBAL__N_127rocblas_gemm_batched_kernelIfLi16ELi16ELi32ELi32ELi8ELi32ELi8ELi8ELi32ELc67ELc84EKPK16rocblas_bfloat16KPKfKPfEEvlllT_PT11_llSC_llSA_PT12_llPT13_lli.numbered_sgpr, 36
	.set _ZN12_GLOBAL__N_127rocblas_gemm_batched_kernelIfLi16ELi16ELi32ELi32ELi8ELi32ELi8ELi8ELi32ELc67ELc84EKPK16rocblas_bfloat16KPKfKPfEEvlllT_PT11_llSC_llSA_PT12_llPT13_lli.num_named_barrier, 0
	.set _ZN12_GLOBAL__N_127rocblas_gemm_batched_kernelIfLi16ELi16ELi32ELi32ELi8ELi32ELi8ELi8ELi32ELc67ELc84EKPK16rocblas_bfloat16KPKfKPfEEvlllT_PT11_llSC_llSA_PT12_llPT13_lli.private_seg_size, 0
	.set _ZN12_GLOBAL__N_127rocblas_gemm_batched_kernelIfLi16ELi16ELi32ELi32ELi8ELi32ELi8ELi8ELi32ELc67ELc84EKPK16rocblas_bfloat16KPKfKPfEEvlllT_PT11_llSC_llSA_PT12_llPT13_lli.uses_vcc, 1
	.set _ZN12_GLOBAL__N_127rocblas_gemm_batched_kernelIfLi16ELi16ELi32ELi32ELi8ELi32ELi8ELi8ELi32ELc67ELc84EKPK16rocblas_bfloat16KPKfKPfEEvlllT_PT11_llSC_llSA_PT12_llPT13_lli.uses_flat_scratch, 1
	.set _ZN12_GLOBAL__N_127rocblas_gemm_batched_kernelIfLi16ELi16ELi32ELi32ELi8ELi32ELi8ELi8ELi32ELc67ELc84EKPK16rocblas_bfloat16KPKfKPfEEvlllT_PT11_llSC_llSA_PT12_llPT13_lli.has_dyn_sized_stack, 0
	.set _ZN12_GLOBAL__N_127rocblas_gemm_batched_kernelIfLi16ELi16ELi32ELi32ELi8ELi32ELi8ELi8ELi32ELc67ELc84EKPK16rocblas_bfloat16KPKfKPfEEvlllT_PT11_llSC_llSA_PT12_llPT13_lli.has_recursion, 0
	.set _ZN12_GLOBAL__N_127rocblas_gemm_batched_kernelIfLi16ELi16ELi32ELi32ELi8ELi32ELi8ELi8ELi32ELc67ELc84EKPK16rocblas_bfloat16KPKfKPfEEvlllT_PT11_llSC_llSA_PT12_llPT13_lli.has_indirect_call, 0
	.section	.AMDGPU.csdata,"",@progbits
; Kernel info:
; codeLenInByte = 1444
; TotalNumSgprs: 38
; NumVgprs: 62
; ScratchSize: 0
; MemoryBound: 0
; FloatMode: 240
; IeeeMode: 1
; LDSByteSize: 2048 bytes/workgroup (compile time only)
; SGPRBlocks: 0
; VGPRBlocks: 3
; NumSGPRsForWavesPerEU: 38
; NumVGPRsForWavesPerEU: 62
; NamedBarCnt: 0
; Occupancy: 16
; WaveLimiterHint : 1
; COMPUTE_PGM_RSRC2:SCRATCH_EN: 0
; COMPUTE_PGM_RSRC2:USER_SGPR: 2
; COMPUTE_PGM_RSRC2:TRAP_HANDLER: 0
; COMPUTE_PGM_RSRC2:TGID_X_EN: 1
; COMPUTE_PGM_RSRC2:TGID_Y_EN: 1
; COMPUTE_PGM_RSRC2:TGID_Z_EN: 1
; COMPUTE_PGM_RSRC2:TIDIG_COMP_CNT: 1
	.section	.text._ZN12_GLOBAL__N_127rocblas_gemm_batched_kernelIfLi16ELi16ELi32ELi32ELi8ELi32ELi8ELi8ELi32ELc78ELc67EKPK16rocblas_bfloat16KPKfKPfEEvlllT_PT11_llSC_llSA_PT12_llPT13_lli,"axG",@progbits,_ZN12_GLOBAL__N_127rocblas_gemm_batched_kernelIfLi16ELi16ELi32ELi32ELi8ELi32ELi8ELi8ELi32ELc78ELc67EKPK16rocblas_bfloat16KPKfKPfEEvlllT_PT11_llSC_llSA_PT12_llPT13_lli,comdat
	.globl	_ZN12_GLOBAL__N_127rocblas_gemm_batched_kernelIfLi16ELi16ELi32ELi32ELi8ELi32ELi8ELi8ELi32ELc78ELc67EKPK16rocblas_bfloat16KPKfKPfEEvlllT_PT11_llSC_llSA_PT12_llPT13_lli ; -- Begin function _ZN12_GLOBAL__N_127rocblas_gemm_batched_kernelIfLi16ELi16ELi32ELi32ELi8ELi32ELi8ELi8ELi32ELc78ELc67EKPK16rocblas_bfloat16KPKfKPfEEvlllT_PT11_llSC_llSA_PT12_llPT13_lli
	.p2align	8
	.type	_ZN12_GLOBAL__N_127rocblas_gemm_batched_kernelIfLi16ELi16ELi32ELi32ELi8ELi32ELi8ELi8ELi32ELc78ELc67EKPK16rocblas_bfloat16KPKfKPfEEvlllT_PT11_llSC_llSA_PT12_llPT13_lli,@function
_ZN12_GLOBAL__N_127rocblas_gemm_batched_kernelIfLi16ELi16ELi32ELi32ELi8ELi32ELi8ELi8ELi32ELc78ELc67EKPK16rocblas_bfloat16KPKfKPfEEvlllT_PT11_llSC_llSA_PT12_llPT13_lli: ; @_ZN12_GLOBAL__N_127rocblas_gemm_batched_kernelIfLi16ELi16ELi32ELi32ELi8ELi32ELi8ELi8ELi32ELc78ELc67EKPK16rocblas_bfloat16KPKfKPfEEvlllT_PT11_llSC_llSA_PT12_llPT13_lli
; %bb.0:
	s_load_b32 s31, s[0:1], 0x88
	s_bfe_u32 s2, ttmp6, 0x40014
	s_lshr_b32 s3, ttmp7, 16
	s_add_co_i32 s2, s2, 1
	s_bfe_u32 s4, ttmp6, 0x40008
	s_mul_i32 s2, s3, s2
	s_getreg_b32 s28, hwreg(HW_REG_IB_STS2, 6, 4)
	s_add_co_i32 s4, s4, s2
	s_cmp_eq_u32 s28, 0
	s_cselect_b32 s2, s3, s4
	s_mov_b32 s3, 0
	s_wait_kmcnt 0x0
	s_cmp_ge_i32 s2, s31
	s_cbranch_scc1 .LBB183_10
; %bb.1:
	s_clause 0x2
	s_load_b256 s[4:11], s[0:1], 0x20
	s_load_b128 s[24:27], s[0:1], 0x40
	s_load_b32 s33, s[0:1], 0x50
	v_bfe_u32 v2, v0, 10, 10
	v_and_b32_e32 v6, 0x3ff, v0
	s_bfe_u32 s29, ttmp6, 0x4000c
	s_bfe_u32 s34, ttmp6, 0x40010
	s_add_co_i32 s29, s29, 1
	s_and_b32 s35, ttmp7, 0xffff
	s_add_co_i32 s34, s34, 1
	v_lshl_add_u32 v1, v2, 4, v6
	v_dual_mov_b32 v3, 0 :: v_dual_bitop2_b32 v0, 7, v0 bitop3:0x40
	s_clause 0x1
	s_load_b128 s[20:23], s[0:1], 0x78
	s_load_b256 s[12:19], s[0:1], 0x58
	s_and_b32 s30, ttmp6, 15
	s_mul_i32 s29, ttmp9, s29
	s_mul_i32 s34, s35, s34
	s_bfe_u32 s36, ttmp6, 0x40004
	s_add_co_i32 s30, s30, s29
	s_add_co_i32 s36, s36, s34
	s_cmp_eq_u32 s28, 0
	v_dual_mov_b32 v9, v3 :: v_dual_lshrrev_b32 v8, 3, v1
	s_cselect_b32 s28, ttmp9, s30
	v_dual_lshrrev_b32 v16, 5, v1 :: v_dual_bitop2_b32 v14, 31, v1 bitop3:0x40
	s_cselect_b32 s30, s35, s36
	s_ashr_i32 s29, s28, 31
	s_wait_kmcnt 0x0
	v_mad_nc_u64_u32 v[10:11], s24, v0, v[8:9]
	s_lshl_b64 s[34:35], s[28:29], 5
	s_lshl_b32 s36, s30, 5
	s_mov_b32 s37, s3
	v_mad_nc_u64_u32 v[12:13], s6, v16, s[34:35]
	v_add_nc_u64_e32 v[4:5], s[36:37], v[2:3]
	s_load_b96 s[28:30], s[0:1], 0x10
	v_dual_lshlrev_b32 v7, 2, v0 :: v_dual_lshlrev_b32 v9, 2, v14
	v_dual_mov_b32 v15, v3 :: v_dual_lshlrev_b32 v26, 2, v6
	v_mad_u32 v11, s25, v0, v11
	s_delay_alu instid0(VALU_DEP_4)
	v_mul_u64_e32 v[0:1], s[20:21], v[4:5]
	v_mul_u64_e32 v[4:5], s[14:15], v[4:5]
	v_lshl_or_b32 v17, v8, 5, v7
	v_mad_u32 v13, s7, v16, v13
	v_mov_b32_e32 v7, v3
	v_lshl_or_b32 v24, v16, 7, v9
	s_cmp_eq_f32 s33, 0
	v_add_nc_u32_e32 v25, 0x400, v17
	v_lshl_add_u32 v2, v2, 5, 0x400
	v_add_nc_u64_e32 v[8:9], s[36:37], v[10:11]
	s_wait_xcnt 0x0
	s_cselect_b32 s1, -1, 0
	s_lshl_b64 s[20:21], s[20:21], 4
	s_lshl_b64 s[14:15], s[14:15], 4
	v_add_nc_u64_e32 v[10:11], v[12:13], v[14:15]
	s_wait_kmcnt 0x0
	v_cmp_gt_i64_e64 s0, s[28:29], 0
	v_add_nc_u64_e32 v[12:13], s[34:35], v[6:7]
	v_lshlrev_b64_e32 v[8:9], 1, v[8:9]
	s_lshl_b64 s[24:25], s[24:25], 4
	s_lshl_b64 s[6:7], s[6:7], 4
	;; [unrolled: 1-line block ×3, first 2 shown]
	v_lshlrev_b64_e32 v[10:11], 1, v[10:11]
	v_cndmask_b32_e64 v14, 0, 1, s0
	s_delay_alu instid0(VALU_DEP_3) | instskip(SKIP_1) | instid1(VALU_DEP_3)
	v_lshl_add_u64 v[6:7], s[26:27], 1, v[8:9]
	v_lshlrev_b64_e32 v[8:9], 2, v[12:13]
	v_cmp_ne_u32_e64 s0, 1, v14
	v_lshl_add_u64 v[10:11], s[8:9], 1, v[10:11]
	s_lshl_b64 s[8:9], s[22:23], 2
	s_branch .LBB183_3
.LBB183_2:                              ;   in Loop: Header=BB183_3 Depth=1
	s_add_co_i32 s2, s2, 0x10000
	s_delay_alu instid0(SALU_CYCLE_1)
	s_cmp_lt_i32 s2, s31
	s_cbranch_scc0 .LBB183_10
.LBB183_3:                              ; =>This Loop Header: Depth=1
                                        ;     Child Loop BB183_5 Depth 2
	v_dual_mov_b32 v14, s2 :: v_dual_mov_b32 v19, 0
	v_dual_mov_b32 v18, 0 :: v_dual_mov_b32 v15, 0
	s_and_b32 vcc_lo, exec_lo, s0
	s_clause 0x1
	global_load_b64 v[12:13], v14, s[12:13] scale_offset
	global_load_b64 v[16:17], v14, s[18:19] scale_offset
	s_wait_xcnt 0x0
	v_mov_b32_e32 v14, 0
	s_cbranch_vccnz .LBB183_6
; %bb.4:                                ;   in Loop: Header=BB183_3 Depth=1
	s_lshl_b64 s[22:23], s[2:3], 3
	v_mov_b32_e32 v14, 0
	s_add_nc_u64 s[26:27], s[10:11], s[22:23]
	s_add_nc_u64 s[22:23], s[4:5], s[22:23]
	s_clause 0x1
	global_load_b64 v[18:19], v3, s[26:27]
	global_load_b64 v[22:23], v3, s[22:23]
	s_wait_xcnt 0x0
	s_mov_b64 s[22:23], 0
	v_mov_b32_e32 v15, v14
	s_wait_loadcnt 0x1
	v_add_nc_u64_e32 v[20:21], v[18:19], v[6:7]
	s_wait_loadcnt 0x0
	v_add_nc_u64_e32 v[22:23], v[22:23], v[10:11]
	v_dual_mov_b32 v18, v14 :: v_dual_mov_b32 v19, v14
.LBB183_5:                              ;   Parent Loop BB183_3 Depth=1
                                        ; =>  This Inner Loop Header: Depth=2
	flat_load_u16 v27, v[22:23]
	flat_load_u16 v28, v[20:21]
	s_add_nc_u64 s[22:23], s[22:23], 8
	s_wait_xcnt 0x0
	v_add_nc_u64_e32 v[20:21], s[24:25], v[20:21]
	v_cmp_lt_i64_e64 s26, s[22:23], s[28:29]
	v_add_nc_u64_e32 v[22:23], s[6:7], v[22:23]
	s_and_b32 vcc_lo, exec_lo, s26
	s_wait_loadcnt_dscnt 0x0
	v_dual_lshlrev_b32 v27, 16, v27 :: v_dual_lshlrev_b32 v28, 16, v28
	ds_store_b32 v24, v27
	ds_store_b32 v25, v28
	s_wait_dscnt 0x0
	s_barrier_signal -1
	s_barrier_wait -1
	ds_load_2addr_b32 v[44:45], v26 offset1:16
	ds_load_2addr_b32 v[46:47], v26 offset0:32 offset1:48
	ds_load_b128 v[28:31], v2
	ds_load_2addr_b32 v[48:49], v26 offset0:64 offset1:80
	ds_load_b128 v[32:35], v2 offset:512
	ds_load_2addr_b32 v[50:51], v26 offset0:96 offset1:112
	ds_load_b128 v[36:39], v2 offset:16
	;; [unrolled: 2-line block ×3, first 2 shown]
	ds_load_2addr_b32 v[54:55], v26 offset0:160 offset1:176
	ds_load_2addr_b32 v[56:57], v26 offset0:192 offset1:208
	;; [unrolled: 1-line block ×3, first 2 shown]
	s_wait_dscnt 0x0
	s_barrier_signal -1
	s_barrier_wait -1
	v_dual_mov_b32 v60, v45 :: v_dual_mov_b32 v61, v44
	v_dual_mov_b32 v44, v47 :: v_dual_mov_b32 v45, v46
	;; [unrolled: 1-line block ×3, first 2 shown]
	s_delay_alu instid0(VALU_DEP_3) | instskip(SKIP_3) | instid1(VALU_DEP_4)
	v_pk_fma_f32 v[18:19], v[60:61], v[28:29], v[18:19] op_sel_hi:[1,0,1]
	v_pk_fma_f32 v[14:15], v[60:61], v[32:33], v[14:15] op_sel_hi:[1,0,1]
	v_dual_mov_b32 v48, v51 :: v_dual_mov_b32 v49, v50
	v_mov_b32_e32 v50, v31
	v_pk_fma_f32 v[18:19], v[44:45], v[28:29], v[18:19] op_sel:[0,1,0]
	s_delay_alu instid0(VALU_DEP_4) | instskip(SKIP_2) | instid1(VALU_DEP_4)
	v_pk_fma_f32 v[14:15], v[44:45], v[32:33], v[14:15] op_sel:[0,1,0]
	v_dual_mov_b32 v28, v35 :: v_dual_mov_b32 v32, v59
	v_mov_b32_e32 v33, v58
	v_pk_fma_f32 v[18:19], v[46:47], v[30:31], v[18:19] op_sel_hi:[1,0,1]
	s_delay_alu instid0(VALU_DEP_4) | instskip(SKIP_2) | instid1(VALU_DEP_4)
	v_pk_fma_f32 v[14:15], v[46:47], v[34:35], v[14:15] op_sel_hi:[1,0,1]
	v_dual_mov_b32 v30, v53 :: v_dual_mov_b32 v31, v52
	v_mov_b32_e32 v34, v43
	v_pk_fma_f32 v[18:19], v[48:49], v[50:51], v[18:19] op_sel_hi:[1,0,1]
	s_delay_alu instid0(VALU_DEP_4) | instskip(SKIP_1) | instid1(VALU_DEP_3)
	v_pk_fma_f32 v[14:15], v[48:49], v[28:29], v[14:15] op_sel_hi:[1,0,1]
	v_dual_mov_b32 v28, v55 :: v_dual_mov_b32 v29, v54
	v_pk_fma_f32 v[18:19], v[30:31], v[36:37], v[18:19] op_sel_hi:[1,0,1]
	s_delay_alu instid0(VALU_DEP_3) | instskip(SKIP_1) | instid1(VALU_DEP_3)
	v_pk_fma_f32 v[14:15], v[30:31], v[40:41], v[14:15] op_sel_hi:[1,0,1]
	v_dual_mov_b32 v30, v57 :: v_dual_mov_b32 v31, v56
	v_pk_fma_f32 v[18:19], v[28:29], v[36:37], v[18:19] op_sel:[0,1,0]
	s_delay_alu instid0(VALU_DEP_3) | instskip(SKIP_1) | instid1(VALU_DEP_3)
	v_pk_fma_f32 v[14:15], v[28:29], v[40:41], v[14:15] op_sel:[0,1,0]
	v_mov_b32_e32 v28, v39
	v_pk_fma_f32 v[18:19], v[30:31], v[38:39], v[18:19] op_sel_hi:[1,0,1]
	s_delay_alu instid0(VALU_DEP_3) | instskip(NEXT) | instid1(VALU_DEP_2)
	v_pk_fma_f32 v[14:15], v[30:31], v[42:43], v[14:15] op_sel_hi:[1,0,1]
	v_pk_fma_f32 v[18:19], v[32:33], v[28:29], v[18:19] op_sel_hi:[1,0,1]
	s_delay_alu instid0(VALU_DEP_2)
	v_pk_fma_f32 v[14:15], v[32:33], v[34:35], v[14:15] op_sel_hi:[1,0,1]
	s_cbranch_vccnz .LBB183_5
.LBB183_6:                              ;   in Loop: Header=BB183_3 Depth=1
	s_wait_loadcnt 0x0
	v_add_nc_u64_e32 v[16:17], s[8:9], v[16:17]
	s_and_not1_b32 vcc_lo, exec_lo, s1
	s_delay_alu instid0(VALU_DEP_1) | instskip(NEXT) | instid1(VALU_DEP_1)
	v_lshl_add_u64 v[16:17], v[0:1], 2, v[16:17]
	v_add_nc_u64_e32 v[20:21], v[16:17], v[8:9]
	v_lshl_add_u64 v[16:17], s[20:21], 2, v[16:17]
	s_cbranch_vccnz .LBB183_8
; %bb.7:                                ;   in Loop: Header=BB183_3 Depth=1
	s_delay_alu instid0(VALU_DEP_1)
	v_add_nc_u64_e32 v[22:23], v[16:17], v[8:9]
	v_dual_mul_f32 v27, s30, v19 :: v_dual_mul_f32 v28, s30, v18
	v_dual_mul_f32 v29, s30, v15 :: v_dual_mul_f32 v30, s30, v14
	s_clause 0x3
	flat_store_b32 v[20:21], v27
	flat_store_b32 v[20:21], v28 offset:64
	flat_store_b32 v[22:23], v29
	flat_store_b32 v[22:23], v30 offset:64
	s_cbranch_execnz .LBB183_2
	s_branch .LBB183_9
.LBB183_8:                              ;   in Loop: Header=BB183_3 Depth=1
.LBB183_9:                              ;   in Loop: Header=BB183_3 Depth=1
	v_add_nc_u64_e32 v[12:13], s[16:17], v[12:13]
	s_delay_alu instid0(VALU_DEP_2) | instskip(NEXT) | instid1(VALU_DEP_2)
	v_add_nc_u64_e32 v[16:17], v[16:17], v[8:9]
	v_lshl_add_u64 v[12:13], v[4:5], 2, v[12:13]
	s_wait_xcnt 0x0
	s_delay_alu instid0(VALU_DEP_1) | instskip(SKIP_1) | instid1(VALU_DEP_1)
	v_add_nc_u64_e32 v[22:23], v[12:13], v[8:9]
	v_lshl_add_u64 v[12:13], s[14:15], 2, v[12:13]
	v_add_nc_u64_e32 v[12:13], v[12:13], v[8:9]
	flat_load_b32 v27, v[22:23]
	s_wait_loadcnt_dscnt 0x0
	v_mul_f32_e32 v27, s33, v27
	s_delay_alu instid0(VALU_DEP_1) | instskip(SKIP_4) | instid1(VALU_DEP_1)
	v_fmac_f32_e32 v27, s30, v19
	flat_store_b32 v[20:21], v27
	flat_load_b32 v19, v[22:23] offset:64
	s_wait_loadcnt_dscnt 0x0
	v_mul_f32_e32 v19, s33, v19
	v_fmac_f32_e32 v19, s30, v18
	flat_store_b32 v[20:21], v19 offset:64
	flat_load_b32 v18, v[12:13]
	s_wait_loadcnt_dscnt 0x0
	v_mul_f32_e32 v18, s33, v18
	s_delay_alu instid0(VALU_DEP_1)
	v_fmac_f32_e32 v18, s30, v15
	flat_store_b32 v[16:17], v18
	flat_load_b32 v12, v[12:13] offset:64
	s_wait_loadcnt_dscnt 0x0
	s_wait_xcnt 0x0
	v_mul_f32_e32 v12, s33, v12
	s_delay_alu instid0(VALU_DEP_1)
	v_fmac_f32_e32 v12, s30, v14
	flat_store_b32 v[16:17], v12 offset:64
	s_branch .LBB183_2
.LBB183_10:
	s_endpgm
	.section	.rodata,"a",@progbits
	.p2align	6, 0x0
	.amdhsa_kernel _ZN12_GLOBAL__N_127rocblas_gemm_batched_kernelIfLi16ELi16ELi32ELi32ELi8ELi32ELi8ELi8ELi32ELc78ELc67EKPK16rocblas_bfloat16KPKfKPfEEvlllT_PT11_llSC_llSA_PT12_llPT13_lli
		.amdhsa_group_segment_fixed_size 2048
		.amdhsa_private_segment_fixed_size 0
		.amdhsa_kernarg_size 140
		.amdhsa_user_sgpr_count 2
		.amdhsa_user_sgpr_dispatch_ptr 0
		.amdhsa_user_sgpr_queue_ptr 0
		.amdhsa_user_sgpr_kernarg_segment_ptr 1
		.amdhsa_user_sgpr_dispatch_id 0
		.amdhsa_user_sgpr_kernarg_preload_length 0
		.amdhsa_user_sgpr_kernarg_preload_offset 0
		.amdhsa_user_sgpr_private_segment_size 0
		.amdhsa_wavefront_size32 1
		.amdhsa_uses_dynamic_stack 0
		.amdhsa_enable_private_segment 0
		.amdhsa_system_sgpr_workgroup_id_x 1
		.amdhsa_system_sgpr_workgroup_id_y 1
		.amdhsa_system_sgpr_workgroup_id_z 1
		.amdhsa_system_sgpr_workgroup_info 0
		.amdhsa_system_vgpr_workitem_id 1
		.amdhsa_next_free_vgpr 62
		.amdhsa_next_free_sgpr 38
		.amdhsa_named_barrier_count 0
		.amdhsa_reserve_vcc 1
		.amdhsa_float_round_mode_32 0
		.amdhsa_float_round_mode_16_64 0
		.amdhsa_float_denorm_mode_32 3
		.amdhsa_float_denorm_mode_16_64 3
		.amdhsa_fp16_overflow 0
		.amdhsa_memory_ordered 1
		.amdhsa_forward_progress 1
		.amdhsa_inst_pref_size 12
		.amdhsa_round_robin_scheduling 0
		.amdhsa_exception_fp_ieee_invalid_op 0
		.amdhsa_exception_fp_denorm_src 0
		.amdhsa_exception_fp_ieee_div_zero 0
		.amdhsa_exception_fp_ieee_overflow 0
		.amdhsa_exception_fp_ieee_underflow 0
		.amdhsa_exception_fp_ieee_inexact 0
		.amdhsa_exception_int_div_zero 0
	.end_amdhsa_kernel
	.section	.text._ZN12_GLOBAL__N_127rocblas_gemm_batched_kernelIfLi16ELi16ELi32ELi32ELi8ELi32ELi8ELi8ELi32ELc78ELc67EKPK16rocblas_bfloat16KPKfKPfEEvlllT_PT11_llSC_llSA_PT12_llPT13_lli,"axG",@progbits,_ZN12_GLOBAL__N_127rocblas_gemm_batched_kernelIfLi16ELi16ELi32ELi32ELi8ELi32ELi8ELi8ELi32ELc78ELc67EKPK16rocblas_bfloat16KPKfKPfEEvlllT_PT11_llSC_llSA_PT12_llPT13_lli,comdat
.Lfunc_end183:
	.size	_ZN12_GLOBAL__N_127rocblas_gemm_batched_kernelIfLi16ELi16ELi32ELi32ELi8ELi32ELi8ELi8ELi32ELc78ELc67EKPK16rocblas_bfloat16KPKfKPfEEvlllT_PT11_llSC_llSA_PT12_llPT13_lli, .Lfunc_end183-_ZN12_GLOBAL__N_127rocblas_gemm_batched_kernelIfLi16ELi16ELi32ELi32ELi8ELi32ELi8ELi8ELi32ELc78ELc67EKPK16rocblas_bfloat16KPKfKPfEEvlllT_PT11_llSC_llSA_PT12_llPT13_lli
                                        ; -- End function
	.set _ZN12_GLOBAL__N_127rocblas_gemm_batched_kernelIfLi16ELi16ELi32ELi32ELi8ELi32ELi8ELi8ELi32ELc78ELc67EKPK16rocblas_bfloat16KPKfKPfEEvlllT_PT11_llSC_llSA_PT12_llPT13_lli.num_vgpr, 62
	.set _ZN12_GLOBAL__N_127rocblas_gemm_batched_kernelIfLi16ELi16ELi32ELi32ELi8ELi32ELi8ELi8ELi32ELc78ELc67EKPK16rocblas_bfloat16KPKfKPfEEvlllT_PT11_llSC_llSA_PT12_llPT13_lli.num_agpr, 0
	.set _ZN12_GLOBAL__N_127rocblas_gemm_batched_kernelIfLi16ELi16ELi32ELi32ELi8ELi32ELi8ELi8ELi32ELc78ELc67EKPK16rocblas_bfloat16KPKfKPfEEvlllT_PT11_llSC_llSA_PT12_llPT13_lli.numbered_sgpr, 38
	.set _ZN12_GLOBAL__N_127rocblas_gemm_batched_kernelIfLi16ELi16ELi32ELi32ELi8ELi32ELi8ELi8ELi32ELc78ELc67EKPK16rocblas_bfloat16KPKfKPfEEvlllT_PT11_llSC_llSA_PT12_llPT13_lli.num_named_barrier, 0
	.set _ZN12_GLOBAL__N_127rocblas_gemm_batched_kernelIfLi16ELi16ELi32ELi32ELi8ELi32ELi8ELi8ELi32ELc78ELc67EKPK16rocblas_bfloat16KPKfKPfEEvlllT_PT11_llSC_llSA_PT12_llPT13_lli.private_seg_size, 0
	.set _ZN12_GLOBAL__N_127rocblas_gemm_batched_kernelIfLi16ELi16ELi32ELi32ELi8ELi32ELi8ELi8ELi32ELc78ELc67EKPK16rocblas_bfloat16KPKfKPfEEvlllT_PT11_llSC_llSA_PT12_llPT13_lli.uses_vcc, 1
	.set _ZN12_GLOBAL__N_127rocblas_gemm_batched_kernelIfLi16ELi16ELi32ELi32ELi8ELi32ELi8ELi8ELi32ELc78ELc67EKPK16rocblas_bfloat16KPKfKPfEEvlllT_PT11_llSC_llSA_PT12_llPT13_lli.uses_flat_scratch, 1
	.set _ZN12_GLOBAL__N_127rocblas_gemm_batched_kernelIfLi16ELi16ELi32ELi32ELi8ELi32ELi8ELi8ELi32ELc78ELc67EKPK16rocblas_bfloat16KPKfKPfEEvlllT_PT11_llSC_llSA_PT12_llPT13_lli.has_dyn_sized_stack, 0
	.set _ZN12_GLOBAL__N_127rocblas_gemm_batched_kernelIfLi16ELi16ELi32ELi32ELi8ELi32ELi8ELi8ELi32ELc78ELc67EKPK16rocblas_bfloat16KPKfKPfEEvlllT_PT11_llSC_llSA_PT12_llPT13_lli.has_recursion, 0
	.set _ZN12_GLOBAL__N_127rocblas_gemm_batched_kernelIfLi16ELi16ELi32ELi32ELi8ELi32ELi8ELi8ELi32ELc78ELc67EKPK16rocblas_bfloat16KPKfKPfEEvlllT_PT11_llSC_llSA_PT12_llPT13_lli.has_indirect_call, 0
	.section	.AMDGPU.csdata,"",@progbits
; Kernel info:
; codeLenInByte = 1440
; TotalNumSgprs: 40
; NumVgprs: 62
; ScratchSize: 0
; MemoryBound: 0
; FloatMode: 240
; IeeeMode: 1
; LDSByteSize: 2048 bytes/workgroup (compile time only)
; SGPRBlocks: 0
; VGPRBlocks: 3
; NumSGPRsForWavesPerEU: 40
; NumVGPRsForWavesPerEU: 62
; NamedBarCnt: 0
; Occupancy: 16
; WaveLimiterHint : 1
; COMPUTE_PGM_RSRC2:SCRATCH_EN: 0
; COMPUTE_PGM_RSRC2:USER_SGPR: 2
; COMPUTE_PGM_RSRC2:TRAP_HANDLER: 0
; COMPUTE_PGM_RSRC2:TGID_X_EN: 1
; COMPUTE_PGM_RSRC2:TGID_Y_EN: 1
; COMPUTE_PGM_RSRC2:TGID_Z_EN: 1
; COMPUTE_PGM_RSRC2:TIDIG_COMP_CNT: 1
	.section	.text._ZN12_GLOBAL__N_127rocblas_gemm_batched_kernelIfLi16ELi16ELi32ELi32ELi8ELi32ELi8ELi8ELi32ELc84ELc67EKPK16rocblas_bfloat16KPKfKPfEEvlllT_PT11_llSC_llSA_PT12_llPT13_lli,"axG",@progbits,_ZN12_GLOBAL__N_127rocblas_gemm_batched_kernelIfLi16ELi16ELi32ELi32ELi8ELi32ELi8ELi8ELi32ELc84ELc67EKPK16rocblas_bfloat16KPKfKPfEEvlllT_PT11_llSC_llSA_PT12_llPT13_lli,comdat
	.globl	_ZN12_GLOBAL__N_127rocblas_gemm_batched_kernelIfLi16ELi16ELi32ELi32ELi8ELi32ELi8ELi8ELi32ELc84ELc67EKPK16rocblas_bfloat16KPKfKPfEEvlllT_PT11_llSC_llSA_PT12_llPT13_lli ; -- Begin function _ZN12_GLOBAL__N_127rocblas_gemm_batched_kernelIfLi16ELi16ELi32ELi32ELi8ELi32ELi8ELi8ELi32ELc84ELc67EKPK16rocblas_bfloat16KPKfKPfEEvlllT_PT11_llSC_llSA_PT12_llPT13_lli
	.p2align	8
	.type	_ZN12_GLOBAL__N_127rocblas_gemm_batched_kernelIfLi16ELi16ELi32ELi32ELi8ELi32ELi8ELi8ELi32ELc84ELc67EKPK16rocblas_bfloat16KPKfKPfEEvlllT_PT11_llSC_llSA_PT12_llPT13_lli,@function
_ZN12_GLOBAL__N_127rocblas_gemm_batched_kernelIfLi16ELi16ELi32ELi32ELi8ELi32ELi8ELi8ELi32ELc84ELc67EKPK16rocblas_bfloat16KPKfKPfEEvlllT_PT11_llSC_llSA_PT12_llPT13_lli: ; @_ZN12_GLOBAL__N_127rocblas_gemm_batched_kernelIfLi16ELi16ELi32ELi32ELi8ELi32ELi8ELi8ELi32ELc84ELc67EKPK16rocblas_bfloat16KPKfKPfEEvlllT_PT11_llSC_llSA_PT12_llPT13_lli
; %bb.0:
	s_load_b32 s31, s[0:1], 0x88
	s_bfe_u32 s2, ttmp6, 0x40014
	s_lshr_b32 s3, ttmp7, 16
	s_add_co_i32 s2, s2, 1
	s_bfe_u32 s4, ttmp6, 0x40008
	s_mul_i32 s2, s3, s2
	s_getreg_b32 s28, hwreg(HW_REG_IB_STS2, 6, 4)
	s_add_co_i32 s4, s4, s2
	s_cmp_eq_u32 s28, 0
	s_cselect_b32 s2, s3, s4
	s_mov_b32 s3, 0
	s_wait_kmcnt 0x0
	s_cmp_ge_i32 s2, s31
	s_cbranch_scc1 .LBB184_10
; %bb.1:
	v_bfe_u32 v2, v0, 10, 10
	v_and_b32_e32 v6, 0x3ff, v0
	s_bfe_u32 s29, ttmp6, 0x4000c
	s_bfe_u32 s33, ttmp6, 0x40010
	s_add_co_i32 s29, s29, 1
	s_and_b32 s34, ttmp7, 0xffff
	s_add_co_i32 s33, s33, 1
	s_clause 0x3
	s_load_b256 s[4:11], s[0:1], 0x20
	s_load_b128 s[24:27], s[0:1], 0x40
	s_load_b128 s[20:23], s[0:1], 0x78
	s_load_b256 s[12:19], s[0:1], 0x58
	s_and_b32 s30, ttmp6, 15
	s_mul_i32 s29, ttmp9, s29
	s_mul_i32 s33, s34, s33
	s_bfe_u32 s35, ttmp6, 0x40004
	v_lshl_add_u32 v7, v2, 4, v6
	s_add_co_i32 s30, s30, s29
	s_add_co_i32 s35, s35, s33
	s_cmp_eq_u32 s28, 0
	s_delay_alu instid0(VALU_DEP_1)
	v_dual_mov_b32 v3, 0 :: v_dual_bitop2_b32 v14, 31, v7 bitop3:0x40
	s_cselect_b32 s28, ttmp9, s30
	s_cselect_b32 s30, s34, s35
	s_ashr_i32 s29, s28, 31
	v_lshrrev_b32_e32 v8, 3, v7
	s_lshl_b64 s[34:35], s[28:29], 5
	s_delay_alu instid0(SALU_CYCLE_1)
	v_dual_mov_b32 v1, s35 :: v_dual_bitop2_b32 v15, 7, v0 bitop3:0x40
	v_dual_mov_b32 v9, v3 :: v_dual_bitop2_b32 v0, s34, v14 bitop3:0x54
	v_lshrrev_b32_e32 v16, 5, v7
	s_load_b32 s33, s[0:1], 0x50
	v_lshlrev_b32_e32 v14, 2, v14
	s_wait_kmcnt 0x0
	v_mul_u64_e32 v[10:11], s[6:7], v[0:1]
	s_lshl_b32 s6, s30, 5
	v_mad_nc_u64_u32 v[12:13], s24, v15, v[8:9]
	s_mov_b32 s7, s3
	s_load_b96 s[28:30], s[0:1], 0x10
	v_add_nc_u64_e32 v[4:5], s[6:7], v[2:3]
	v_dual_lshlrev_b32 v9, 2, v15 :: v_dual_mov_b32 v7, v3
	v_lshlrev_b32_e32 v26, 2, v6
	v_lshl_or_b32 v24, v16, 7, v14
	v_lshl_add_u32 v27, v2, 5, 0x400
	v_lshlrev_b32_e32 v2, 1, v16
	v_mul_u64_e32 v[0:1], s[20:21], v[4:5]
	v_mul_u64_e32 v[4:5], s[14:15], v[4:5]
	v_mad_u32 v13, s25, v15, v13
	v_lshl_or_b32 v15, v8, 5, v9
	s_cmp_eq_f32 s33, 0
	s_delay_alu instid0(VALU_DEP_1)
	v_add_nc_u32_e32 v25, 0x400, v15
	s_wait_xcnt 0x0
	s_cselect_b32 s1, -1, 0
	s_lshl_b64 s[16:17], s[16:17], 2
	s_wait_kmcnt 0x0
	v_cmp_gt_i64_e64 s0, s[28:29], 0
	s_delay_alu instid0(VALU_DEP_4)
	v_add_nc_u64_e32 v[8:9], s[6:7], v[12:13]
	v_add_nc_u64_e32 v[12:13], s[34:35], v[6:7]
	s_lshl_b64 s[6:7], s[8:9], 1
	s_lshl_b64 s[8:9], s[14:15], 4
	;; [unrolled: 1-line block ×3, first 2 shown]
	v_cndmask_b32_e64 v16, 0, 1, s0
	s_delay_alu instid0(VALU_DEP_3)
	v_lshlrev_b64_e32 v[14:15], 1, v[8:9]
	v_lshl_add_u64 v[6:7], v[10:11], 1, s[6:7]
	v_lshlrev_b64_e32 v[8:9], 2, v[12:13]
	s_lshl_b64 s[6:7], s[20:21], 4
	v_cmp_ne_u32_e64 s0, 1, v16
	s_lshl_b64 s[20:21], s[22:23], 2
	v_add_nc_u64_e32 v[6:7], v[6:7], v[2:3]
	v_lshl_add_u64 v[10:11], s[26:27], 1, v[14:15]
	s_branch .LBB184_3
.LBB184_2:                              ;   in Loop: Header=BB184_3 Depth=1
	s_add_co_i32 s2, s2, 0x10000
	s_delay_alu instid0(SALU_CYCLE_1)
	s_cmp_lt_i32 s2, s31
	s_cbranch_scc0 .LBB184_10
.LBB184_3:                              ; =>This Loop Header: Depth=1
                                        ;     Child Loop BB184_5 Depth 2
	s_wait_xcnt 0x0
	v_dual_mov_b32 v2, s2 :: v_dual_mov_b32 v19, 0
	v_dual_mov_b32 v18, 0 :: v_dual_mov_b32 v15, 0
	v_mov_b32_e32 v14, 0
	s_clause 0x1
	global_load_b64 v[12:13], v2, s[12:13] scale_offset
	global_load_b64 v[16:17], v2, s[18:19] scale_offset
	s_and_b32 vcc_lo, exec_lo, s0
	s_cbranch_vccnz .LBB184_6
; %bb.4:                                ;   in Loop: Header=BB184_3 Depth=1
	s_lshl_b64 s[22:23], s[2:3], 3
	v_mov_b32_e32 v14, 0
	s_add_nc_u64 s[24:25], s[10:11], s[22:23]
	s_add_nc_u64 s[22:23], s[4:5], s[22:23]
	s_clause 0x1
	global_load_b64 v[18:19], v3, s[24:25]
	global_load_b64 v[22:23], v3, s[22:23]
	s_wait_xcnt 0x0
	s_mov_b64 s[22:23], 0
	v_mov_b32_e32 v15, v14
	s_wait_loadcnt 0x1
	v_add_nc_u64_e32 v[20:21], v[18:19], v[10:11]
	s_wait_loadcnt 0x0
	v_add_nc_u64_e32 v[22:23], v[22:23], v[6:7]
	v_dual_mov_b32 v18, v14 :: v_dual_mov_b32 v19, v14
.LBB184_5:                              ;   Parent Loop BB184_3 Depth=1
                                        ; =>  This Inner Loop Header: Depth=2
	flat_load_u16 v2, v[22:23]
	flat_load_u16 v28, v[20:21]
	s_add_nc_u64 s[22:23], s[22:23], 8
	s_wait_xcnt 0x0
	v_add_nc_u64_e32 v[20:21], s[14:15], v[20:21]
	v_cmp_lt_i64_e64 s24, s[22:23], s[28:29]
	v_add_nc_u64_e32 v[22:23], 16, v[22:23]
	s_and_b32 vcc_lo, exec_lo, s24
	s_wait_loadcnt_dscnt 0x0
	v_dual_lshlrev_b32 v2, 16, v2 :: v_dual_lshlrev_b32 v28, 16, v28
	ds_store_b32 v24, v2
	ds_store_b32 v25, v28
	s_wait_dscnt 0x0
	s_barrier_signal -1
	s_barrier_wait -1
	ds_load_2addr_b32 v[44:45], v26 offset1:16
	ds_load_2addr_b32 v[46:47], v26 offset0:32 offset1:48
	ds_load_b128 v[28:31], v27
	ds_load_2addr_b32 v[48:49], v26 offset0:64 offset1:80
	ds_load_b128 v[32:35], v27 offset:512
	ds_load_2addr_b32 v[50:51], v26 offset0:96 offset1:112
	ds_load_b128 v[36:39], v27 offset:16
	;; [unrolled: 2-line block ×3, first 2 shown]
	ds_load_2addr_b32 v[54:55], v26 offset0:160 offset1:176
	ds_load_2addr_b32 v[56:57], v26 offset0:192 offset1:208
	;; [unrolled: 1-line block ×3, first 2 shown]
	s_wait_dscnt 0x0
	s_barrier_signal -1
	s_barrier_wait -1
	v_dual_mov_b32 v60, v45 :: v_dual_mov_b32 v61, v44
	v_dual_mov_b32 v44, v47 :: v_dual_mov_b32 v45, v46
	v_dual_mov_b32 v46, v49 :: v_dual_mov_b32 v47, v48
	s_delay_alu instid0(VALU_DEP_3) | instskip(SKIP_3) | instid1(VALU_DEP_4)
	v_pk_fma_f32 v[18:19], v[60:61], v[28:29], v[18:19] op_sel_hi:[1,0,1]
	v_pk_fma_f32 v[14:15], v[60:61], v[32:33], v[14:15] op_sel_hi:[1,0,1]
	v_dual_mov_b32 v48, v51 :: v_dual_mov_b32 v49, v50
	v_mov_b32_e32 v2, v31
	v_pk_fma_f32 v[18:19], v[44:45], v[28:29], v[18:19] op_sel:[0,1,0]
	s_delay_alu instid0(VALU_DEP_4) | instskip(SKIP_2) | instid1(VALU_DEP_4)
	v_pk_fma_f32 v[14:15], v[44:45], v[32:33], v[14:15] op_sel:[0,1,0]
	v_dual_mov_b32 v28, v35 :: v_dual_mov_b32 v32, v59
	v_mov_b32_e32 v33, v58
	v_pk_fma_f32 v[18:19], v[46:47], v[30:31], v[18:19] op_sel_hi:[1,0,1]
	s_delay_alu instid0(VALU_DEP_4) | instskip(SKIP_1) | instid1(VALU_DEP_3)
	v_pk_fma_f32 v[14:15], v[46:47], v[34:35], v[14:15] op_sel_hi:[1,0,1]
	v_dual_mov_b32 v30, v53 :: v_dual_mov_b32 v31, v52
	v_pk_fma_f32 v[18:19], v[48:49], v[2:3], v[18:19] op_sel_hi:[1,0,1]
	s_delay_alu instid0(VALU_DEP_3) | instskip(SKIP_2) | instid1(VALU_DEP_4)
	v_pk_fma_f32 v[14:15], v[48:49], v[28:29], v[14:15] op_sel_hi:[1,0,1]
	v_dual_mov_b32 v28, v55 :: v_dual_mov_b32 v29, v54
	v_mov_b32_e32 v2, v39
	v_pk_fma_f32 v[18:19], v[30:31], v[36:37], v[18:19] op_sel_hi:[1,0,1]
	s_delay_alu instid0(VALU_DEP_4) | instskip(SKIP_1) | instid1(VALU_DEP_3)
	v_pk_fma_f32 v[14:15], v[30:31], v[40:41], v[14:15] op_sel_hi:[1,0,1]
	v_dual_mov_b32 v30, v57 :: v_dual_mov_b32 v31, v56
	v_pk_fma_f32 v[18:19], v[28:29], v[36:37], v[18:19] op_sel:[0,1,0]
	s_delay_alu instid0(VALU_DEP_3) | instskip(SKIP_1) | instid1(VALU_DEP_3)
	v_pk_fma_f32 v[14:15], v[28:29], v[40:41], v[14:15] op_sel:[0,1,0]
	v_mov_b32_e32 v28, v43
	v_pk_fma_f32 v[18:19], v[30:31], v[38:39], v[18:19] op_sel_hi:[1,0,1]
	s_delay_alu instid0(VALU_DEP_3) | instskip(NEXT) | instid1(VALU_DEP_2)
	v_pk_fma_f32 v[14:15], v[30:31], v[42:43], v[14:15] op_sel_hi:[1,0,1]
	v_pk_fma_f32 v[18:19], v[32:33], v[2:3], v[18:19] op_sel_hi:[1,0,1]
	s_delay_alu instid0(VALU_DEP_2)
	v_pk_fma_f32 v[14:15], v[32:33], v[28:29], v[14:15] op_sel_hi:[1,0,1]
	s_cbranch_vccnz .LBB184_5
.LBB184_6:                              ;   in Loop: Header=BB184_3 Depth=1
	s_wait_loadcnt 0x0
	v_add_nc_u64_e32 v[16:17], s[20:21], v[16:17]
	s_and_not1_b32 vcc_lo, exec_lo, s1
	s_delay_alu instid0(VALU_DEP_1) | instskip(NEXT) | instid1(VALU_DEP_1)
	v_lshl_add_u64 v[16:17], v[0:1], 2, v[16:17]
	v_add_nc_u64_e32 v[20:21], v[16:17], v[8:9]
	v_lshl_add_u64 v[16:17], s[6:7], 2, v[16:17]
	s_cbranch_vccnz .LBB184_8
; %bb.7:                                ;   in Loop: Header=BB184_3 Depth=1
	s_delay_alu instid0(VALU_DEP_1)
	v_add_nc_u64_e32 v[22:23], v[16:17], v[8:9]
	s_wait_xcnt 0x0
	v_dual_mul_f32 v2, s30, v19 :: v_dual_mul_f32 v28, s30, v18
	v_dual_mul_f32 v29, s30, v15 :: v_dual_mul_f32 v30, s30, v14
	s_clause 0x3
	flat_store_b32 v[20:21], v2
	flat_store_b32 v[20:21], v28 offset:64
	flat_store_b32 v[22:23], v29
	flat_store_b32 v[22:23], v30 offset:64
	s_cbranch_execnz .LBB184_2
	s_branch .LBB184_9
.LBB184_8:                              ;   in Loop: Header=BB184_3 Depth=1
.LBB184_9:                              ;   in Loop: Header=BB184_3 Depth=1
	v_add_nc_u64_e32 v[12:13], s[16:17], v[12:13]
	s_delay_alu instid0(VALU_DEP_2) | instskip(NEXT) | instid1(VALU_DEP_2)
	v_add_nc_u64_e32 v[16:17], v[16:17], v[8:9]
	v_lshl_add_u64 v[12:13], v[4:5], 2, v[12:13]
	s_wait_xcnt 0x0
	s_delay_alu instid0(VALU_DEP_1) | instskip(SKIP_1) | instid1(VALU_DEP_1)
	v_add_nc_u64_e32 v[22:23], v[12:13], v[8:9]
	v_lshl_add_u64 v[12:13], s[8:9], 2, v[12:13]
	v_add_nc_u64_e32 v[12:13], v[12:13], v[8:9]
	flat_load_b32 v2, v[22:23]
	s_wait_loadcnt_dscnt 0x0
	v_mul_f32_e32 v2, s33, v2
	s_delay_alu instid0(VALU_DEP_1) | instskip(SKIP_4) | instid1(VALU_DEP_1)
	v_fmac_f32_e32 v2, s30, v19
	flat_store_b32 v[20:21], v2
	flat_load_b32 v2, v[22:23] offset:64
	s_wait_loadcnt_dscnt 0x0
	v_mul_f32_e32 v2, s33, v2
	v_fmac_f32_e32 v2, s30, v18
	flat_store_b32 v[20:21], v2 offset:64
	flat_load_b32 v2, v[12:13]
	s_wait_loadcnt_dscnt 0x0
	v_mul_f32_e32 v2, s33, v2
	s_delay_alu instid0(VALU_DEP_1) | instskip(SKIP_4) | instid1(VALU_DEP_1)
	v_fmac_f32_e32 v2, s30, v15
	flat_store_b32 v[16:17], v2
	flat_load_b32 v2, v[12:13] offset:64
	s_wait_loadcnt_dscnt 0x0
	v_mul_f32_e32 v2, s33, v2
	v_fmac_f32_e32 v2, s30, v14
	flat_store_b32 v[16:17], v2 offset:64
	s_branch .LBB184_2
.LBB184_10:
	s_endpgm
	.section	.rodata,"a",@progbits
	.p2align	6, 0x0
	.amdhsa_kernel _ZN12_GLOBAL__N_127rocblas_gemm_batched_kernelIfLi16ELi16ELi32ELi32ELi8ELi32ELi8ELi8ELi32ELc84ELc67EKPK16rocblas_bfloat16KPKfKPfEEvlllT_PT11_llSC_llSA_PT12_llPT13_lli
		.amdhsa_group_segment_fixed_size 2048
		.amdhsa_private_segment_fixed_size 0
		.amdhsa_kernarg_size 140
		.amdhsa_user_sgpr_count 2
		.amdhsa_user_sgpr_dispatch_ptr 0
		.amdhsa_user_sgpr_queue_ptr 0
		.amdhsa_user_sgpr_kernarg_segment_ptr 1
		.amdhsa_user_sgpr_dispatch_id 0
		.amdhsa_user_sgpr_kernarg_preload_length 0
		.amdhsa_user_sgpr_kernarg_preload_offset 0
		.amdhsa_user_sgpr_private_segment_size 0
		.amdhsa_wavefront_size32 1
		.amdhsa_uses_dynamic_stack 0
		.amdhsa_enable_private_segment 0
		.amdhsa_system_sgpr_workgroup_id_x 1
		.amdhsa_system_sgpr_workgroup_id_y 1
		.amdhsa_system_sgpr_workgroup_id_z 1
		.amdhsa_system_sgpr_workgroup_info 0
		.amdhsa_system_vgpr_workitem_id 1
		.amdhsa_next_free_vgpr 62
		.amdhsa_next_free_sgpr 36
		.amdhsa_named_barrier_count 0
		.amdhsa_reserve_vcc 1
		.amdhsa_float_round_mode_32 0
		.amdhsa_float_round_mode_16_64 0
		.amdhsa_float_denorm_mode_32 3
		.amdhsa_float_denorm_mode_16_64 3
		.amdhsa_fp16_overflow 0
		.amdhsa_memory_ordered 1
		.amdhsa_forward_progress 1
		.amdhsa_inst_pref_size 12
		.amdhsa_round_robin_scheduling 0
		.amdhsa_exception_fp_ieee_invalid_op 0
		.amdhsa_exception_fp_denorm_src 0
		.amdhsa_exception_fp_ieee_div_zero 0
		.amdhsa_exception_fp_ieee_overflow 0
		.amdhsa_exception_fp_ieee_underflow 0
		.amdhsa_exception_fp_ieee_inexact 0
		.amdhsa_exception_int_div_zero 0
	.end_amdhsa_kernel
	.section	.text._ZN12_GLOBAL__N_127rocblas_gemm_batched_kernelIfLi16ELi16ELi32ELi32ELi8ELi32ELi8ELi8ELi32ELc84ELc67EKPK16rocblas_bfloat16KPKfKPfEEvlllT_PT11_llSC_llSA_PT12_llPT13_lli,"axG",@progbits,_ZN12_GLOBAL__N_127rocblas_gemm_batched_kernelIfLi16ELi16ELi32ELi32ELi8ELi32ELi8ELi8ELi32ELc84ELc67EKPK16rocblas_bfloat16KPKfKPfEEvlllT_PT11_llSC_llSA_PT12_llPT13_lli,comdat
.Lfunc_end184:
	.size	_ZN12_GLOBAL__N_127rocblas_gemm_batched_kernelIfLi16ELi16ELi32ELi32ELi8ELi32ELi8ELi8ELi32ELc84ELc67EKPK16rocblas_bfloat16KPKfKPfEEvlllT_PT11_llSC_llSA_PT12_llPT13_lli, .Lfunc_end184-_ZN12_GLOBAL__N_127rocblas_gemm_batched_kernelIfLi16ELi16ELi32ELi32ELi8ELi32ELi8ELi8ELi32ELc84ELc67EKPK16rocblas_bfloat16KPKfKPfEEvlllT_PT11_llSC_llSA_PT12_llPT13_lli
                                        ; -- End function
	.set _ZN12_GLOBAL__N_127rocblas_gemm_batched_kernelIfLi16ELi16ELi32ELi32ELi8ELi32ELi8ELi8ELi32ELc84ELc67EKPK16rocblas_bfloat16KPKfKPfEEvlllT_PT11_llSC_llSA_PT12_llPT13_lli.num_vgpr, 62
	.set _ZN12_GLOBAL__N_127rocblas_gemm_batched_kernelIfLi16ELi16ELi32ELi32ELi8ELi32ELi8ELi8ELi32ELc84ELc67EKPK16rocblas_bfloat16KPKfKPfEEvlllT_PT11_llSC_llSA_PT12_llPT13_lli.num_agpr, 0
	.set _ZN12_GLOBAL__N_127rocblas_gemm_batched_kernelIfLi16ELi16ELi32ELi32ELi8ELi32ELi8ELi8ELi32ELc84ELc67EKPK16rocblas_bfloat16KPKfKPfEEvlllT_PT11_llSC_llSA_PT12_llPT13_lli.numbered_sgpr, 36
	.set _ZN12_GLOBAL__N_127rocblas_gemm_batched_kernelIfLi16ELi16ELi32ELi32ELi8ELi32ELi8ELi8ELi32ELc84ELc67EKPK16rocblas_bfloat16KPKfKPfEEvlllT_PT11_llSC_llSA_PT12_llPT13_lli.num_named_barrier, 0
	.set _ZN12_GLOBAL__N_127rocblas_gemm_batched_kernelIfLi16ELi16ELi32ELi32ELi8ELi32ELi8ELi8ELi32ELc84ELc67EKPK16rocblas_bfloat16KPKfKPfEEvlllT_PT11_llSC_llSA_PT12_llPT13_lli.private_seg_size, 0
	.set _ZN12_GLOBAL__N_127rocblas_gemm_batched_kernelIfLi16ELi16ELi32ELi32ELi8ELi32ELi8ELi8ELi32ELc84ELc67EKPK16rocblas_bfloat16KPKfKPfEEvlllT_PT11_llSC_llSA_PT12_llPT13_lli.uses_vcc, 1
	.set _ZN12_GLOBAL__N_127rocblas_gemm_batched_kernelIfLi16ELi16ELi32ELi32ELi8ELi32ELi8ELi8ELi32ELc84ELc67EKPK16rocblas_bfloat16KPKfKPfEEvlllT_PT11_llSC_llSA_PT12_llPT13_lli.uses_flat_scratch, 1
	.set _ZN12_GLOBAL__N_127rocblas_gemm_batched_kernelIfLi16ELi16ELi32ELi32ELi8ELi32ELi8ELi8ELi32ELc84ELc67EKPK16rocblas_bfloat16KPKfKPfEEvlllT_PT11_llSC_llSA_PT12_llPT13_lli.has_dyn_sized_stack, 0
	.set _ZN12_GLOBAL__N_127rocblas_gemm_batched_kernelIfLi16ELi16ELi32ELi32ELi8ELi32ELi8ELi8ELi32ELc84ELc67EKPK16rocblas_bfloat16KPKfKPfEEvlllT_PT11_llSC_llSA_PT12_llPT13_lli.has_recursion, 0
	.set _ZN12_GLOBAL__N_127rocblas_gemm_batched_kernelIfLi16ELi16ELi32ELi32ELi8ELi32ELi8ELi8ELi32ELc84ELc67EKPK16rocblas_bfloat16KPKfKPfEEvlllT_PT11_llSC_llSA_PT12_llPT13_lli.has_indirect_call, 0
	.section	.AMDGPU.csdata,"",@progbits
; Kernel info:
; codeLenInByte = 1444
; TotalNumSgprs: 38
; NumVgprs: 62
; ScratchSize: 0
; MemoryBound: 0
; FloatMode: 240
; IeeeMode: 1
; LDSByteSize: 2048 bytes/workgroup (compile time only)
; SGPRBlocks: 0
; VGPRBlocks: 3
; NumSGPRsForWavesPerEU: 38
; NumVGPRsForWavesPerEU: 62
; NamedBarCnt: 0
; Occupancy: 16
; WaveLimiterHint : 1
; COMPUTE_PGM_RSRC2:SCRATCH_EN: 0
; COMPUTE_PGM_RSRC2:USER_SGPR: 2
; COMPUTE_PGM_RSRC2:TRAP_HANDLER: 0
; COMPUTE_PGM_RSRC2:TGID_X_EN: 1
; COMPUTE_PGM_RSRC2:TGID_Y_EN: 1
; COMPUTE_PGM_RSRC2:TGID_Z_EN: 1
; COMPUTE_PGM_RSRC2:TIDIG_COMP_CNT: 1
	.section	.text._ZN12_GLOBAL__N_135rocblas_gemm_batched_general_kernelIfLi16ELi16ELi32ELi32ELi8ELi32ELi8ELi8ELi32ELc78ELc78EKPK16rocblas_bfloat16KPKfKPfEEvlllT_PT11_llSC_llSA_PT12_llPT13_lli,"axG",@progbits,_ZN12_GLOBAL__N_135rocblas_gemm_batched_general_kernelIfLi16ELi16ELi32ELi32ELi8ELi32ELi8ELi8ELi32ELc78ELc78EKPK16rocblas_bfloat16KPKfKPfEEvlllT_PT11_llSC_llSA_PT12_llPT13_lli,comdat
	.globl	_ZN12_GLOBAL__N_135rocblas_gemm_batched_general_kernelIfLi16ELi16ELi32ELi32ELi8ELi32ELi8ELi8ELi32ELc78ELc78EKPK16rocblas_bfloat16KPKfKPfEEvlllT_PT11_llSC_llSA_PT12_llPT13_lli ; -- Begin function _ZN12_GLOBAL__N_135rocblas_gemm_batched_general_kernelIfLi16ELi16ELi32ELi32ELi8ELi32ELi8ELi8ELi32ELc78ELc78EKPK16rocblas_bfloat16KPKfKPfEEvlllT_PT11_llSC_llSA_PT12_llPT13_lli
	.p2align	8
	.type	_ZN12_GLOBAL__N_135rocblas_gemm_batched_general_kernelIfLi16ELi16ELi32ELi32ELi8ELi32ELi8ELi8ELi32ELc78ELc78EKPK16rocblas_bfloat16KPKfKPfEEvlllT_PT11_llSC_llSA_PT12_llPT13_lli,@function
_ZN12_GLOBAL__N_135rocblas_gemm_batched_general_kernelIfLi16ELi16ELi32ELi32ELi8ELi32ELi8ELi8ELi32ELc78ELc78EKPK16rocblas_bfloat16KPKfKPfEEvlllT_PT11_llSC_llSA_PT12_llPT13_lli: ; @_ZN12_GLOBAL__N_135rocblas_gemm_batched_general_kernelIfLi16ELi16ELi32ELi32ELi8ELi32ELi8ELi8ELi32ELc78ELc78EKPK16rocblas_bfloat16KPKfKPfEEvlllT_PT11_llSC_llSA_PT12_llPT13_lli
; %bb.0:
	s_load_b32 s33, s[0:1], 0x88
	s_bfe_u32 s2, ttmp6, 0x40014
	s_lshr_b32 s3, ttmp7, 16
	s_add_co_i32 s2, s2, 1
	s_bfe_u32 s5, ttmp6, 0x40008
	s_mul_i32 s4, s3, s2
	s_getreg_b32 s2, hwreg(HW_REG_IB_STS2, 6, 4)
	s_add_co_i32 s5, s5, s4
	s_cmp_eq_u32 s2, 0
	s_mov_b32 s35, 0
	s_cselect_b32 s34, s3, s5
	s_wait_kmcnt 0x0
	s_cmp_ge_i32 s34, s33
	s_cbranch_scc1 .LBB185_34
; %bb.1:
	v_bfe_u32 v10, v0, 10, 10
	v_and_b32_e32 v12, 0x3ff, v0
	s_clause 0x1
	s_load_b256 s[8:15], s[0:1], 0x20
	s_load_b128 s[4:7], s[0:1], 0x40
	s_bfe_u32 s16, ttmp6, 0x4000c
	s_bfe_u32 s17, ttmp6, 0x40010
	s_add_co_i32 s16, s16, 1
	s_and_b32 s18, ttmp7, 0xffff
	s_add_co_i32 s17, s17, 1
	v_lshl_add_u32 v1, v10, 4, v12
	v_mov_b32_e32 v3, 0
	s_and_b32 s3, ttmp6, 15
	s_mul_i32 s16, ttmp9, s16
	s_mul_i32 s17, s18, s17
	s_bfe_u32 s19, ttmp6, 0x40004
	s_add_co_i32 s3, s3, s16
	s_add_co_i32 s19, s19, s17
	s_cmp_eq_u32 s2, 0
	v_dual_mov_b32 v5, v3 :: v_dual_lshrrev_b32 v4, 3, v1
	v_mov_b32_e32 v11, v3
	s_cselect_b32 s2, s18, s19
	s_cselect_b32 s42, ttmp9, s3
	s_lshl_b32 s2, s2, 5
	s_mov_b32 s3, s35
	s_clause 0x4
	s_load_b128 s[28:31], s[0:1], 0x0
	s_load_b96 s[36:38], s[0:1], 0x10
	s_load_b32 s41, s[0:1], 0x50
	s_load_b128 s[24:27], s[0:1], 0x78
	s_load_b256 s[16:23], s[0:1], 0x58
	v_add_nc_u64_e32 v[6:7], s[2:3], v[4:5]
	v_dual_lshrrev_b32 v2, 5, v1 :: v_dual_bitop2_b32 v22, 31, v1 bitop3:0x40
	s_ashr_i32 s43, s42, 31
	v_add_nc_u64_e32 v[18:19], s[2:3], v[10:11]
	v_dual_mov_b32 v13, v3 :: v_dual_bitop2_b32 v0, 7, v0 bitop3:0x40
	s_wait_kmcnt 0x0
	s_delay_alu instid0(VALU_DEP_4) | instskip(SKIP_2) | instid1(SALU_CYCLE_1)
	v_mul_u64_e32 v[14:15], s[4:5], v[6:7]
	v_mul_u64_e32 v[16:17], s[10:11], v[2:3]
	s_lshl_b64 s[4:5], s[42:43], 5
	v_dual_lshlrev_b32 v5, 2, v0 :: v_dual_bitop2_b32 v8, s4, v22 bitop3:0x54
	v_dual_mov_b32 v9, s5 :: v_dual_mov_b32 v1, v3
	v_dual_lshlrev_b32 v20, 2, v22 :: v_dual_lshlrev_b32 v30, 2, v12
	v_cmp_gt_i64_e64 s1, s[30:31], v[6:7]
	s_delay_alu instid0(VALU_DEP_3)
	v_cmp_gt_i64_e64 s0, s[28:29], v[8:9]
	v_mul_u64_e32 v[6:7], s[24:25], v[18:19]
	v_mul_u64_e32 v[8:9], s[18:19], v[18:19]
	s_cmp_eq_f32 s41, 0
	v_lshl_or_b32 v11, v4, 5, v5
	v_add_nc_u64_e32 v[4:5], s[4:5], v[12:13]
	v_add_nc_u64_e32 v[12:13], 16, v[18:19]
	s_cselect_b32 s39, -1, 0
	s_lshl_b64 s[6:7], s[6:7], 1
	v_add_nc_u32_e32 v29, 0x400, v11
	v_lshl_add_u32 v31, v10, 5, 0x400
	s_lshl_b64 s[12:13], s[12:13], 1
	v_lshl_or_b32 v28, v2, 7, v20
	v_add_nc_u64_e32 v[20:21], 16, v[4:5]
	v_cmp_gt_i64_e64 s5, s[30:31], v[12:13]
	v_dual_mov_b32 v13, v3 :: v_dual_lshlrev_b32 v12, 1, v0
	v_cmp_gt_i64_e64 s2, s[30:31], v[18:19]
	v_cmp_gt_i64_e64 s3, s[28:29], v[4:5]
	s_mov_b32 s40, s38
	v_cmp_gt_i64_e64 s4, s[28:29], v[20:21]
	v_cmp_gt_i64_e64 s28, s[36:37], 0
	v_lshl_add_u64 v[10:11], v[14:15], 1, s[6:7]
	s_lshl_b64 s[6:7], s[42:43], 6
	s_lshl_b64 s[10:11], s[10:11], 4
	s_add_nc_u64 s[6:7], s[12:13], s[6:7]
	s_lshl_b64 s[12:13], s[18:19], 4
	v_lshl_add_u64 v[14:15], v[16:17], 1, s[6:7]
	v_dual_mov_b32 v17, v3 :: v_dual_lshlrev_b32 v16, 1, v22
	v_add_nc_u64_e32 v[10:11], v[10:11], v[12:13]
	s_lshl_b64 s[6:7], s[24:25], 4
	s_lshl_b64 s[18:19], s[26:27], 2
	;; [unrolled: 1-line block ×3, first 2 shown]
	v_add_nc_u64_e32 v[12:13], v[14:15], v[16:17]
	s_branch .LBB185_4
.LBB185_2:                              ;   in Loop: Header=BB185_4 Depth=1
	s_wait_xcnt 0x0
	s_or_b32 exec_lo, exec_lo, s24
.LBB185_3:                              ;   in Loop: Header=BB185_4 Depth=1
	s_add_co_i32 s34, s34, 0x10000
	s_delay_alu instid0(SALU_CYCLE_1)
	s_cmp_lt_i32 s34, s33
	s_cbranch_scc0 .LBB185_34
.LBB185_4:                              ; =>This Loop Header: Depth=1
                                        ;     Child Loop BB185_7 Depth 2
	v_dual_mov_b32 v14, s34 :: v_dual_mov_b32 v19, 0
	v_dual_mov_b32 v18, 0 :: v_dual_mov_b32 v15, 0
	s_and_not1_b32 vcc_lo, exec_lo, s28
	s_clause 0x1
	global_load_b64 v[16:17], v14, s[16:17] scale_offset
	global_load_b64 v[20:21], v14, s[22:23] scale_offset
	s_wait_xcnt 0x0
	v_mov_b32_e32 v14, 0
	s_cbranch_vccnz .LBB185_11
; %bb.5:                                ;   in Loop: Header=BB185_4 Depth=1
	s_lshl_b64 s[24:25], s[34:35], 3
	v_mov_b32_e32 v18, 0
	s_add_nc_u64 s[26:27], s[14:15], s[24:25]
	s_add_nc_u64 s[24:25], s[8:9], s[24:25]
	s_clause 0x1
	global_load_b64 v[14:15], v3, s[26:27]
	global_load_b64 v[24:25], v3, s[24:25]
	s_wait_xcnt 0x0
	s_mov_b64 s[24:25], 0
	v_mov_b32_e32 v19, v18
	s_wait_loadcnt 0x1
	v_add_nc_u64_e32 v[22:23], v[14:15], v[10:11]
	s_wait_loadcnt 0x0
	v_add_nc_u64_e32 v[24:25], v[24:25], v[12:13]
	v_dual_mov_b32 v14, v18 :: v_dual_mov_b32 v15, v18
	s_branch .LBB185_7
.LBB185_6:                              ;   in Loop: Header=BB185_7 Depth=2
	s_wait_xcnt 0x0
	s_or_b32 exec_lo, exec_lo, s26
	ds_store_b32 v29, v27
	s_wait_dscnt 0x0
	s_barrier_signal -1
	s_barrier_wait -1
	ds_load_b128 v[32:35], v31
	ds_load_2addr_b32 v[26:27], v30 offset1:16
	ds_load_b128 v[36:39], v31 offset:512
	ds_load_2addr_b32 v[48:49], v30 offset0:32 offset1:48
	ds_load_2addr_b32 v[50:51], v30 offset0:64 offset1:80
	;; [unrolled: 1-line block ×3, first 2 shown]
	ds_load_b128 v[40:43], v31 offset:16
	ds_load_2addr_b32 v[54:55], v30 offset0:128 offset1:144
	ds_load_b128 v[44:47], v31 offset:528
	s_add_nc_u64 s[24:25], s[24:25], 8
	v_add_nc_u64_e32 v[22:23], 16, v[22:23]
	v_cmp_lt_i64_e64 s26, s[24:25], s[36:37]
	v_add_nc_u64_e32 v[24:25], s[10:11], v[24:25]
	s_and_b32 vcc_lo, exec_lo, s26
	s_wait_dscnt 0x7
	v_pk_fma_f32 v[18:19], v[26:27], v[32:33], v[18:19] op_sel_hi:[1,0,1]
	s_wait_dscnt 0x6
	v_pk_fma_f32 v[14:15], v[26:27], v[36:37], v[14:15] op_sel_hi:[1,0,1]
	ds_load_2addr_b32 v[26:27], v30 offset0:160 offset1:176
	s_wait_dscnt 0x6
	v_pk_fma_f32 v[18:19], v[48:49], v[32:33], v[18:19] op_sel:[0,1,0]
	v_pk_fma_f32 v[14:15], v[48:49], v[36:37], v[14:15] op_sel:[0,1,0]
	ds_load_2addr_b32 v[32:33], v30 offset0:192 offset1:208
	v_dual_mov_b32 v36, v35 :: v_dual_mov_b32 v48, v39
	s_wait_dscnt 0x6
	v_pk_fma_f32 v[18:19], v[50:51], v[34:35], v[18:19] op_sel_hi:[1,0,1]
	v_pk_fma_f32 v[14:15], v[50:51], v[38:39], v[14:15] op_sel_hi:[1,0,1]
	ds_load_2addr_b32 v[34:35], v30 offset0:224 offset1:240
	s_wait_dscnt 0x0
	s_barrier_signal -1
	v_pk_fma_f32 v[18:19], v[52:53], v[36:37], v[18:19] op_sel_hi:[1,0,1]
	v_pk_fma_f32 v[14:15], v[52:53], v[48:49], v[14:15] op_sel_hi:[1,0,1]
	s_barrier_wait -1
	v_mov_b32_e32 v36, v47
	s_delay_alu instid0(VALU_DEP_3) | instskip(NEXT) | instid1(VALU_DEP_3)
	v_pk_fma_f32 v[18:19], v[54:55], v[40:41], v[18:19] op_sel_hi:[1,0,1]
	v_pk_fma_f32 v[14:15], v[54:55], v[44:45], v[14:15] op_sel_hi:[1,0,1]
	s_delay_alu instid0(VALU_DEP_2) | instskip(NEXT) | instid1(VALU_DEP_2)
	v_pk_fma_f32 v[18:19], v[26:27], v[40:41], v[18:19] op_sel:[0,1,0]
	v_pk_fma_f32 v[14:15], v[26:27], v[44:45], v[14:15] op_sel:[0,1,0]
	v_mov_b32_e32 v26, v43
	s_delay_alu instid0(VALU_DEP_3) | instskip(NEXT) | instid1(VALU_DEP_3)
	v_pk_fma_f32 v[18:19], v[32:33], v[42:43], v[18:19] op_sel_hi:[1,0,1]
	v_pk_fma_f32 v[14:15], v[32:33], v[46:47], v[14:15] op_sel_hi:[1,0,1]
	s_delay_alu instid0(VALU_DEP_2) | instskip(NEXT) | instid1(VALU_DEP_2)
	v_pk_fma_f32 v[18:19], v[34:35], v[26:27], v[18:19] op_sel_hi:[1,0,1]
	v_pk_fma_f32 v[14:15], v[34:35], v[36:37], v[14:15] op_sel_hi:[1,0,1]
	s_cbranch_vccz .LBB185_11
.LBB185_7:                              ;   Parent Loop BB185_4 Depth=1
                                        ; =>  This Inner Loop Header: Depth=2
	v_add_nc_u64_e32 v[26:27], s[24:25], v[2:3]
	s_delay_alu instid0(VALU_DEP_1) | instskip(SKIP_2) | instid1(SALU_CYCLE_1)
	v_cmp_gt_i64_e32 vcc_lo, s[36:37], v[26:27]
	v_mov_b32_e32 v26, 0
	s_and_b32 s27, s0, vcc_lo
	s_and_saveexec_b32 s26, s27
	s_cbranch_execz .LBB185_9
; %bb.8:                                ;   in Loop: Header=BB185_7 Depth=2
	flat_load_u16 v26, v[24:25]
	s_wait_loadcnt_dscnt 0x0
	v_lshlrev_b32_e32 v26, 16, v26
.LBB185_9:                              ;   in Loop: Header=BB185_7 Depth=2
	s_wait_xcnt 0x0
	s_or_b32 exec_lo, exec_lo, s26
	v_add_nc_u64_e32 v[32:33], s[24:25], v[0:1]
	v_mov_b32_e32 v27, 0
	ds_store_b32 v28, v26
	v_cmp_gt_i64_e32 vcc_lo, s[36:37], v[32:33]
	s_and_b32 s27, vcc_lo, s1
	s_delay_alu instid0(SALU_CYCLE_1)
	s_and_saveexec_b32 s26, s27
	s_cbranch_execz .LBB185_6
; %bb.10:                               ;   in Loop: Header=BB185_7 Depth=2
	flat_load_u16 v26, v[22:23]
	s_wait_loadcnt_dscnt 0x0
	v_lshlrev_b32_e32 v27, 16, v26
	s_branch .LBB185_6
.LBB185_11:                             ;   in Loop: Header=BB185_4 Depth=1
	s_wait_loadcnt 0x0
	v_add_nc_u64_e32 v[20:21], s[18:19], v[20:21]
	s_and_not1_b32 vcc_lo, exec_lo, s39
	s_cbranch_vccnz .LBB185_16
; %bb.12:                               ;   in Loop: Header=BB185_4 Depth=1
	s_and_saveexec_b32 s24, s2
	s_cbranch_execz .LBB185_23
; %bb.13:                               ;   in Loop: Header=BB185_4 Depth=1
	s_delay_alu instid0(VALU_DEP_1) | instskip(NEXT) | instid1(VALU_DEP_1)
	v_lshl_add_u64 v[22:23], v[6:7], 2, v[20:21]
	v_lshl_add_u64 v[24:25], v[4:5], 2, v[22:23]
	s_and_saveexec_b32 s25, s3
	s_cbranch_execnz .LBB185_17
; %bb.14:                               ;   in Loop: Header=BB185_4 Depth=1
	s_or_b32 exec_lo, exec_lo, s25
	s_and_saveexec_b32 s25, s4
	s_cbranch_execnz .LBB185_18
.LBB185_15:                             ;   in Loop: Header=BB185_4 Depth=1
	s_or_b32 exec_lo, exec_lo, s25
	s_delay_alu instid0(SALU_CYCLE_1)
	s_and_b32 exec_lo, exec_lo, s5
	s_cbranch_execnz .LBB185_19
	s_branch .LBB185_23
.LBB185_16:                             ;   in Loop: Header=BB185_4 Depth=1
	s_branch .LBB185_24
.LBB185_17:                             ;   in Loop: Header=BB185_4 Depth=1
	v_mul_f32_e32 v26, s38, v18
	flat_store_b32 v[24:25], v26
	s_wait_xcnt 0x0
	s_or_b32 exec_lo, exec_lo, s25
	s_and_saveexec_b32 s25, s4
	s_cbranch_execz .LBB185_15
.LBB185_18:                             ;   in Loop: Header=BB185_4 Depth=1
	v_mul_f32_e32 v26, s38, v19
	flat_store_b32 v[24:25], v26 offset:64
	s_wait_xcnt 0x0
	s_or_b32 exec_lo, exec_lo, s25
	s_delay_alu instid0(SALU_CYCLE_1)
	s_and_b32 exec_lo, exec_lo, s5
	s_cbranch_execz .LBB185_23
.LBB185_19:                             ;   in Loop: Header=BB185_4 Depth=1
	v_lshl_add_u64 v[22:23], s[6:7], 2, v[22:23]
	s_delay_alu instid0(VALU_DEP_1)
	v_lshl_add_u64 v[22:23], v[4:5], 2, v[22:23]
	s_and_saveexec_b32 s25, s3
	s_cbranch_execz .LBB185_21
; %bb.20:                               ;   in Loop: Header=BB185_4 Depth=1
	v_mul_f32_e32 v24, s38, v14
	flat_store_b32 v[22:23], v24
.LBB185_21:                             ;   in Loop: Header=BB185_4 Depth=1
	s_wait_xcnt 0x0
	s_or_b32 exec_lo, exec_lo, s25
	s_delay_alu instid0(SALU_CYCLE_1)
	s_and_b32 exec_lo, exec_lo, s4
	s_cbranch_execz .LBB185_23
; %bb.22:                               ;   in Loop: Header=BB185_4 Depth=1
	v_mul_f32_e32 v24, s38, v15
	flat_store_b32 v[22:23], v24 offset:64
.LBB185_23:                             ;   in Loop: Header=BB185_4 Depth=1
	s_wait_xcnt 0x0
	s_or_b32 exec_lo, exec_lo, s24
	s_cbranch_execnz .LBB185_3
.LBB185_24:                             ;   in Loop: Header=BB185_4 Depth=1
	s_and_saveexec_b32 s24, s2
	s_cbranch_execz .LBB185_2
; %bb.25:                               ;   in Loop: Header=BB185_4 Depth=1
	v_add_nc_u64_e32 v[22:23], s[20:21], v[16:17]
	v_lshlrev_b64_e32 v[16:17], 2, v[4:5]
	v_lshl_add_u64 v[20:21], v[6:7], 2, v[20:21]
	s_delay_alu instid0(VALU_DEP_3) | instskip(NEXT) | instid1(VALU_DEP_2)
	v_lshl_add_u64 v[22:23], v[8:9], 2, v[22:23]
	v_add_nc_u64_e32 v[24:25], v[20:21], v[16:17]
	s_delay_alu instid0(VALU_DEP_2)
	v_add_nc_u64_e32 v[26:27], v[22:23], v[16:17]
	s_and_saveexec_b32 s25, s3
	s_cbranch_execnz .LBB185_28
; %bb.26:                               ;   in Loop: Header=BB185_4 Depth=1
	s_or_b32 exec_lo, exec_lo, s25
	s_and_saveexec_b32 s25, s4
	s_cbranch_execnz .LBB185_29
.LBB185_27:                             ;   in Loop: Header=BB185_4 Depth=1
	s_or_b32 exec_lo, exec_lo, s25
	s_delay_alu instid0(SALU_CYCLE_1)
	s_and_b32 exec_lo, exec_lo, s5
	s_cbranch_execz .LBB185_2
	s_branch .LBB185_30
.LBB185_28:                             ;   in Loop: Header=BB185_4 Depth=1
	flat_load_b32 v33, v[26:27]
	v_mov_b64_e32 v[34:35], s[40:41]
	v_mov_b32_e32 v32, v18
	s_wait_loadcnt_dscnt 0x0
	s_delay_alu instid0(VALU_DEP_1) | instskip(NEXT) | instid1(VALU_DEP_1)
	v_pk_mul_f32 v[32:33], v[34:35], v[32:33]
	v_add_f32_e32 v18, v32, v33
	flat_store_b32 v[24:25], v18
	s_wait_xcnt 0x0
	s_or_b32 exec_lo, exec_lo, s25
	s_and_saveexec_b32 s25, s4
	s_cbranch_execz .LBB185_27
.LBB185_29:                             ;   in Loop: Header=BB185_4 Depth=1
	flat_load_b32 v27, v[26:27] offset:64
	s_wait_xcnt 0x0
	v_mov_b32_e32 v26, v19
	v_mov_b64_e32 v[18:19], s[40:41]
	s_wait_loadcnt_dscnt 0x0
	s_delay_alu instid0(VALU_DEP_1) | instskip(NEXT) | instid1(VALU_DEP_1)
	v_pk_mul_f32 v[18:19], v[18:19], v[26:27]
	v_add_f32_e32 v18, v18, v19
	flat_store_b32 v[24:25], v18 offset:64
	s_wait_xcnt 0x0
	s_or_b32 exec_lo, exec_lo, s25
	s_delay_alu instid0(SALU_CYCLE_1)
	s_and_b32 exec_lo, exec_lo, s5
	s_cbranch_execz .LBB185_2
.LBB185_30:                             ;   in Loop: Header=BB185_4 Depth=1
	v_lshl_add_u64 v[18:19], s[12:13], 2, v[22:23]
	v_lshl_add_u64 v[20:21], s[6:7], 2, v[20:21]
	s_delay_alu instid0(VALU_DEP_2) | instskip(NEXT) | instid1(VALU_DEP_2)
	v_add_nc_u64_e32 v[18:19], v[18:19], v[16:17]
	v_add_nc_u64_e32 v[16:17], v[20:21], v[16:17]
	s_and_saveexec_b32 s25, s3
	s_cbranch_execz .LBB185_32
; %bb.31:                               ;   in Loop: Header=BB185_4 Depth=1
	flat_load_b32 v21, v[18:19]
	v_mov_b64_e32 v[22:23], s[40:41]
	v_mov_b32_e32 v20, v14
	s_wait_loadcnt_dscnt 0x0
	s_delay_alu instid0(VALU_DEP_1) | instskip(NEXT) | instid1(VALU_DEP_1)
	v_pk_mul_f32 v[20:21], v[22:23], v[20:21]
	v_add_f32_e32 v14, v20, v21
	flat_store_b32 v[16:17], v14
.LBB185_32:                             ;   in Loop: Header=BB185_4 Depth=1
	s_wait_xcnt 0x0
	s_or_b32 exec_lo, exec_lo, s25
	s_delay_alu instid0(SALU_CYCLE_1)
	s_and_b32 exec_lo, exec_lo, s4
	s_cbranch_execz .LBB185_2
; %bb.33:                               ;   in Loop: Header=BB185_4 Depth=1
	flat_load_b32 v19, v[18:19] offset:64
	s_wait_xcnt 0x0
	v_mov_b32_e32 v18, v15
	v_mov_b64_e32 v[14:15], s[40:41]
	s_wait_loadcnt_dscnt 0x0
	s_delay_alu instid0(VALU_DEP_1) | instskip(NEXT) | instid1(VALU_DEP_1)
	v_pk_mul_f32 v[14:15], v[14:15], v[18:19]
	v_add_f32_e32 v14, v14, v15
	flat_store_b32 v[16:17], v14 offset:64
	s_branch .LBB185_2
.LBB185_34:
	s_endpgm
	.section	.rodata,"a",@progbits
	.p2align	6, 0x0
	.amdhsa_kernel _ZN12_GLOBAL__N_135rocblas_gemm_batched_general_kernelIfLi16ELi16ELi32ELi32ELi8ELi32ELi8ELi8ELi32ELc78ELc78EKPK16rocblas_bfloat16KPKfKPfEEvlllT_PT11_llSC_llSA_PT12_llPT13_lli
		.amdhsa_group_segment_fixed_size 2048
		.amdhsa_private_segment_fixed_size 0
		.amdhsa_kernarg_size 140
		.amdhsa_user_sgpr_count 2
		.amdhsa_user_sgpr_dispatch_ptr 0
		.amdhsa_user_sgpr_queue_ptr 0
		.amdhsa_user_sgpr_kernarg_segment_ptr 1
		.amdhsa_user_sgpr_dispatch_id 0
		.amdhsa_user_sgpr_kernarg_preload_length 0
		.amdhsa_user_sgpr_kernarg_preload_offset 0
		.amdhsa_user_sgpr_private_segment_size 0
		.amdhsa_wavefront_size32 1
		.amdhsa_uses_dynamic_stack 0
		.amdhsa_enable_private_segment 0
		.amdhsa_system_sgpr_workgroup_id_x 1
		.amdhsa_system_sgpr_workgroup_id_y 1
		.amdhsa_system_sgpr_workgroup_id_z 1
		.amdhsa_system_sgpr_workgroup_info 0
		.amdhsa_system_vgpr_workitem_id 1
		.amdhsa_next_free_vgpr 56
		.amdhsa_next_free_sgpr 44
		.amdhsa_named_barrier_count 0
		.amdhsa_reserve_vcc 1
		.amdhsa_float_round_mode_32 0
		.amdhsa_float_round_mode_16_64 0
		.amdhsa_float_denorm_mode_32 3
		.amdhsa_float_denorm_mode_16_64 3
		.amdhsa_fp16_overflow 0
		.amdhsa_memory_ordered 1
		.amdhsa_forward_progress 1
		.amdhsa_inst_pref_size 15
		.amdhsa_round_robin_scheduling 0
		.amdhsa_exception_fp_ieee_invalid_op 0
		.amdhsa_exception_fp_denorm_src 0
		.amdhsa_exception_fp_ieee_div_zero 0
		.amdhsa_exception_fp_ieee_overflow 0
		.amdhsa_exception_fp_ieee_underflow 0
		.amdhsa_exception_fp_ieee_inexact 0
		.amdhsa_exception_int_div_zero 0
	.end_amdhsa_kernel
	.section	.text._ZN12_GLOBAL__N_135rocblas_gemm_batched_general_kernelIfLi16ELi16ELi32ELi32ELi8ELi32ELi8ELi8ELi32ELc78ELc78EKPK16rocblas_bfloat16KPKfKPfEEvlllT_PT11_llSC_llSA_PT12_llPT13_lli,"axG",@progbits,_ZN12_GLOBAL__N_135rocblas_gemm_batched_general_kernelIfLi16ELi16ELi32ELi32ELi8ELi32ELi8ELi8ELi32ELc78ELc78EKPK16rocblas_bfloat16KPKfKPfEEvlllT_PT11_llSC_llSA_PT12_llPT13_lli,comdat
.Lfunc_end185:
	.size	_ZN12_GLOBAL__N_135rocblas_gemm_batched_general_kernelIfLi16ELi16ELi32ELi32ELi8ELi32ELi8ELi8ELi32ELc78ELc78EKPK16rocblas_bfloat16KPKfKPfEEvlllT_PT11_llSC_llSA_PT12_llPT13_lli, .Lfunc_end185-_ZN12_GLOBAL__N_135rocblas_gemm_batched_general_kernelIfLi16ELi16ELi32ELi32ELi8ELi32ELi8ELi8ELi32ELc78ELc78EKPK16rocblas_bfloat16KPKfKPfEEvlllT_PT11_llSC_llSA_PT12_llPT13_lli
                                        ; -- End function
	.set _ZN12_GLOBAL__N_135rocblas_gemm_batched_general_kernelIfLi16ELi16ELi32ELi32ELi8ELi32ELi8ELi8ELi32ELc78ELc78EKPK16rocblas_bfloat16KPKfKPfEEvlllT_PT11_llSC_llSA_PT12_llPT13_lli.num_vgpr, 56
	.set _ZN12_GLOBAL__N_135rocblas_gemm_batched_general_kernelIfLi16ELi16ELi32ELi32ELi8ELi32ELi8ELi8ELi32ELc78ELc78EKPK16rocblas_bfloat16KPKfKPfEEvlllT_PT11_llSC_llSA_PT12_llPT13_lli.num_agpr, 0
	.set _ZN12_GLOBAL__N_135rocblas_gemm_batched_general_kernelIfLi16ELi16ELi32ELi32ELi8ELi32ELi8ELi8ELi32ELc78ELc78EKPK16rocblas_bfloat16KPKfKPfEEvlllT_PT11_llSC_llSA_PT12_llPT13_lli.numbered_sgpr, 44
	.set _ZN12_GLOBAL__N_135rocblas_gemm_batched_general_kernelIfLi16ELi16ELi32ELi32ELi8ELi32ELi8ELi8ELi32ELc78ELc78EKPK16rocblas_bfloat16KPKfKPfEEvlllT_PT11_llSC_llSA_PT12_llPT13_lli.num_named_barrier, 0
	.set _ZN12_GLOBAL__N_135rocblas_gemm_batched_general_kernelIfLi16ELi16ELi32ELi32ELi8ELi32ELi8ELi8ELi32ELc78ELc78EKPK16rocblas_bfloat16KPKfKPfEEvlllT_PT11_llSC_llSA_PT12_llPT13_lli.private_seg_size, 0
	.set _ZN12_GLOBAL__N_135rocblas_gemm_batched_general_kernelIfLi16ELi16ELi32ELi32ELi8ELi32ELi8ELi8ELi32ELc78ELc78EKPK16rocblas_bfloat16KPKfKPfEEvlllT_PT11_llSC_llSA_PT12_llPT13_lli.uses_vcc, 1
	.set _ZN12_GLOBAL__N_135rocblas_gemm_batched_general_kernelIfLi16ELi16ELi32ELi32ELi8ELi32ELi8ELi8ELi32ELc78ELc78EKPK16rocblas_bfloat16KPKfKPfEEvlllT_PT11_llSC_llSA_PT12_llPT13_lli.uses_flat_scratch, 0
	.set _ZN12_GLOBAL__N_135rocblas_gemm_batched_general_kernelIfLi16ELi16ELi32ELi32ELi8ELi32ELi8ELi8ELi32ELc78ELc78EKPK16rocblas_bfloat16KPKfKPfEEvlllT_PT11_llSC_llSA_PT12_llPT13_lli.has_dyn_sized_stack, 0
	.set _ZN12_GLOBAL__N_135rocblas_gemm_batched_general_kernelIfLi16ELi16ELi32ELi32ELi8ELi32ELi8ELi8ELi32ELc78ELc78EKPK16rocblas_bfloat16KPKfKPfEEvlllT_PT11_llSC_llSA_PT12_llPT13_lli.has_recursion, 0
	.set _ZN12_GLOBAL__N_135rocblas_gemm_batched_general_kernelIfLi16ELi16ELi32ELi32ELi8ELi32ELi8ELi8ELi32ELc78ELc78EKPK16rocblas_bfloat16KPKfKPfEEvlllT_PT11_llSC_llSA_PT12_llPT13_lli.has_indirect_call, 0
	.section	.AMDGPU.csdata,"",@progbits
; Kernel info:
; codeLenInByte = 1836
; TotalNumSgprs: 46
; NumVgprs: 56
; ScratchSize: 0
; MemoryBound: 0
; FloatMode: 240
; IeeeMode: 1
; LDSByteSize: 2048 bytes/workgroup (compile time only)
; SGPRBlocks: 0
; VGPRBlocks: 3
; NumSGPRsForWavesPerEU: 46
; NumVGPRsForWavesPerEU: 56
; NamedBarCnt: 0
; Occupancy: 16
; WaveLimiterHint : 1
; COMPUTE_PGM_RSRC2:SCRATCH_EN: 0
; COMPUTE_PGM_RSRC2:USER_SGPR: 2
; COMPUTE_PGM_RSRC2:TRAP_HANDLER: 0
; COMPUTE_PGM_RSRC2:TGID_X_EN: 1
; COMPUTE_PGM_RSRC2:TGID_Y_EN: 1
; COMPUTE_PGM_RSRC2:TGID_Z_EN: 1
; COMPUTE_PGM_RSRC2:TIDIG_COMP_CNT: 1
	.section	.text._ZN12_GLOBAL__N_135rocblas_gemm_batched_general_kernelIfLi16ELi16ELi32ELi32ELi8ELi32ELi8ELi8ELi32ELc84ELc78EKPK16rocblas_bfloat16KPKfKPfEEvlllT_PT11_llSC_llSA_PT12_llPT13_lli,"axG",@progbits,_ZN12_GLOBAL__N_135rocblas_gemm_batched_general_kernelIfLi16ELi16ELi32ELi32ELi8ELi32ELi8ELi8ELi32ELc84ELc78EKPK16rocblas_bfloat16KPKfKPfEEvlllT_PT11_llSC_llSA_PT12_llPT13_lli,comdat
	.globl	_ZN12_GLOBAL__N_135rocblas_gemm_batched_general_kernelIfLi16ELi16ELi32ELi32ELi8ELi32ELi8ELi8ELi32ELc84ELc78EKPK16rocblas_bfloat16KPKfKPfEEvlllT_PT11_llSC_llSA_PT12_llPT13_lli ; -- Begin function _ZN12_GLOBAL__N_135rocblas_gemm_batched_general_kernelIfLi16ELi16ELi32ELi32ELi8ELi32ELi8ELi8ELi32ELc84ELc78EKPK16rocblas_bfloat16KPKfKPfEEvlllT_PT11_llSC_llSA_PT12_llPT13_lli
	.p2align	8
	.type	_ZN12_GLOBAL__N_135rocblas_gemm_batched_general_kernelIfLi16ELi16ELi32ELi32ELi8ELi32ELi8ELi8ELi32ELc84ELc78EKPK16rocblas_bfloat16KPKfKPfEEvlllT_PT11_llSC_llSA_PT12_llPT13_lli,@function
_ZN12_GLOBAL__N_135rocblas_gemm_batched_general_kernelIfLi16ELi16ELi32ELi32ELi8ELi32ELi8ELi8ELi32ELc84ELc78EKPK16rocblas_bfloat16KPKfKPfEEvlllT_PT11_llSC_llSA_PT12_llPT13_lli: ; @_ZN12_GLOBAL__N_135rocblas_gemm_batched_general_kernelIfLi16ELi16ELi32ELi32ELi8ELi32ELi8ELi8ELi32ELc84ELc78EKPK16rocblas_bfloat16KPKfKPfEEvlllT_PT11_llSC_llSA_PT12_llPT13_lli
; %bb.0:
	s_load_b32 s33, s[0:1], 0x88
	s_bfe_u32 s2, ttmp6, 0x40014
	s_lshr_b32 s3, ttmp7, 16
	s_add_co_i32 s2, s2, 1
	s_bfe_u32 s5, ttmp6, 0x40008
	s_mul_i32 s4, s3, s2
	s_getreg_b32 s2, hwreg(HW_REG_IB_STS2, 6, 4)
	s_add_co_i32 s5, s5, s4
	s_cmp_eq_u32 s2, 0
	s_mov_b32 s35, 0
	s_cselect_b32 s34, s3, s5
	s_wait_kmcnt 0x0
	s_cmp_ge_i32 s34, s33
	s_cbranch_scc1 .LBB186_34
; %bb.1:
	v_bfe_u32 v10, v0, 10, 10
	v_and_b32_e32 v12, 0x3ff, v0
	s_bfe_u32 s16, ttmp6, 0x4000c
	s_bfe_u32 s17, ttmp6, 0x40010
	s_clause 0x3
	s_load_b128 s[4:7], s[0:1], 0x0
	s_load_b256 s[8:15], s[0:1], 0x20
	s_load_b128 s[24:27], s[0:1], 0x40
	s_load_b32 s41, s[0:1], 0x50
	s_add_co_i32 s16, s16, 1
	s_and_b32 s18, ttmp7, 0xffff
	s_add_co_i32 s17, s17, 1
	v_lshl_add_u32 v3, v10, 4, v12
	v_mov_b32_e32 v1, 0
	s_and_b32 s3, ttmp6, 15
	s_mul_i32 s16, ttmp9, s16
	s_mul_i32 s17, s18, s17
	s_bfe_u32 s19, ttmp6, 0x40004
	s_add_co_i32 s3, s3, s16
	s_add_co_i32 s19, s19, s17
	s_cmp_eq_u32 s2, 0
	v_dual_mov_b32 v7, v1 :: v_dual_lshrrev_b32 v6, 3, v3
	v_and_b32_e32 v8, 31, v3
	s_cselect_b32 s16, s18, s19
	s_cselect_b32 s2, ttmp9, s3
	s_lshl_b32 s42, s16, 5
	s_mov_b32 s43, s35
	s_ashr_i32 s3, s2, 31
	v_add_nc_u64_e32 v[14:15], s[42:43], v[6:7]
	s_clause 0x1
	s_load_b128 s[28:31], s[0:1], 0x78
	s_load_b256 s[16:23], s[0:1], 0x58
	s_lshl_b64 s[2:3], s[2:3], 5
	v_dual_mov_b32 v11, v1 :: v_dual_bitop2_b32 v2, 7, v0 bitop3:0x40
	v_dual_mov_b32 v5, s3 :: v_dual_bitop2_b32 v4, s2, v8 bitop3:0x54
	s_wait_kmcnt 0x0
	v_mul_u64_e32 v[16:17], s[24:25], v[14:15]
	s_delay_alu instid0(VALU_DEP_3)
	v_add_nc_u64_e32 v[20:21], s[42:43], v[10:11]
	v_dual_mov_b32 v13, v1 :: v_dual_lshrrev_b32 v0, 5, v3
	v_mul_u64_e32 v[18:19], s[10:11], v[4:5]
	v_dual_lshlrev_b32 v7, 2, v2 :: v_dual_mov_b32 v3, v1
	s_load_b96 s[36:38], s[0:1], 0x10
	s_wait_xcnt 0x0
	v_cmp_gt_i64_e64 s0, s[4:5], v[4:5]
	v_lshlrev_b32_e32 v11, 2, v8
	v_add_nc_u64_e32 v[4:5], s[2:3], v[12:13]
	v_lshl_or_b32 v13, v6, 5, v7
	v_cmp_gt_i64_e64 s1, s[6:7], v[14:15]
	v_mul_u64_e32 v[6:7], s[28:29], v[20:21]
	v_mul_u64_e32 v[8:9], s[18:19], v[20:21]
	s_cmp_eq_f32 s41, 0
	v_add_nc_u32_e32 v29, 0x400, v13
	v_add_nc_u64_e32 v[14:15], 16, v[4:5]
	v_lshlrev_b32_e32 v30, 2, v12
	s_cselect_b32 s24, -1, 0
	s_lshl_b64 s[10:11], s[26:27], 1
	v_lshl_add_u32 v31, v10, 5, 0x400
	v_cmp_gt_i64_e64 s3, s[4:5], v[4:5]
	v_cmp_gt_i64_e64 s2, s[6:7], v[20:21]
	;; [unrolled: 1-line block ×3, first 2 shown]
	v_lshlrev_b32_e32 v14, 1, v2
	v_lshl_or_b32 v28, v0, 7, v11
	v_add_nc_u64_e32 v[10:11], 16, v[20:21]
	v_mov_b32_e32 v15, v1
	s_wait_kmcnt 0x0
	v_cmp_gt_i64_e64 s25, s[36:37], 0
	s_mov_b32 s40, s38
	v_lshl_add_u64 v[12:13], v[16:17], 1, s[10:11]
	s_lshl_b64 s[10:11], s[12:13], 1
	v_cmp_gt_i64_e64 s5, s[6:7], v[10:11]
	s_lshl_b64 s[6:7], s[28:29], 4
	v_lshl_add_u64 v[16:17], v[18:19], 1, s[10:11]
	v_dual_mov_b32 v19, v1 :: v_dual_lshlrev_b32 v18, 1, v0
	v_add_nc_u64_e32 v[10:11], v[12:13], v[14:15]
	s_lshl_b64 s[10:11], s[18:19], 4
	s_lshl_b64 s[12:13], s[30:31], 2
	;; [unrolled: 1-line block ×3, first 2 shown]
	v_add_nc_u64_e32 v[12:13], v[16:17], v[18:19]
	s_branch .LBB186_4
.LBB186_2:                              ;   in Loop: Header=BB186_4 Depth=1
	s_wait_xcnt 0x0
	s_or_b32 exec_lo, exec_lo, s20
.LBB186_3:                              ;   in Loop: Header=BB186_4 Depth=1
	s_add_co_i32 s34, s34, 0x10000
	s_delay_alu instid0(SALU_CYCLE_1)
	s_cmp_lt_i32 s34, s33
	s_cbranch_scc0 .LBB186_34
.LBB186_4:                              ; =>This Loop Header: Depth=1
                                        ;     Child Loop BB186_7 Depth 2
	v_dual_mov_b32 v14, s34 :: v_dual_mov_b32 v19, 0
	v_dual_mov_b32 v18, 0 :: v_dual_mov_b32 v15, 0
	s_and_not1_b32 vcc_lo, exec_lo, s25
	s_clause 0x1
	global_load_b64 v[16:17], v14, s[16:17] scale_offset
	global_load_b64 v[20:21], v14, s[22:23] scale_offset
	s_wait_xcnt 0x0
	v_mov_b32_e32 v14, 0
	s_cbranch_vccnz .LBB186_11
; %bb.5:                                ;   in Loop: Header=BB186_4 Depth=1
	s_lshl_b64 s[20:21], s[34:35], 3
	v_mov_b32_e32 v18, 0
	s_add_nc_u64 s[26:27], s[14:15], s[20:21]
	s_add_nc_u64 s[20:21], s[8:9], s[20:21]
	s_clause 0x1
	global_load_b64 v[14:15], v1, s[26:27]
	global_load_b64 v[24:25], v1, s[20:21]
	s_wait_xcnt 0x0
	s_mov_b64 s[20:21], 0
	v_mov_b32_e32 v19, v18
	s_wait_loadcnt 0x1
	v_add_nc_u64_e32 v[22:23], v[14:15], v[10:11]
	s_wait_loadcnt 0x0
	v_add_nc_u64_e32 v[24:25], v[24:25], v[12:13]
	v_dual_mov_b32 v14, v18 :: v_dual_mov_b32 v15, v18
	s_branch .LBB186_7
.LBB186_6:                              ;   in Loop: Header=BB186_7 Depth=2
	s_wait_xcnt 0x0
	s_or_b32 exec_lo, exec_lo, s26
	ds_store_b32 v29, v27
	s_wait_dscnt 0x0
	s_barrier_signal -1
	s_barrier_wait -1
	ds_load_b128 v[32:35], v31
	ds_load_2addr_b32 v[26:27], v30 offset1:16
	ds_load_b128 v[36:39], v31 offset:512
	ds_load_2addr_b32 v[48:49], v30 offset0:32 offset1:48
	ds_load_2addr_b32 v[50:51], v30 offset0:64 offset1:80
	;; [unrolled: 1-line block ×3, first 2 shown]
	ds_load_b128 v[40:43], v31 offset:16
	ds_load_2addr_b32 v[54:55], v30 offset0:128 offset1:144
	ds_load_b128 v[44:47], v31 offset:528
	s_add_nc_u64 s[20:21], s[20:21], 8
	v_add_nc_u64_e32 v[22:23], 16, v[22:23]
	v_cmp_lt_i64_e64 s26, s[20:21], s[36:37]
	v_add_nc_u64_e32 v[24:25], 16, v[24:25]
	s_and_b32 vcc_lo, exec_lo, s26
	s_wait_dscnt 0x7
	v_pk_fma_f32 v[18:19], v[26:27], v[32:33], v[18:19] op_sel_hi:[1,0,1]
	s_wait_dscnt 0x6
	v_pk_fma_f32 v[14:15], v[26:27], v[36:37], v[14:15] op_sel_hi:[1,0,1]
	ds_load_2addr_b32 v[26:27], v30 offset0:160 offset1:176
	s_wait_dscnt 0x6
	v_pk_fma_f32 v[18:19], v[48:49], v[32:33], v[18:19] op_sel:[0,1,0]
	v_pk_fma_f32 v[14:15], v[48:49], v[36:37], v[14:15] op_sel:[0,1,0]
	ds_load_2addr_b32 v[32:33], v30 offset0:192 offset1:208
	v_dual_mov_b32 v36, v35 :: v_dual_mov_b32 v48, v39
	s_wait_dscnt 0x6
	v_pk_fma_f32 v[18:19], v[50:51], v[34:35], v[18:19] op_sel_hi:[1,0,1]
	v_pk_fma_f32 v[14:15], v[50:51], v[38:39], v[14:15] op_sel_hi:[1,0,1]
	ds_load_2addr_b32 v[34:35], v30 offset0:224 offset1:240
	s_wait_dscnt 0x0
	s_barrier_signal -1
	v_pk_fma_f32 v[18:19], v[52:53], v[36:37], v[18:19] op_sel_hi:[1,0,1]
	v_pk_fma_f32 v[14:15], v[52:53], v[48:49], v[14:15] op_sel_hi:[1,0,1]
	s_barrier_wait -1
	v_mov_b32_e32 v36, v47
	s_delay_alu instid0(VALU_DEP_3) | instskip(NEXT) | instid1(VALU_DEP_3)
	v_pk_fma_f32 v[18:19], v[54:55], v[40:41], v[18:19] op_sel_hi:[1,0,1]
	v_pk_fma_f32 v[14:15], v[54:55], v[44:45], v[14:15] op_sel_hi:[1,0,1]
	s_delay_alu instid0(VALU_DEP_2) | instskip(NEXT) | instid1(VALU_DEP_2)
	v_pk_fma_f32 v[18:19], v[26:27], v[40:41], v[18:19] op_sel:[0,1,0]
	v_pk_fma_f32 v[14:15], v[26:27], v[44:45], v[14:15] op_sel:[0,1,0]
	v_mov_b32_e32 v26, v43
	s_delay_alu instid0(VALU_DEP_3) | instskip(NEXT) | instid1(VALU_DEP_3)
	v_pk_fma_f32 v[18:19], v[32:33], v[42:43], v[18:19] op_sel_hi:[1,0,1]
	v_pk_fma_f32 v[14:15], v[32:33], v[46:47], v[14:15] op_sel_hi:[1,0,1]
	s_delay_alu instid0(VALU_DEP_2) | instskip(NEXT) | instid1(VALU_DEP_2)
	v_pk_fma_f32 v[18:19], v[34:35], v[26:27], v[18:19] op_sel_hi:[1,0,1]
	v_pk_fma_f32 v[14:15], v[34:35], v[36:37], v[14:15] op_sel_hi:[1,0,1]
	s_cbranch_vccz .LBB186_11
.LBB186_7:                              ;   Parent Loop BB186_4 Depth=1
                                        ; =>  This Inner Loop Header: Depth=2
	v_add_nc_u64_e32 v[26:27], s[20:21], v[0:1]
	s_delay_alu instid0(VALU_DEP_1) | instskip(SKIP_2) | instid1(SALU_CYCLE_1)
	v_cmp_gt_i64_e32 vcc_lo, s[36:37], v[26:27]
	v_mov_b32_e32 v26, 0
	s_and_b32 s27, s0, vcc_lo
	s_and_saveexec_b32 s26, s27
	s_cbranch_execz .LBB186_9
; %bb.8:                                ;   in Loop: Header=BB186_7 Depth=2
	flat_load_u16 v26, v[24:25]
	s_wait_loadcnt_dscnt 0x0
	v_lshlrev_b32_e32 v26, 16, v26
.LBB186_9:                              ;   in Loop: Header=BB186_7 Depth=2
	s_wait_xcnt 0x0
	s_or_b32 exec_lo, exec_lo, s26
	v_add_nc_u64_e32 v[32:33], s[20:21], v[2:3]
	v_mov_b32_e32 v27, 0
	ds_store_b32 v28, v26
	v_cmp_gt_i64_e32 vcc_lo, s[36:37], v[32:33]
	s_and_b32 s27, vcc_lo, s1
	s_delay_alu instid0(SALU_CYCLE_1)
	s_and_saveexec_b32 s26, s27
	s_cbranch_execz .LBB186_6
; %bb.10:                               ;   in Loop: Header=BB186_7 Depth=2
	flat_load_u16 v26, v[22:23]
	s_wait_loadcnt_dscnt 0x0
	v_lshlrev_b32_e32 v27, 16, v26
	s_branch .LBB186_6
.LBB186_11:                             ;   in Loop: Header=BB186_4 Depth=1
	s_wait_loadcnt 0x0
	v_add_nc_u64_e32 v[20:21], s[12:13], v[20:21]
	s_and_not1_b32 vcc_lo, exec_lo, s24
	s_cbranch_vccnz .LBB186_16
; %bb.12:                               ;   in Loop: Header=BB186_4 Depth=1
	s_and_saveexec_b32 s20, s2
	s_cbranch_execz .LBB186_23
; %bb.13:                               ;   in Loop: Header=BB186_4 Depth=1
	s_delay_alu instid0(VALU_DEP_1) | instskip(NEXT) | instid1(VALU_DEP_1)
	v_lshl_add_u64 v[22:23], v[6:7], 2, v[20:21]
	v_lshl_add_u64 v[24:25], v[4:5], 2, v[22:23]
	s_and_saveexec_b32 s21, s3
	s_cbranch_execnz .LBB186_17
; %bb.14:                               ;   in Loop: Header=BB186_4 Depth=1
	s_or_b32 exec_lo, exec_lo, s21
	s_and_saveexec_b32 s21, s4
	s_cbranch_execnz .LBB186_18
.LBB186_15:                             ;   in Loop: Header=BB186_4 Depth=1
	s_or_b32 exec_lo, exec_lo, s21
	s_delay_alu instid0(SALU_CYCLE_1)
	s_and_b32 exec_lo, exec_lo, s5
	s_cbranch_execnz .LBB186_19
	s_branch .LBB186_23
.LBB186_16:                             ;   in Loop: Header=BB186_4 Depth=1
	s_branch .LBB186_24
.LBB186_17:                             ;   in Loop: Header=BB186_4 Depth=1
	v_mul_f32_e32 v26, s38, v18
	flat_store_b32 v[24:25], v26
	s_wait_xcnt 0x0
	s_or_b32 exec_lo, exec_lo, s21
	s_and_saveexec_b32 s21, s4
	s_cbranch_execz .LBB186_15
.LBB186_18:                             ;   in Loop: Header=BB186_4 Depth=1
	v_mul_f32_e32 v26, s38, v19
	flat_store_b32 v[24:25], v26 offset:64
	s_wait_xcnt 0x0
	s_or_b32 exec_lo, exec_lo, s21
	s_delay_alu instid0(SALU_CYCLE_1)
	s_and_b32 exec_lo, exec_lo, s5
	s_cbranch_execz .LBB186_23
.LBB186_19:                             ;   in Loop: Header=BB186_4 Depth=1
	v_lshl_add_u64 v[22:23], s[6:7], 2, v[22:23]
	s_delay_alu instid0(VALU_DEP_1)
	v_lshl_add_u64 v[22:23], v[4:5], 2, v[22:23]
	s_and_saveexec_b32 s21, s3
	s_cbranch_execz .LBB186_21
; %bb.20:                               ;   in Loop: Header=BB186_4 Depth=1
	v_mul_f32_e32 v24, s38, v14
	flat_store_b32 v[22:23], v24
.LBB186_21:                             ;   in Loop: Header=BB186_4 Depth=1
	s_wait_xcnt 0x0
	s_or_b32 exec_lo, exec_lo, s21
	s_delay_alu instid0(SALU_CYCLE_1)
	s_and_b32 exec_lo, exec_lo, s4
	s_cbranch_execz .LBB186_23
; %bb.22:                               ;   in Loop: Header=BB186_4 Depth=1
	v_mul_f32_e32 v24, s38, v15
	flat_store_b32 v[22:23], v24 offset:64
.LBB186_23:                             ;   in Loop: Header=BB186_4 Depth=1
	s_wait_xcnt 0x0
	s_or_b32 exec_lo, exec_lo, s20
	s_cbranch_execnz .LBB186_3
.LBB186_24:                             ;   in Loop: Header=BB186_4 Depth=1
	s_and_saveexec_b32 s20, s2
	s_cbranch_execz .LBB186_2
; %bb.25:                               ;   in Loop: Header=BB186_4 Depth=1
	v_add_nc_u64_e32 v[22:23], s[18:19], v[16:17]
	v_lshlrev_b64_e32 v[16:17], 2, v[4:5]
	v_lshl_add_u64 v[20:21], v[6:7], 2, v[20:21]
	s_delay_alu instid0(VALU_DEP_3) | instskip(NEXT) | instid1(VALU_DEP_2)
	v_lshl_add_u64 v[22:23], v[8:9], 2, v[22:23]
	v_add_nc_u64_e32 v[24:25], v[20:21], v[16:17]
	s_delay_alu instid0(VALU_DEP_2)
	v_add_nc_u64_e32 v[26:27], v[22:23], v[16:17]
	s_and_saveexec_b32 s21, s3
	s_cbranch_execnz .LBB186_28
; %bb.26:                               ;   in Loop: Header=BB186_4 Depth=1
	s_or_b32 exec_lo, exec_lo, s21
	s_and_saveexec_b32 s21, s4
	s_cbranch_execnz .LBB186_29
.LBB186_27:                             ;   in Loop: Header=BB186_4 Depth=1
	s_or_b32 exec_lo, exec_lo, s21
	s_delay_alu instid0(SALU_CYCLE_1)
	s_and_b32 exec_lo, exec_lo, s5
	s_cbranch_execz .LBB186_2
	s_branch .LBB186_30
.LBB186_28:                             ;   in Loop: Header=BB186_4 Depth=1
	flat_load_b32 v33, v[26:27]
	v_mov_b64_e32 v[34:35], s[40:41]
	v_mov_b32_e32 v32, v18
	s_wait_loadcnt_dscnt 0x0
	s_delay_alu instid0(VALU_DEP_1) | instskip(NEXT) | instid1(VALU_DEP_1)
	v_pk_mul_f32 v[32:33], v[34:35], v[32:33]
	v_add_f32_e32 v18, v32, v33
	flat_store_b32 v[24:25], v18
	s_wait_xcnt 0x0
	s_or_b32 exec_lo, exec_lo, s21
	s_and_saveexec_b32 s21, s4
	s_cbranch_execz .LBB186_27
.LBB186_29:                             ;   in Loop: Header=BB186_4 Depth=1
	flat_load_b32 v27, v[26:27] offset:64
	s_wait_xcnt 0x0
	v_mov_b32_e32 v26, v19
	v_mov_b64_e32 v[18:19], s[40:41]
	s_wait_loadcnt_dscnt 0x0
	s_delay_alu instid0(VALU_DEP_1) | instskip(NEXT) | instid1(VALU_DEP_1)
	v_pk_mul_f32 v[18:19], v[18:19], v[26:27]
	v_add_f32_e32 v18, v18, v19
	flat_store_b32 v[24:25], v18 offset:64
	s_wait_xcnt 0x0
	s_or_b32 exec_lo, exec_lo, s21
	s_delay_alu instid0(SALU_CYCLE_1)
	s_and_b32 exec_lo, exec_lo, s5
	s_cbranch_execz .LBB186_2
.LBB186_30:                             ;   in Loop: Header=BB186_4 Depth=1
	v_lshl_add_u64 v[18:19], s[10:11], 2, v[22:23]
	v_lshl_add_u64 v[20:21], s[6:7], 2, v[20:21]
	s_delay_alu instid0(VALU_DEP_2) | instskip(NEXT) | instid1(VALU_DEP_2)
	v_add_nc_u64_e32 v[18:19], v[18:19], v[16:17]
	v_add_nc_u64_e32 v[16:17], v[20:21], v[16:17]
	s_and_saveexec_b32 s21, s3
	s_cbranch_execz .LBB186_32
; %bb.31:                               ;   in Loop: Header=BB186_4 Depth=1
	flat_load_b32 v21, v[18:19]
	v_mov_b64_e32 v[22:23], s[40:41]
	v_mov_b32_e32 v20, v14
	s_wait_loadcnt_dscnt 0x0
	s_delay_alu instid0(VALU_DEP_1) | instskip(NEXT) | instid1(VALU_DEP_1)
	v_pk_mul_f32 v[20:21], v[22:23], v[20:21]
	v_add_f32_e32 v14, v20, v21
	flat_store_b32 v[16:17], v14
.LBB186_32:                             ;   in Loop: Header=BB186_4 Depth=1
	s_wait_xcnt 0x0
	s_or_b32 exec_lo, exec_lo, s21
	s_delay_alu instid0(SALU_CYCLE_1)
	s_and_b32 exec_lo, exec_lo, s4
	s_cbranch_execz .LBB186_2
; %bb.33:                               ;   in Loop: Header=BB186_4 Depth=1
	flat_load_b32 v19, v[18:19] offset:64
	s_wait_xcnt 0x0
	v_mov_b32_e32 v18, v15
	v_mov_b64_e32 v[14:15], s[40:41]
	s_wait_loadcnt_dscnt 0x0
	s_delay_alu instid0(VALU_DEP_1) | instskip(NEXT) | instid1(VALU_DEP_1)
	v_pk_mul_f32 v[14:15], v[14:15], v[18:19]
	v_add_f32_e32 v14, v14, v15
	flat_store_b32 v[16:17], v14 offset:64
	s_branch .LBB186_2
.LBB186_34:
	s_endpgm
	.section	.rodata,"a",@progbits
	.p2align	6, 0x0
	.amdhsa_kernel _ZN12_GLOBAL__N_135rocblas_gemm_batched_general_kernelIfLi16ELi16ELi32ELi32ELi8ELi32ELi8ELi8ELi32ELc84ELc78EKPK16rocblas_bfloat16KPKfKPfEEvlllT_PT11_llSC_llSA_PT12_llPT13_lli
		.amdhsa_group_segment_fixed_size 2048
		.amdhsa_private_segment_fixed_size 0
		.amdhsa_kernarg_size 140
		.amdhsa_user_sgpr_count 2
		.amdhsa_user_sgpr_dispatch_ptr 0
		.amdhsa_user_sgpr_queue_ptr 0
		.amdhsa_user_sgpr_kernarg_segment_ptr 1
		.amdhsa_user_sgpr_dispatch_id 0
		.amdhsa_user_sgpr_kernarg_preload_length 0
		.amdhsa_user_sgpr_kernarg_preload_offset 0
		.amdhsa_user_sgpr_private_segment_size 0
		.amdhsa_wavefront_size32 1
		.amdhsa_uses_dynamic_stack 0
		.amdhsa_enable_private_segment 0
		.amdhsa_system_sgpr_workgroup_id_x 1
		.amdhsa_system_sgpr_workgroup_id_y 1
		.amdhsa_system_sgpr_workgroup_id_z 1
		.amdhsa_system_sgpr_workgroup_info 0
		.amdhsa_system_vgpr_workitem_id 1
		.amdhsa_next_free_vgpr 56
		.amdhsa_next_free_sgpr 44
		.amdhsa_named_barrier_count 0
		.amdhsa_reserve_vcc 1
		.amdhsa_float_round_mode_32 0
		.amdhsa_float_round_mode_16_64 0
		.amdhsa_float_denorm_mode_32 3
		.amdhsa_float_denorm_mode_16_64 3
		.amdhsa_fp16_overflow 0
		.amdhsa_memory_ordered 1
		.amdhsa_forward_progress 1
		.amdhsa_inst_pref_size 15
		.amdhsa_round_robin_scheduling 0
		.amdhsa_exception_fp_ieee_invalid_op 0
		.amdhsa_exception_fp_denorm_src 0
		.amdhsa_exception_fp_ieee_div_zero 0
		.amdhsa_exception_fp_ieee_overflow 0
		.amdhsa_exception_fp_ieee_underflow 0
		.amdhsa_exception_fp_ieee_inexact 0
		.amdhsa_exception_int_div_zero 0
	.end_amdhsa_kernel
	.section	.text._ZN12_GLOBAL__N_135rocblas_gemm_batched_general_kernelIfLi16ELi16ELi32ELi32ELi8ELi32ELi8ELi8ELi32ELc84ELc78EKPK16rocblas_bfloat16KPKfKPfEEvlllT_PT11_llSC_llSA_PT12_llPT13_lli,"axG",@progbits,_ZN12_GLOBAL__N_135rocblas_gemm_batched_general_kernelIfLi16ELi16ELi32ELi32ELi8ELi32ELi8ELi8ELi32ELc84ELc78EKPK16rocblas_bfloat16KPKfKPfEEvlllT_PT11_llSC_llSA_PT12_llPT13_lli,comdat
.Lfunc_end186:
	.size	_ZN12_GLOBAL__N_135rocblas_gemm_batched_general_kernelIfLi16ELi16ELi32ELi32ELi8ELi32ELi8ELi8ELi32ELc84ELc78EKPK16rocblas_bfloat16KPKfKPfEEvlllT_PT11_llSC_llSA_PT12_llPT13_lli, .Lfunc_end186-_ZN12_GLOBAL__N_135rocblas_gemm_batched_general_kernelIfLi16ELi16ELi32ELi32ELi8ELi32ELi8ELi8ELi32ELc84ELc78EKPK16rocblas_bfloat16KPKfKPfEEvlllT_PT11_llSC_llSA_PT12_llPT13_lli
                                        ; -- End function
	.set _ZN12_GLOBAL__N_135rocblas_gemm_batched_general_kernelIfLi16ELi16ELi32ELi32ELi8ELi32ELi8ELi8ELi32ELc84ELc78EKPK16rocblas_bfloat16KPKfKPfEEvlllT_PT11_llSC_llSA_PT12_llPT13_lli.num_vgpr, 56
	.set _ZN12_GLOBAL__N_135rocblas_gemm_batched_general_kernelIfLi16ELi16ELi32ELi32ELi8ELi32ELi8ELi8ELi32ELc84ELc78EKPK16rocblas_bfloat16KPKfKPfEEvlllT_PT11_llSC_llSA_PT12_llPT13_lli.num_agpr, 0
	.set _ZN12_GLOBAL__N_135rocblas_gemm_batched_general_kernelIfLi16ELi16ELi32ELi32ELi8ELi32ELi8ELi8ELi32ELc84ELc78EKPK16rocblas_bfloat16KPKfKPfEEvlllT_PT11_llSC_llSA_PT12_llPT13_lli.numbered_sgpr, 44
	.set _ZN12_GLOBAL__N_135rocblas_gemm_batched_general_kernelIfLi16ELi16ELi32ELi32ELi8ELi32ELi8ELi8ELi32ELc84ELc78EKPK16rocblas_bfloat16KPKfKPfEEvlllT_PT11_llSC_llSA_PT12_llPT13_lli.num_named_barrier, 0
	.set _ZN12_GLOBAL__N_135rocblas_gemm_batched_general_kernelIfLi16ELi16ELi32ELi32ELi8ELi32ELi8ELi8ELi32ELc84ELc78EKPK16rocblas_bfloat16KPKfKPfEEvlllT_PT11_llSC_llSA_PT12_llPT13_lli.private_seg_size, 0
	.set _ZN12_GLOBAL__N_135rocblas_gemm_batched_general_kernelIfLi16ELi16ELi32ELi32ELi8ELi32ELi8ELi8ELi32ELc84ELc78EKPK16rocblas_bfloat16KPKfKPfEEvlllT_PT11_llSC_llSA_PT12_llPT13_lli.uses_vcc, 1
	.set _ZN12_GLOBAL__N_135rocblas_gemm_batched_general_kernelIfLi16ELi16ELi32ELi32ELi8ELi32ELi8ELi8ELi32ELc84ELc78EKPK16rocblas_bfloat16KPKfKPfEEvlllT_PT11_llSC_llSA_PT12_llPT13_lli.uses_flat_scratch, 0
	.set _ZN12_GLOBAL__N_135rocblas_gemm_batched_general_kernelIfLi16ELi16ELi32ELi32ELi8ELi32ELi8ELi8ELi32ELc84ELc78EKPK16rocblas_bfloat16KPKfKPfEEvlllT_PT11_llSC_llSA_PT12_llPT13_lli.has_dyn_sized_stack, 0
	.set _ZN12_GLOBAL__N_135rocblas_gemm_batched_general_kernelIfLi16ELi16ELi32ELi32ELi8ELi32ELi8ELi8ELi32ELc84ELc78EKPK16rocblas_bfloat16KPKfKPfEEvlllT_PT11_llSC_llSA_PT12_llPT13_lli.has_recursion, 0
	.set _ZN12_GLOBAL__N_135rocblas_gemm_batched_general_kernelIfLi16ELi16ELi32ELi32ELi8ELi32ELi8ELi8ELi32ELc84ELc78EKPK16rocblas_bfloat16KPKfKPfEEvlllT_PT11_llSC_llSA_PT12_llPT13_lli.has_indirect_call, 0
	.section	.AMDGPU.csdata,"",@progbits
; Kernel info:
; codeLenInByte = 1820
; TotalNumSgprs: 46
; NumVgprs: 56
; ScratchSize: 0
; MemoryBound: 0
; FloatMode: 240
; IeeeMode: 1
; LDSByteSize: 2048 bytes/workgroup (compile time only)
; SGPRBlocks: 0
; VGPRBlocks: 3
; NumSGPRsForWavesPerEU: 46
; NumVGPRsForWavesPerEU: 56
; NamedBarCnt: 0
; Occupancy: 16
; WaveLimiterHint : 1
; COMPUTE_PGM_RSRC2:SCRATCH_EN: 0
; COMPUTE_PGM_RSRC2:USER_SGPR: 2
; COMPUTE_PGM_RSRC2:TRAP_HANDLER: 0
; COMPUTE_PGM_RSRC2:TGID_X_EN: 1
; COMPUTE_PGM_RSRC2:TGID_Y_EN: 1
; COMPUTE_PGM_RSRC2:TGID_Z_EN: 1
; COMPUTE_PGM_RSRC2:TIDIG_COMP_CNT: 1
	.section	.text._ZN12_GLOBAL__N_135rocblas_gemm_batched_general_kernelIfLi16ELi16ELi32ELi32ELi8ELi32ELi8ELi8ELi32ELc78ELc84EKPK16rocblas_bfloat16KPKfKPfEEvlllT_PT11_llSC_llSA_PT12_llPT13_lli,"axG",@progbits,_ZN12_GLOBAL__N_135rocblas_gemm_batched_general_kernelIfLi16ELi16ELi32ELi32ELi8ELi32ELi8ELi8ELi32ELc78ELc84EKPK16rocblas_bfloat16KPKfKPfEEvlllT_PT11_llSC_llSA_PT12_llPT13_lli,comdat
	.globl	_ZN12_GLOBAL__N_135rocblas_gemm_batched_general_kernelIfLi16ELi16ELi32ELi32ELi8ELi32ELi8ELi8ELi32ELc78ELc84EKPK16rocblas_bfloat16KPKfKPfEEvlllT_PT11_llSC_llSA_PT12_llPT13_lli ; -- Begin function _ZN12_GLOBAL__N_135rocblas_gemm_batched_general_kernelIfLi16ELi16ELi32ELi32ELi8ELi32ELi8ELi8ELi32ELc78ELc84EKPK16rocblas_bfloat16KPKfKPfEEvlllT_PT11_llSC_llSA_PT12_llPT13_lli
	.p2align	8
	.type	_ZN12_GLOBAL__N_135rocblas_gemm_batched_general_kernelIfLi16ELi16ELi32ELi32ELi8ELi32ELi8ELi8ELi32ELc78ELc84EKPK16rocblas_bfloat16KPKfKPfEEvlllT_PT11_llSC_llSA_PT12_llPT13_lli,@function
_ZN12_GLOBAL__N_135rocblas_gemm_batched_general_kernelIfLi16ELi16ELi32ELi32ELi8ELi32ELi8ELi8ELi32ELc78ELc84EKPK16rocblas_bfloat16KPKfKPfEEvlllT_PT11_llSC_llSA_PT12_llPT13_lli: ; @_ZN12_GLOBAL__N_135rocblas_gemm_batched_general_kernelIfLi16ELi16ELi32ELi32ELi8ELi32ELi8ELi8ELi32ELc78ELc84EKPK16rocblas_bfloat16KPKfKPfEEvlllT_PT11_llSC_llSA_PT12_llPT13_lli
; %bb.0:
	s_load_b32 s33, s[0:1], 0x88
	s_bfe_u32 s2, ttmp6, 0x40014
	s_lshr_b32 s3, ttmp7, 16
	s_add_co_i32 s2, s2, 1
	s_bfe_u32 s5, ttmp6, 0x40008
	s_mul_i32 s4, s3, s2
	s_getreg_b32 s2, hwreg(HW_REG_IB_STS2, 6, 4)
	s_add_co_i32 s5, s5, s4
	s_cmp_eq_u32 s2, 0
	s_mov_b32 s35, 0
	s_cselect_b32 s34, s3, s5
	s_wait_kmcnt 0x0
	s_cmp_ge_i32 s34, s33
	s_cbranch_scc1 .LBB187_34
; %bb.1:
	s_clause 0x6
	s_load_b128 s[4:7], s[0:1], 0x0
	s_load_b96 s[36:38], s[0:1], 0x10
	s_load_b256 s[8:15], s[0:1], 0x20
	s_load_b128 s[28:31], s[0:1], 0x40
	s_load_b32 s41, s[0:1], 0x50
	s_load_b128 s[24:27], s[0:1], 0x78
	s_load_b256 s[16:23], s[0:1], 0x58
	v_bfe_u32 v6, v0, 10, 10
	v_and_b32_e32 v8, 0x3ff, v0
	s_wait_xcnt 0x0
	s_bfe_u32 s0, ttmp6, 0x4000c
	s_bfe_u32 s3, ttmp6, 0x40010
	s_add_co_i32 s0, s0, 1
	s_and_b32 s39, ttmp7, 0xffff
	s_add_co_i32 s3, s3, 1
	v_lshl_add_u32 v1, v6, 4, v8
	v_mov_b32_e32 v3, 0
	s_and_b32 s1, ttmp6, 15
	s_mul_i32 s0, ttmp9, s0
	s_mul_i32 s3, s39, s3
	s_bfe_u32 s40, ttmp6, 0x40004
	s_add_co_i32 s1, s1, s0
	s_add_co_i32 s40, s40, s3
	s_cmp_eq_u32 s2, 0
	v_dual_mov_b32 v9, v3 :: v_dual_bitop2_b32 v22, 31, v1 bitop3:0x40
	v_dual_lshrrev_b32 v2, 5, v1 :: v_dual_bitop2_b32 v0, 7, v0 bitop3:0x40
	v_dual_mov_b32 v1, v3 :: v_dual_lshrrev_b32 v10, 3, v1
	v_mov_b32_e32 v11, v3
	s_cselect_b32 s40, s39, s40
	s_cselect_b32 s42, ttmp9, s1
	s_lshl_b32 s44, s40, 5
	s_mov_b32 s45, s35
	s_wait_kmcnt 0x0
	v_mul_u64_e32 v[12:13], s[28:29], v[0:1]
	v_add_nc_u64_e32 v[14:15], s[44:45], v[10:11]
	v_dual_lshlrev_b32 v11, 2, v0 :: v_dual_lshlrev_b32 v18, 2, v22
	v_mul_u64_e32 v[16:17], s[10:11], v[2:3]
	v_dual_mov_b32 v7, v3 :: v_dual_lshlrev_b32 v30, 2, v8
	s_ashr_i32 s43, s42, 31
	s_delay_alu instid0(VALU_DEP_3) | instskip(SKIP_1) | instid1(VALU_DEP_2)
	v_lshl_or_b32 v28, v2, 7, v18
	s_lshl_b64 s[2:3], s[42:43], 5
	v_add_nc_u64_e32 v[18:19], s[44:45], v[6:7]
	v_dual_mov_b32 v5, s3 :: v_dual_bitop2_b32 v4, s2, v22 bitop3:0x54
	v_lshl_add_u32 v31, v6, 5, 0x400
	v_cmp_gt_i64_e64 s1, s[6:7], v[14:15]
	s_cmp_eq_f32 s41, 0
	v_lshl_or_b32 v11, v10, 5, v11
	v_cmp_gt_i64_e64 s0, s[4:5], v[4:5]
	v_add_nc_u64_e32 v[4:5], s[2:3], v[8:9]
	v_mul_u64_e32 v[6:7], s[24:25], v[18:19]
	v_mul_u64_e32 v[8:9], s[18:19], v[18:19]
	v_add_nc_u64_e32 v[20:21], 16, v[18:19]
	s_cselect_b32 s39, -1, 0
	v_cmp_gt_i64_e64 s2, s[6:7], v[18:19]
	s_lshl_b32 s44, s40, 6
	v_add_nc_u64_e32 v[14:15], 16, v[4:5]
	v_cmp_gt_i64_e64 s3, s[4:5], v[4:5]
	s_lshl_b64 s[30:31], s[30:31], 1
	s_lshl_b64 s[12:13], s[12:13], 1
	s_add_nc_u64 s[30:31], s[30:31], s[44:45]
	v_add_nc_u32_e32 v29, 0x400, v11
	v_dual_mov_b32 v11, v3 :: v_dual_lshlrev_b32 v10, 1, v10
	v_cmp_gt_i64_e64 s4, s[4:5], v[14:15]
	v_cmp_gt_i64_e64 s5, s[6:7], v[20:21]
	s_lshl_b64 s[6:7], s[24:25], 4
	s_lshl_b64 s[24:25], s[42:43], 6
	v_lshl_add_u64 v[12:13], v[12:13], 1, s[30:31]
	s_add_nc_u64 s[12:13], s[12:13], s[24:25]
	s_mov_b32 s40, s38
	v_lshl_add_u64 v[14:15], v[16:17], 1, s[12:13]
	v_dual_mov_b32 v17, v3 :: v_dual_lshlrev_b32 v16, 1, v22
	s_lshl_b64 s[12:13], s[18:19], 4
	v_add_nc_u64_e32 v[10:11], v[12:13], v[10:11]
	s_lshl_b64 s[18:19], s[28:29], 4
	v_cmp_gt_i64_e64 s28, s[36:37], 0
	v_add_nc_u64_e32 v[12:13], v[14:15], v[16:17]
	s_lshl_b64 s[10:11], s[10:11], 4
	s_lshl_b64 s[24:25], s[26:27], 2
	;; [unrolled: 1-line block ×3, first 2 shown]
	s_branch .LBB187_4
.LBB187_2:                              ;   in Loop: Header=BB187_4 Depth=1
	s_wait_xcnt 0x0
	s_or_b32 exec_lo, exec_lo, s26
.LBB187_3:                              ;   in Loop: Header=BB187_4 Depth=1
	s_add_co_i32 s34, s34, 0x10000
	s_delay_alu instid0(SALU_CYCLE_1)
	s_cmp_lt_i32 s34, s33
	s_cbranch_scc0 .LBB187_34
.LBB187_4:                              ; =>This Loop Header: Depth=1
                                        ;     Child Loop BB187_7 Depth 2
	v_dual_mov_b32 v14, s34 :: v_dual_mov_b32 v19, 0
	v_dual_mov_b32 v18, 0 :: v_dual_mov_b32 v15, 0
	s_and_not1_b32 vcc_lo, exec_lo, s28
	s_clause 0x1
	global_load_b64 v[16:17], v14, s[16:17] scale_offset
	global_load_b64 v[20:21], v14, s[22:23] scale_offset
	s_wait_xcnt 0x0
	v_mov_b32_e32 v14, 0
	s_cbranch_vccnz .LBB187_11
; %bb.5:                                ;   in Loop: Header=BB187_4 Depth=1
	s_lshl_b64 s[26:27], s[34:35], 3
	v_mov_b32_e32 v18, 0
	s_add_nc_u64 s[30:31], s[14:15], s[26:27]
	s_add_nc_u64 s[26:27], s[8:9], s[26:27]
	s_clause 0x1
	global_load_b64 v[14:15], v3, s[30:31]
	global_load_b64 v[24:25], v3, s[26:27]
	s_wait_xcnt 0x0
	s_mov_b64 s[26:27], 0
	v_mov_b32_e32 v19, v18
	s_wait_loadcnt 0x1
	v_add_nc_u64_e32 v[22:23], v[14:15], v[10:11]
	s_wait_loadcnt 0x0
	v_add_nc_u64_e32 v[24:25], v[24:25], v[12:13]
	v_dual_mov_b32 v14, v18 :: v_dual_mov_b32 v15, v18
	s_branch .LBB187_7
.LBB187_6:                              ;   in Loop: Header=BB187_7 Depth=2
	s_wait_xcnt 0x0
	s_or_b32 exec_lo, exec_lo, s29
	ds_store_b32 v29, v27
	s_wait_dscnt 0x0
	s_barrier_signal -1
	s_barrier_wait -1
	ds_load_b128 v[32:35], v31
	ds_load_2addr_b32 v[26:27], v30 offset1:16
	ds_load_b128 v[36:39], v31 offset:512
	ds_load_2addr_b32 v[48:49], v30 offset0:32 offset1:48
	ds_load_2addr_b32 v[50:51], v30 offset0:64 offset1:80
	;; [unrolled: 1-line block ×3, first 2 shown]
	ds_load_b128 v[40:43], v31 offset:16
	ds_load_2addr_b32 v[54:55], v30 offset0:128 offset1:144
	ds_load_b128 v[44:47], v31 offset:528
	s_add_nc_u64 s[26:27], s[26:27], 8
	v_add_nc_u64_e32 v[22:23], s[18:19], v[22:23]
	v_cmp_lt_i64_e64 s29, s[26:27], s[36:37]
	v_add_nc_u64_e32 v[24:25], s[10:11], v[24:25]
	s_and_b32 vcc_lo, exec_lo, s29
	s_wait_dscnt 0x7
	v_pk_fma_f32 v[18:19], v[26:27], v[32:33], v[18:19] op_sel_hi:[1,0,1]
	s_wait_dscnt 0x6
	v_pk_fma_f32 v[14:15], v[26:27], v[36:37], v[14:15] op_sel_hi:[1,0,1]
	ds_load_2addr_b32 v[26:27], v30 offset0:160 offset1:176
	s_wait_dscnt 0x6
	v_pk_fma_f32 v[18:19], v[48:49], v[32:33], v[18:19] op_sel:[0,1,0]
	v_pk_fma_f32 v[14:15], v[48:49], v[36:37], v[14:15] op_sel:[0,1,0]
	ds_load_2addr_b32 v[32:33], v30 offset0:192 offset1:208
	v_dual_mov_b32 v36, v35 :: v_dual_mov_b32 v48, v39
	s_wait_dscnt 0x6
	v_pk_fma_f32 v[18:19], v[50:51], v[34:35], v[18:19] op_sel_hi:[1,0,1]
	v_pk_fma_f32 v[14:15], v[50:51], v[38:39], v[14:15] op_sel_hi:[1,0,1]
	ds_load_2addr_b32 v[34:35], v30 offset0:224 offset1:240
	s_wait_dscnt 0x0
	s_barrier_signal -1
	v_pk_fma_f32 v[18:19], v[52:53], v[36:37], v[18:19] op_sel_hi:[1,0,1]
	v_pk_fma_f32 v[14:15], v[52:53], v[48:49], v[14:15] op_sel_hi:[1,0,1]
	s_barrier_wait -1
	v_mov_b32_e32 v36, v47
	s_delay_alu instid0(VALU_DEP_3) | instskip(NEXT) | instid1(VALU_DEP_3)
	v_pk_fma_f32 v[18:19], v[54:55], v[40:41], v[18:19] op_sel_hi:[1,0,1]
	v_pk_fma_f32 v[14:15], v[54:55], v[44:45], v[14:15] op_sel_hi:[1,0,1]
	s_delay_alu instid0(VALU_DEP_2) | instskip(NEXT) | instid1(VALU_DEP_2)
	v_pk_fma_f32 v[18:19], v[26:27], v[40:41], v[18:19] op_sel:[0,1,0]
	v_pk_fma_f32 v[14:15], v[26:27], v[44:45], v[14:15] op_sel:[0,1,0]
	v_mov_b32_e32 v26, v43
	s_delay_alu instid0(VALU_DEP_3) | instskip(NEXT) | instid1(VALU_DEP_3)
	v_pk_fma_f32 v[18:19], v[32:33], v[42:43], v[18:19] op_sel_hi:[1,0,1]
	v_pk_fma_f32 v[14:15], v[32:33], v[46:47], v[14:15] op_sel_hi:[1,0,1]
	s_delay_alu instid0(VALU_DEP_2) | instskip(NEXT) | instid1(VALU_DEP_2)
	v_pk_fma_f32 v[18:19], v[34:35], v[26:27], v[18:19] op_sel_hi:[1,0,1]
	v_pk_fma_f32 v[14:15], v[34:35], v[36:37], v[14:15] op_sel_hi:[1,0,1]
	s_cbranch_vccz .LBB187_11
.LBB187_7:                              ;   Parent Loop BB187_4 Depth=1
                                        ; =>  This Inner Loop Header: Depth=2
	v_add_nc_u64_e32 v[26:27], s[26:27], v[2:3]
	s_delay_alu instid0(VALU_DEP_1) | instskip(SKIP_2) | instid1(SALU_CYCLE_1)
	v_cmp_gt_i64_e32 vcc_lo, s[36:37], v[26:27]
	v_mov_b32_e32 v26, 0
	s_and_b32 s30, s0, vcc_lo
	s_and_saveexec_b32 s29, s30
	s_cbranch_execz .LBB187_9
; %bb.8:                                ;   in Loop: Header=BB187_7 Depth=2
	flat_load_u16 v26, v[24:25]
	s_wait_loadcnt_dscnt 0x0
	v_lshlrev_b32_e32 v26, 16, v26
.LBB187_9:                              ;   in Loop: Header=BB187_7 Depth=2
	s_wait_xcnt 0x0
	s_or_b32 exec_lo, exec_lo, s29
	v_add_nc_u64_e32 v[32:33], s[26:27], v[0:1]
	v_mov_b32_e32 v27, 0
	ds_store_b32 v28, v26
	v_cmp_gt_i64_e32 vcc_lo, s[36:37], v[32:33]
	s_and_b32 s30, vcc_lo, s1
	s_delay_alu instid0(SALU_CYCLE_1)
	s_and_saveexec_b32 s29, s30
	s_cbranch_execz .LBB187_6
; %bb.10:                               ;   in Loop: Header=BB187_7 Depth=2
	flat_load_u16 v26, v[22:23]
	s_wait_loadcnt_dscnt 0x0
	v_lshlrev_b32_e32 v27, 16, v26
	s_branch .LBB187_6
.LBB187_11:                             ;   in Loop: Header=BB187_4 Depth=1
	s_wait_loadcnt 0x0
	v_add_nc_u64_e32 v[20:21], s[24:25], v[20:21]
	s_and_not1_b32 vcc_lo, exec_lo, s39
	s_cbranch_vccnz .LBB187_16
; %bb.12:                               ;   in Loop: Header=BB187_4 Depth=1
	s_and_saveexec_b32 s26, s2
	s_cbranch_execz .LBB187_23
; %bb.13:                               ;   in Loop: Header=BB187_4 Depth=1
	s_delay_alu instid0(VALU_DEP_1) | instskip(NEXT) | instid1(VALU_DEP_1)
	v_lshl_add_u64 v[22:23], v[6:7], 2, v[20:21]
	v_lshl_add_u64 v[24:25], v[4:5], 2, v[22:23]
	s_and_saveexec_b32 s27, s3
	s_cbranch_execnz .LBB187_17
; %bb.14:                               ;   in Loop: Header=BB187_4 Depth=1
	s_or_b32 exec_lo, exec_lo, s27
	s_and_saveexec_b32 s27, s4
	s_cbranch_execnz .LBB187_18
.LBB187_15:                             ;   in Loop: Header=BB187_4 Depth=1
	s_or_b32 exec_lo, exec_lo, s27
	s_delay_alu instid0(SALU_CYCLE_1)
	s_and_b32 exec_lo, exec_lo, s5
	s_cbranch_execnz .LBB187_19
	s_branch .LBB187_23
.LBB187_16:                             ;   in Loop: Header=BB187_4 Depth=1
	s_branch .LBB187_24
.LBB187_17:                             ;   in Loop: Header=BB187_4 Depth=1
	v_mul_f32_e32 v26, s38, v18
	flat_store_b32 v[24:25], v26
	s_wait_xcnt 0x0
	s_or_b32 exec_lo, exec_lo, s27
	s_and_saveexec_b32 s27, s4
	s_cbranch_execz .LBB187_15
.LBB187_18:                             ;   in Loop: Header=BB187_4 Depth=1
	v_mul_f32_e32 v26, s38, v19
	flat_store_b32 v[24:25], v26 offset:64
	s_wait_xcnt 0x0
	s_or_b32 exec_lo, exec_lo, s27
	s_delay_alu instid0(SALU_CYCLE_1)
	s_and_b32 exec_lo, exec_lo, s5
	s_cbranch_execz .LBB187_23
.LBB187_19:                             ;   in Loop: Header=BB187_4 Depth=1
	v_lshl_add_u64 v[22:23], s[6:7], 2, v[22:23]
	s_delay_alu instid0(VALU_DEP_1)
	v_lshl_add_u64 v[22:23], v[4:5], 2, v[22:23]
	s_and_saveexec_b32 s27, s3
	s_cbranch_execz .LBB187_21
; %bb.20:                               ;   in Loop: Header=BB187_4 Depth=1
	v_mul_f32_e32 v24, s38, v14
	flat_store_b32 v[22:23], v24
.LBB187_21:                             ;   in Loop: Header=BB187_4 Depth=1
	s_wait_xcnt 0x0
	s_or_b32 exec_lo, exec_lo, s27
	s_delay_alu instid0(SALU_CYCLE_1)
	s_and_b32 exec_lo, exec_lo, s4
	s_cbranch_execz .LBB187_23
; %bb.22:                               ;   in Loop: Header=BB187_4 Depth=1
	v_mul_f32_e32 v24, s38, v15
	flat_store_b32 v[22:23], v24 offset:64
.LBB187_23:                             ;   in Loop: Header=BB187_4 Depth=1
	s_wait_xcnt 0x0
	s_or_b32 exec_lo, exec_lo, s26
	s_cbranch_execnz .LBB187_3
.LBB187_24:                             ;   in Loop: Header=BB187_4 Depth=1
	s_and_saveexec_b32 s26, s2
	s_cbranch_execz .LBB187_2
; %bb.25:                               ;   in Loop: Header=BB187_4 Depth=1
	v_add_nc_u64_e32 v[22:23], s[20:21], v[16:17]
	v_lshlrev_b64_e32 v[16:17], 2, v[4:5]
	v_lshl_add_u64 v[20:21], v[6:7], 2, v[20:21]
	s_delay_alu instid0(VALU_DEP_3) | instskip(NEXT) | instid1(VALU_DEP_2)
	v_lshl_add_u64 v[22:23], v[8:9], 2, v[22:23]
	v_add_nc_u64_e32 v[24:25], v[20:21], v[16:17]
	s_delay_alu instid0(VALU_DEP_2)
	v_add_nc_u64_e32 v[26:27], v[22:23], v[16:17]
	s_and_saveexec_b32 s27, s3
	s_cbranch_execnz .LBB187_28
; %bb.26:                               ;   in Loop: Header=BB187_4 Depth=1
	s_or_b32 exec_lo, exec_lo, s27
	s_and_saveexec_b32 s27, s4
	s_cbranch_execnz .LBB187_29
.LBB187_27:                             ;   in Loop: Header=BB187_4 Depth=1
	s_or_b32 exec_lo, exec_lo, s27
	s_delay_alu instid0(SALU_CYCLE_1)
	s_and_b32 exec_lo, exec_lo, s5
	s_cbranch_execz .LBB187_2
	s_branch .LBB187_30
.LBB187_28:                             ;   in Loop: Header=BB187_4 Depth=1
	flat_load_b32 v33, v[26:27]
	v_mov_b64_e32 v[34:35], s[40:41]
	v_mov_b32_e32 v32, v18
	s_wait_loadcnt_dscnt 0x0
	s_delay_alu instid0(VALU_DEP_1) | instskip(NEXT) | instid1(VALU_DEP_1)
	v_pk_mul_f32 v[32:33], v[34:35], v[32:33]
	v_add_f32_e32 v18, v32, v33
	flat_store_b32 v[24:25], v18
	s_wait_xcnt 0x0
	s_or_b32 exec_lo, exec_lo, s27
	s_and_saveexec_b32 s27, s4
	s_cbranch_execz .LBB187_27
.LBB187_29:                             ;   in Loop: Header=BB187_4 Depth=1
	flat_load_b32 v27, v[26:27] offset:64
	s_wait_xcnt 0x0
	v_mov_b32_e32 v26, v19
	v_mov_b64_e32 v[18:19], s[40:41]
	s_wait_loadcnt_dscnt 0x0
	s_delay_alu instid0(VALU_DEP_1) | instskip(NEXT) | instid1(VALU_DEP_1)
	v_pk_mul_f32 v[18:19], v[18:19], v[26:27]
	v_add_f32_e32 v18, v18, v19
	flat_store_b32 v[24:25], v18 offset:64
	s_wait_xcnt 0x0
	s_or_b32 exec_lo, exec_lo, s27
	s_delay_alu instid0(SALU_CYCLE_1)
	s_and_b32 exec_lo, exec_lo, s5
	s_cbranch_execz .LBB187_2
.LBB187_30:                             ;   in Loop: Header=BB187_4 Depth=1
	v_lshl_add_u64 v[18:19], s[12:13], 2, v[22:23]
	v_lshl_add_u64 v[20:21], s[6:7], 2, v[20:21]
	s_delay_alu instid0(VALU_DEP_2) | instskip(NEXT) | instid1(VALU_DEP_2)
	v_add_nc_u64_e32 v[18:19], v[18:19], v[16:17]
	v_add_nc_u64_e32 v[16:17], v[20:21], v[16:17]
	s_and_saveexec_b32 s27, s3
	s_cbranch_execz .LBB187_32
; %bb.31:                               ;   in Loop: Header=BB187_4 Depth=1
	flat_load_b32 v21, v[18:19]
	v_mov_b64_e32 v[22:23], s[40:41]
	v_mov_b32_e32 v20, v14
	s_wait_loadcnt_dscnt 0x0
	s_delay_alu instid0(VALU_DEP_1) | instskip(NEXT) | instid1(VALU_DEP_1)
	v_pk_mul_f32 v[20:21], v[22:23], v[20:21]
	v_add_f32_e32 v14, v20, v21
	flat_store_b32 v[16:17], v14
.LBB187_32:                             ;   in Loop: Header=BB187_4 Depth=1
	s_wait_xcnt 0x0
	s_or_b32 exec_lo, exec_lo, s27
	s_delay_alu instid0(SALU_CYCLE_1)
	s_and_b32 exec_lo, exec_lo, s4
	s_cbranch_execz .LBB187_2
; %bb.33:                               ;   in Loop: Header=BB187_4 Depth=1
	flat_load_b32 v19, v[18:19] offset:64
	s_wait_xcnt 0x0
	v_mov_b32_e32 v18, v15
	v_mov_b64_e32 v[14:15], s[40:41]
	s_wait_loadcnt_dscnt 0x0
	s_delay_alu instid0(VALU_DEP_1) | instskip(NEXT) | instid1(VALU_DEP_1)
	v_pk_mul_f32 v[14:15], v[14:15], v[18:19]
	v_add_f32_e32 v14, v14, v15
	flat_store_b32 v[16:17], v14 offset:64
	s_branch .LBB187_2
.LBB187_34:
	s_endpgm
	.section	.rodata,"a",@progbits
	.p2align	6, 0x0
	.amdhsa_kernel _ZN12_GLOBAL__N_135rocblas_gemm_batched_general_kernelIfLi16ELi16ELi32ELi32ELi8ELi32ELi8ELi8ELi32ELc78ELc84EKPK16rocblas_bfloat16KPKfKPfEEvlllT_PT11_llSC_llSA_PT12_llPT13_lli
		.amdhsa_group_segment_fixed_size 2048
		.amdhsa_private_segment_fixed_size 0
		.amdhsa_kernarg_size 140
		.amdhsa_user_sgpr_count 2
		.amdhsa_user_sgpr_dispatch_ptr 0
		.amdhsa_user_sgpr_queue_ptr 0
		.amdhsa_user_sgpr_kernarg_segment_ptr 1
		.amdhsa_user_sgpr_dispatch_id 0
		.amdhsa_user_sgpr_kernarg_preload_length 0
		.amdhsa_user_sgpr_kernarg_preload_offset 0
		.amdhsa_user_sgpr_private_segment_size 0
		.amdhsa_wavefront_size32 1
		.amdhsa_uses_dynamic_stack 0
		.amdhsa_enable_private_segment 0
		.amdhsa_system_sgpr_workgroup_id_x 1
		.amdhsa_system_sgpr_workgroup_id_y 1
		.amdhsa_system_sgpr_workgroup_id_z 1
		.amdhsa_system_sgpr_workgroup_info 0
		.amdhsa_system_vgpr_workitem_id 1
		.amdhsa_next_free_vgpr 56
		.amdhsa_next_free_sgpr 46
		.amdhsa_named_barrier_count 0
		.amdhsa_reserve_vcc 1
		.amdhsa_float_round_mode_32 0
		.amdhsa_float_round_mode_16_64 0
		.amdhsa_float_denorm_mode_32 3
		.amdhsa_float_denorm_mode_16_64 3
		.amdhsa_fp16_overflow 0
		.amdhsa_memory_ordered 1
		.amdhsa_forward_progress 1
		.amdhsa_inst_pref_size 15
		.amdhsa_round_robin_scheduling 0
		.amdhsa_exception_fp_ieee_invalid_op 0
		.amdhsa_exception_fp_denorm_src 0
		.amdhsa_exception_fp_ieee_div_zero 0
		.amdhsa_exception_fp_ieee_overflow 0
		.amdhsa_exception_fp_ieee_underflow 0
		.amdhsa_exception_fp_ieee_inexact 0
		.amdhsa_exception_int_div_zero 0
	.end_amdhsa_kernel
	.section	.text._ZN12_GLOBAL__N_135rocblas_gemm_batched_general_kernelIfLi16ELi16ELi32ELi32ELi8ELi32ELi8ELi8ELi32ELc78ELc84EKPK16rocblas_bfloat16KPKfKPfEEvlllT_PT11_llSC_llSA_PT12_llPT13_lli,"axG",@progbits,_ZN12_GLOBAL__N_135rocblas_gemm_batched_general_kernelIfLi16ELi16ELi32ELi32ELi8ELi32ELi8ELi8ELi32ELc78ELc84EKPK16rocblas_bfloat16KPKfKPfEEvlllT_PT11_llSC_llSA_PT12_llPT13_lli,comdat
.Lfunc_end187:
	.size	_ZN12_GLOBAL__N_135rocblas_gemm_batched_general_kernelIfLi16ELi16ELi32ELi32ELi8ELi32ELi8ELi8ELi32ELc78ELc84EKPK16rocblas_bfloat16KPKfKPfEEvlllT_PT11_llSC_llSA_PT12_llPT13_lli, .Lfunc_end187-_ZN12_GLOBAL__N_135rocblas_gemm_batched_general_kernelIfLi16ELi16ELi32ELi32ELi8ELi32ELi8ELi8ELi32ELc78ELc84EKPK16rocblas_bfloat16KPKfKPfEEvlllT_PT11_llSC_llSA_PT12_llPT13_lli
                                        ; -- End function
	.set _ZN12_GLOBAL__N_135rocblas_gemm_batched_general_kernelIfLi16ELi16ELi32ELi32ELi8ELi32ELi8ELi8ELi32ELc78ELc84EKPK16rocblas_bfloat16KPKfKPfEEvlllT_PT11_llSC_llSA_PT12_llPT13_lli.num_vgpr, 56
	.set _ZN12_GLOBAL__N_135rocblas_gemm_batched_general_kernelIfLi16ELi16ELi32ELi32ELi8ELi32ELi8ELi8ELi32ELc78ELc84EKPK16rocblas_bfloat16KPKfKPfEEvlllT_PT11_llSC_llSA_PT12_llPT13_lli.num_agpr, 0
	.set _ZN12_GLOBAL__N_135rocblas_gemm_batched_general_kernelIfLi16ELi16ELi32ELi32ELi8ELi32ELi8ELi8ELi32ELc78ELc84EKPK16rocblas_bfloat16KPKfKPfEEvlllT_PT11_llSC_llSA_PT12_llPT13_lli.numbered_sgpr, 46
	.set _ZN12_GLOBAL__N_135rocblas_gemm_batched_general_kernelIfLi16ELi16ELi32ELi32ELi8ELi32ELi8ELi8ELi32ELc78ELc84EKPK16rocblas_bfloat16KPKfKPfEEvlllT_PT11_llSC_llSA_PT12_llPT13_lli.num_named_barrier, 0
	.set _ZN12_GLOBAL__N_135rocblas_gemm_batched_general_kernelIfLi16ELi16ELi32ELi32ELi8ELi32ELi8ELi8ELi32ELc78ELc84EKPK16rocblas_bfloat16KPKfKPfEEvlllT_PT11_llSC_llSA_PT12_llPT13_lli.private_seg_size, 0
	.set _ZN12_GLOBAL__N_135rocblas_gemm_batched_general_kernelIfLi16ELi16ELi32ELi32ELi8ELi32ELi8ELi8ELi32ELc78ELc84EKPK16rocblas_bfloat16KPKfKPfEEvlllT_PT11_llSC_llSA_PT12_llPT13_lli.uses_vcc, 1
	.set _ZN12_GLOBAL__N_135rocblas_gemm_batched_general_kernelIfLi16ELi16ELi32ELi32ELi8ELi32ELi8ELi8ELi32ELc78ELc84EKPK16rocblas_bfloat16KPKfKPfEEvlllT_PT11_llSC_llSA_PT12_llPT13_lli.uses_flat_scratch, 0
	.set _ZN12_GLOBAL__N_135rocblas_gemm_batched_general_kernelIfLi16ELi16ELi32ELi32ELi8ELi32ELi8ELi8ELi32ELc78ELc84EKPK16rocblas_bfloat16KPKfKPfEEvlllT_PT11_llSC_llSA_PT12_llPT13_lli.has_dyn_sized_stack, 0
	.set _ZN12_GLOBAL__N_135rocblas_gemm_batched_general_kernelIfLi16ELi16ELi32ELi32ELi8ELi32ELi8ELi8ELi32ELc78ELc84EKPK16rocblas_bfloat16KPKfKPfEEvlllT_PT11_llSC_llSA_PT12_llPT13_lli.has_recursion, 0
	.set _ZN12_GLOBAL__N_135rocblas_gemm_batched_general_kernelIfLi16ELi16ELi32ELi32ELi8ELi32ELi8ELi8ELi32ELc78ELc84EKPK16rocblas_bfloat16KPKfKPfEEvlllT_PT11_llSC_llSA_PT12_llPT13_lli.has_indirect_call, 0
	.section	.AMDGPU.csdata,"",@progbits
; Kernel info:
; codeLenInByte = 1840
; TotalNumSgprs: 48
; NumVgprs: 56
; ScratchSize: 0
; MemoryBound: 0
; FloatMode: 240
; IeeeMode: 1
; LDSByteSize: 2048 bytes/workgroup (compile time only)
; SGPRBlocks: 0
; VGPRBlocks: 3
; NumSGPRsForWavesPerEU: 48
; NumVGPRsForWavesPerEU: 56
; NamedBarCnt: 0
; Occupancy: 16
; WaveLimiterHint : 1
; COMPUTE_PGM_RSRC2:SCRATCH_EN: 0
; COMPUTE_PGM_RSRC2:USER_SGPR: 2
; COMPUTE_PGM_RSRC2:TRAP_HANDLER: 0
; COMPUTE_PGM_RSRC2:TGID_X_EN: 1
; COMPUTE_PGM_RSRC2:TGID_Y_EN: 1
; COMPUTE_PGM_RSRC2:TGID_Z_EN: 1
; COMPUTE_PGM_RSRC2:TIDIG_COMP_CNT: 1
	.section	.text._ZN12_GLOBAL__N_135rocblas_gemm_batched_general_kernelIfLi16ELi16ELi32ELi32ELi8ELi32ELi8ELi8ELi32ELc84ELc84EKPK16rocblas_bfloat16KPKfKPfEEvlllT_PT11_llSC_llSA_PT12_llPT13_lli,"axG",@progbits,_ZN12_GLOBAL__N_135rocblas_gemm_batched_general_kernelIfLi16ELi16ELi32ELi32ELi8ELi32ELi8ELi8ELi32ELc84ELc84EKPK16rocblas_bfloat16KPKfKPfEEvlllT_PT11_llSC_llSA_PT12_llPT13_lli,comdat
	.globl	_ZN12_GLOBAL__N_135rocblas_gemm_batched_general_kernelIfLi16ELi16ELi32ELi32ELi8ELi32ELi8ELi8ELi32ELc84ELc84EKPK16rocblas_bfloat16KPKfKPfEEvlllT_PT11_llSC_llSA_PT12_llPT13_lli ; -- Begin function _ZN12_GLOBAL__N_135rocblas_gemm_batched_general_kernelIfLi16ELi16ELi32ELi32ELi8ELi32ELi8ELi8ELi32ELc84ELc84EKPK16rocblas_bfloat16KPKfKPfEEvlllT_PT11_llSC_llSA_PT12_llPT13_lli
	.p2align	8
	.type	_ZN12_GLOBAL__N_135rocblas_gemm_batched_general_kernelIfLi16ELi16ELi32ELi32ELi8ELi32ELi8ELi8ELi32ELc84ELc84EKPK16rocblas_bfloat16KPKfKPfEEvlllT_PT11_llSC_llSA_PT12_llPT13_lli,@function
_ZN12_GLOBAL__N_135rocblas_gemm_batched_general_kernelIfLi16ELi16ELi32ELi32ELi8ELi32ELi8ELi8ELi32ELc84ELc84EKPK16rocblas_bfloat16KPKfKPfEEvlllT_PT11_llSC_llSA_PT12_llPT13_lli: ; @_ZN12_GLOBAL__N_135rocblas_gemm_batched_general_kernelIfLi16ELi16ELi32ELi32ELi8ELi32ELi8ELi8ELi32ELc84ELc84EKPK16rocblas_bfloat16KPKfKPfEEvlllT_PT11_llSC_llSA_PT12_llPT13_lli
; %bb.0:
	s_load_b32 s33, s[0:1], 0x88
	s_bfe_u32 s2, ttmp6, 0x40014
	s_lshr_b32 s3, ttmp7, 16
	s_add_co_i32 s2, s2, 1
	s_bfe_u32 s5, ttmp6, 0x40008
	s_mul_i32 s4, s3, s2
	s_getreg_b32 s2, hwreg(HW_REG_IB_STS2, 6, 4)
	s_add_co_i32 s5, s5, s4
	s_cmp_eq_u32 s2, 0
	s_mov_b32 s35, 0
	s_cselect_b32 s34, s3, s5
	s_wait_kmcnt 0x0
	s_cmp_ge_i32 s34, s33
	s_cbranch_scc1 .LBB188_34
; %bb.1:
	v_bfe_u32 v10, v0, 10, 10
	v_and_b32_e32 v12, 0x3ff, v0
	s_clause 0x6
	s_load_b128 s[4:7], s[0:1], 0x0
	s_load_b96 s[36:38], s[0:1], 0x10
	s_load_b256 s[8:15], s[0:1], 0x20
	s_load_b128 s[24:27], s[0:1], 0x40
	s_load_b32 s41, s[0:1], 0x50
	s_load_b128 s[28:31], s[0:1], 0x78
	s_load_b256 s[16:23], s[0:1], 0x58
	s_wait_xcnt 0x0
	s_bfe_u32 s0, ttmp6, 0x4000c
	s_bfe_u32 s3, ttmp6, 0x40010
	s_add_co_i32 s0, s0, 1
	s_and_b32 s39, ttmp7, 0xffff
	s_add_co_i32 s3, s3, 1
	s_and_b32 s1, ttmp6, 15
	s_mul_i32 s0, ttmp9, s0
	s_mul_i32 s3, s39, s3
	s_bfe_u32 s40, ttmp6, 0x40004
	v_lshl_add_u32 v6, v10, 4, v12
	s_add_co_i32 s1, s1, s0
	s_add_co_i32 s40, s40, s3
	s_cmp_eq_u32 s2, 0
	s_delay_alu instid0(VALU_DEP_1) | instskip(SKIP_3) | instid1(VALU_DEP_1)
	v_dual_mov_b32 v1, 0 :: v_dual_bitop2_b32 v8, 31, v6 bitop3:0x40
	s_cselect_b32 s0, ttmp9, s1
	s_cselect_b32 s40, s39, s40
	s_ashr_i32 s1, s0, 31
	v_dual_mov_b32 v11, v1 :: v_dual_bitop2_b32 v2, 7, v0 bitop3:0x40
	s_lshl_b64 s[2:3], s[0:1], 5
	v_dual_mov_b32 v3, v1 :: v_dual_lshrrev_b32 v14, 3, v6
	v_dual_mov_b32 v15, v1 :: v_dual_bitop2_b32 v4, s2, v8 bitop3:0x54
	s_delay_alu instid0(VALU_DEP_3) | instskip(SKIP_1) | instid1(VALU_DEP_3)
	v_dual_mov_b32 v5, s3 :: v_dual_lshlrev_b32 v9, 2, v2
	s_wait_kmcnt 0x0
	v_mul_u64_e32 v[16:17], s[24:25], v[2:3]
	s_lshl_b32 s0, s40, 5
	s_mov_b32 s1, s35
	v_mul_u64_e32 v[18:19], s[10:11], v[4:5]
	v_dual_lshrrev_b32 v0, 5, v6 :: v_dual_lshlrev_b32 v8, 2, v8
	v_add_nc_u64_e32 v[6:7], s[0:1], v[14:15]
	v_add_nc_u64_e32 v[20:21], s[0:1], v[10:11]
	v_lshl_or_b32 v9, v14, 5, v9
	v_dual_mov_b32 v13, v1 :: v_dual_lshlrev_b32 v30, 2, v12
	v_lshl_or_b32 v28, v0, 7, v8
	v_cmp_gt_i64_e64 s0, s[4:5], v[4:5]
	v_cmp_gt_i64_e64 s1, s[6:7], v[6:7]
	v_add_nc_u32_e32 v29, 0x400, v9
	v_mul_u64_e32 v[6:7], s[28:29], v[20:21]
	v_mul_u64_e32 v[8:9], s[18:19], v[20:21]
	v_add_nc_u64_e32 v[4:5], s[2:3], v[12:13]
	v_lshl_add_u32 v31, v10, 5, 0x400
	v_add_nc_u64_e32 v[12:13], 16, v[20:21]
	s_cmp_eq_f32 s41, 0
	s_mov_b32 s11, s35
	v_cmp_gt_i64_e64 s2, s[6:7], v[20:21]
	s_delay_alu instid0(VALU_DEP_4)
	v_add_nc_u64_e32 v[10:11], 16, v[4:5]
	s_cselect_b32 s39, -1, 0
	s_lshl_b32 s10, s40, 6
	s_lshl_b64 s[26:27], s[26:27], 1
	v_cmp_gt_i64_e64 s3, s[4:5], v[4:5]
	s_add_nc_u64 s[10:11], s[26:27], s[10:11]
	v_cmp_gt_i64_e64 s26, s[36:37], 0
	v_cmp_gt_i64_e64 s4, s[4:5], v[10:11]
	;; [unrolled: 1-line block ×3, first 2 shown]
	s_lshl_b64 s[6:7], s[12:13], 1
	v_lshl_add_u64 v[10:11], v[16:17], 1, s[10:11]
	v_dual_mov_b32 v13, v1 :: v_dual_lshlrev_b32 v12, 1, v14
	v_lshl_add_u64 v[14:15], v[18:19], 1, s[6:7]
	v_dual_mov_b32 v17, v1 :: v_dual_lshlrev_b32 v16, 1, v0
	s_lshl_b64 s[6:7], s[28:29], 4
	s_delay_alu instid0(VALU_DEP_3)
	v_add_nc_u64_e32 v[10:11], v[10:11], v[12:13]
	s_mov_b32 s40, s38
	s_lshl_b64 s[10:11], s[18:19], 4
	v_add_nc_u64_e32 v[12:13], v[14:15], v[16:17]
	s_lshl_b64 s[12:13], s[24:25], 4
	s_lshl_b64 s[18:19], s[30:31], 2
	;; [unrolled: 1-line block ×3, first 2 shown]
	s_branch .LBB188_4
.LBB188_2:                              ;   in Loop: Header=BB188_4 Depth=1
	s_wait_xcnt 0x0
	s_or_b32 exec_lo, exec_lo, s24
.LBB188_3:                              ;   in Loop: Header=BB188_4 Depth=1
	s_add_co_i32 s34, s34, 0x10000
	s_delay_alu instid0(SALU_CYCLE_1)
	s_cmp_lt_i32 s34, s33
	s_cbranch_scc0 .LBB188_34
.LBB188_4:                              ; =>This Loop Header: Depth=1
                                        ;     Child Loop BB188_7 Depth 2
	v_dual_mov_b32 v14, s34 :: v_dual_mov_b32 v19, 0
	v_dual_mov_b32 v18, 0 :: v_dual_mov_b32 v15, 0
	s_and_not1_b32 vcc_lo, exec_lo, s26
	s_clause 0x1
	global_load_b64 v[16:17], v14, s[16:17] scale_offset
	global_load_b64 v[20:21], v14, s[22:23] scale_offset
	s_wait_xcnt 0x0
	v_mov_b32_e32 v14, 0
	s_cbranch_vccnz .LBB188_11
; %bb.5:                                ;   in Loop: Header=BB188_4 Depth=1
	s_lshl_b64 s[24:25], s[34:35], 3
	v_mov_b32_e32 v18, 0
	s_add_nc_u64 s[28:29], s[14:15], s[24:25]
	s_add_nc_u64 s[24:25], s[8:9], s[24:25]
	s_clause 0x1
	global_load_b64 v[14:15], v1, s[28:29]
	global_load_b64 v[24:25], v1, s[24:25]
	s_wait_xcnt 0x0
	s_mov_b64 s[24:25], 0
	v_mov_b32_e32 v19, v18
	s_wait_loadcnt 0x1
	v_add_nc_u64_e32 v[22:23], v[14:15], v[10:11]
	s_wait_loadcnt 0x0
	v_add_nc_u64_e32 v[24:25], v[24:25], v[12:13]
	v_dual_mov_b32 v14, v18 :: v_dual_mov_b32 v15, v18
	s_branch .LBB188_7
.LBB188_6:                              ;   in Loop: Header=BB188_7 Depth=2
	s_wait_xcnt 0x0
	s_or_b32 exec_lo, exec_lo, s27
	ds_store_b32 v29, v27
	s_wait_dscnt 0x0
	s_barrier_signal -1
	s_barrier_wait -1
	ds_load_b128 v[32:35], v31
	ds_load_2addr_b32 v[26:27], v30 offset1:16
	ds_load_b128 v[36:39], v31 offset:512
	ds_load_2addr_b32 v[48:49], v30 offset0:32 offset1:48
	ds_load_2addr_b32 v[50:51], v30 offset0:64 offset1:80
	;; [unrolled: 1-line block ×3, first 2 shown]
	ds_load_b128 v[40:43], v31 offset:16
	ds_load_2addr_b32 v[54:55], v30 offset0:128 offset1:144
	ds_load_b128 v[44:47], v31 offset:528
	s_add_nc_u64 s[24:25], s[24:25], 8
	v_add_nc_u64_e32 v[22:23], s[12:13], v[22:23]
	v_cmp_lt_i64_e64 s27, s[24:25], s[36:37]
	v_add_nc_u64_e32 v[24:25], 16, v[24:25]
	s_and_b32 vcc_lo, exec_lo, s27
	s_wait_dscnt 0x7
	v_pk_fma_f32 v[18:19], v[26:27], v[32:33], v[18:19] op_sel_hi:[1,0,1]
	s_wait_dscnt 0x6
	v_pk_fma_f32 v[14:15], v[26:27], v[36:37], v[14:15] op_sel_hi:[1,0,1]
	ds_load_2addr_b32 v[26:27], v30 offset0:160 offset1:176
	s_wait_dscnt 0x6
	v_pk_fma_f32 v[18:19], v[48:49], v[32:33], v[18:19] op_sel:[0,1,0]
	v_pk_fma_f32 v[14:15], v[48:49], v[36:37], v[14:15] op_sel:[0,1,0]
	ds_load_2addr_b32 v[32:33], v30 offset0:192 offset1:208
	v_dual_mov_b32 v36, v35 :: v_dual_mov_b32 v48, v39
	s_wait_dscnt 0x6
	v_pk_fma_f32 v[18:19], v[50:51], v[34:35], v[18:19] op_sel_hi:[1,0,1]
	v_pk_fma_f32 v[14:15], v[50:51], v[38:39], v[14:15] op_sel_hi:[1,0,1]
	ds_load_2addr_b32 v[34:35], v30 offset0:224 offset1:240
	s_wait_dscnt 0x0
	s_barrier_signal -1
	v_pk_fma_f32 v[18:19], v[52:53], v[36:37], v[18:19] op_sel_hi:[1,0,1]
	v_pk_fma_f32 v[14:15], v[52:53], v[48:49], v[14:15] op_sel_hi:[1,0,1]
	s_barrier_wait -1
	v_mov_b32_e32 v36, v47
	s_delay_alu instid0(VALU_DEP_3) | instskip(NEXT) | instid1(VALU_DEP_3)
	v_pk_fma_f32 v[18:19], v[54:55], v[40:41], v[18:19] op_sel_hi:[1,0,1]
	v_pk_fma_f32 v[14:15], v[54:55], v[44:45], v[14:15] op_sel_hi:[1,0,1]
	s_delay_alu instid0(VALU_DEP_2) | instskip(NEXT) | instid1(VALU_DEP_2)
	v_pk_fma_f32 v[18:19], v[26:27], v[40:41], v[18:19] op_sel:[0,1,0]
	v_pk_fma_f32 v[14:15], v[26:27], v[44:45], v[14:15] op_sel:[0,1,0]
	v_mov_b32_e32 v26, v43
	s_delay_alu instid0(VALU_DEP_3) | instskip(NEXT) | instid1(VALU_DEP_3)
	v_pk_fma_f32 v[18:19], v[32:33], v[42:43], v[18:19] op_sel_hi:[1,0,1]
	v_pk_fma_f32 v[14:15], v[32:33], v[46:47], v[14:15] op_sel_hi:[1,0,1]
	s_delay_alu instid0(VALU_DEP_2) | instskip(NEXT) | instid1(VALU_DEP_2)
	v_pk_fma_f32 v[18:19], v[34:35], v[26:27], v[18:19] op_sel_hi:[1,0,1]
	v_pk_fma_f32 v[14:15], v[34:35], v[36:37], v[14:15] op_sel_hi:[1,0,1]
	s_cbranch_vccz .LBB188_11
.LBB188_7:                              ;   Parent Loop BB188_4 Depth=1
                                        ; =>  This Inner Loop Header: Depth=2
	v_add_nc_u64_e32 v[26:27], s[24:25], v[0:1]
	s_delay_alu instid0(VALU_DEP_1) | instskip(SKIP_2) | instid1(SALU_CYCLE_1)
	v_cmp_gt_i64_e32 vcc_lo, s[36:37], v[26:27]
	v_mov_b32_e32 v26, 0
	s_and_b32 s28, s0, vcc_lo
	s_and_saveexec_b32 s27, s28
	s_cbranch_execz .LBB188_9
; %bb.8:                                ;   in Loop: Header=BB188_7 Depth=2
	flat_load_u16 v26, v[24:25]
	s_wait_loadcnt_dscnt 0x0
	v_lshlrev_b32_e32 v26, 16, v26
.LBB188_9:                              ;   in Loop: Header=BB188_7 Depth=2
	s_wait_xcnt 0x0
	s_or_b32 exec_lo, exec_lo, s27
	v_add_nc_u64_e32 v[32:33], s[24:25], v[2:3]
	v_mov_b32_e32 v27, 0
	ds_store_b32 v28, v26
	v_cmp_gt_i64_e32 vcc_lo, s[36:37], v[32:33]
	s_and_b32 s28, vcc_lo, s1
	s_delay_alu instid0(SALU_CYCLE_1)
	s_and_saveexec_b32 s27, s28
	s_cbranch_execz .LBB188_6
; %bb.10:                               ;   in Loop: Header=BB188_7 Depth=2
	flat_load_u16 v26, v[22:23]
	s_wait_loadcnt_dscnt 0x0
	v_lshlrev_b32_e32 v27, 16, v26
	s_branch .LBB188_6
.LBB188_11:                             ;   in Loop: Header=BB188_4 Depth=1
	s_wait_loadcnt 0x0
	v_add_nc_u64_e32 v[20:21], s[18:19], v[20:21]
	s_and_not1_b32 vcc_lo, exec_lo, s39
	s_cbranch_vccnz .LBB188_16
; %bb.12:                               ;   in Loop: Header=BB188_4 Depth=1
	s_and_saveexec_b32 s24, s2
	s_cbranch_execz .LBB188_23
; %bb.13:                               ;   in Loop: Header=BB188_4 Depth=1
	s_delay_alu instid0(VALU_DEP_1) | instskip(NEXT) | instid1(VALU_DEP_1)
	v_lshl_add_u64 v[22:23], v[6:7], 2, v[20:21]
	v_lshl_add_u64 v[24:25], v[4:5], 2, v[22:23]
	s_and_saveexec_b32 s25, s3
	s_cbranch_execnz .LBB188_17
; %bb.14:                               ;   in Loop: Header=BB188_4 Depth=1
	s_or_b32 exec_lo, exec_lo, s25
	s_and_saveexec_b32 s25, s4
	s_cbranch_execnz .LBB188_18
.LBB188_15:                             ;   in Loop: Header=BB188_4 Depth=1
	s_or_b32 exec_lo, exec_lo, s25
	s_delay_alu instid0(SALU_CYCLE_1)
	s_and_b32 exec_lo, exec_lo, s5
	s_cbranch_execnz .LBB188_19
	s_branch .LBB188_23
.LBB188_16:                             ;   in Loop: Header=BB188_4 Depth=1
	s_branch .LBB188_24
.LBB188_17:                             ;   in Loop: Header=BB188_4 Depth=1
	v_mul_f32_e32 v26, s38, v18
	flat_store_b32 v[24:25], v26
	s_wait_xcnt 0x0
	s_or_b32 exec_lo, exec_lo, s25
	s_and_saveexec_b32 s25, s4
	s_cbranch_execz .LBB188_15
.LBB188_18:                             ;   in Loop: Header=BB188_4 Depth=1
	v_mul_f32_e32 v26, s38, v19
	flat_store_b32 v[24:25], v26 offset:64
	s_wait_xcnt 0x0
	s_or_b32 exec_lo, exec_lo, s25
	s_delay_alu instid0(SALU_CYCLE_1)
	s_and_b32 exec_lo, exec_lo, s5
	s_cbranch_execz .LBB188_23
.LBB188_19:                             ;   in Loop: Header=BB188_4 Depth=1
	v_lshl_add_u64 v[22:23], s[6:7], 2, v[22:23]
	s_delay_alu instid0(VALU_DEP_1)
	v_lshl_add_u64 v[22:23], v[4:5], 2, v[22:23]
	s_and_saveexec_b32 s25, s3
	s_cbranch_execz .LBB188_21
; %bb.20:                               ;   in Loop: Header=BB188_4 Depth=1
	v_mul_f32_e32 v24, s38, v14
	flat_store_b32 v[22:23], v24
.LBB188_21:                             ;   in Loop: Header=BB188_4 Depth=1
	s_wait_xcnt 0x0
	s_or_b32 exec_lo, exec_lo, s25
	s_delay_alu instid0(SALU_CYCLE_1)
	s_and_b32 exec_lo, exec_lo, s4
	s_cbranch_execz .LBB188_23
; %bb.22:                               ;   in Loop: Header=BB188_4 Depth=1
	v_mul_f32_e32 v24, s38, v15
	flat_store_b32 v[22:23], v24 offset:64
.LBB188_23:                             ;   in Loop: Header=BB188_4 Depth=1
	s_wait_xcnt 0x0
	s_or_b32 exec_lo, exec_lo, s24
	s_cbranch_execnz .LBB188_3
.LBB188_24:                             ;   in Loop: Header=BB188_4 Depth=1
	s_and_saveexec_b32 s24, s2
	s_cbranch_execz .LBB188_2
; %bb.25:                               ;   in Loop: Header=BB188_4 Depth=1
	v_add_nc_u64_e32 v[22:23], s[20:21], v[16:17]
	v_lshlrev_b64_e32 v[16:17], 2, v[4:5]
	v_lshl_add_u64 v[20:21], v[6:7], 2, v[20:21]
	s_delay_alu instid0(VALU_DEP_3) | instskip(NEXT) | instid1(VALU_DEP_2)
	v_lshl_add_u64 v[22:23], v[8:9], 2, v[22:23]
	v_add_nc_u64_e32 v[24:25], v[20:21], v[16:17]
	s_delay_alu instid0(VALU_DEP_2)
	v_add_nc_u64_e32 v[26:27], v[22:23], v[16:17]
	s_and_saveexec_b32 s25, s3
	s_cbranch_execnz .LBB188_28
; %bb.26:                               ;   in Loop: Header=BB188_4 Depth=1
	s_or_b32 exec_lo, exec_lo, s25
	s_and_saveexec_b32 s25, s4
	s_cbranch_execnz .LBB188_29
.LBB188_27:                             ;   in Loop: Header=BB188_4 Depth=1
	s_or_b32 exec_lo, exec_lo, s25
	s_delay_alu instid0(SALU_CYCLE_1)
	s_and_b32 exec_lo, exec_lo, s5
	s_cbranch_execz .LBB188_2
	s_branch .LBB188_30
.LBB188_28:                             ;   in Loop: Header=BB188_4 Depth=1
	flat_load_b32 v33, v[26:27]
	v_mov_b64_e32 v[34:35], s[40:41]
	v_mov_b32_e32 v32, v18
	s_wait_loadcnt_dscnt 0x0
	s_delay_alu instid0(VALU_DEP_1) | instskip(NEXT) | instid1(VALU_DEP_1)
	v_pk_mul_f32 v[32:33], v[34:35], v[32:33]
	v_add_f32_e32 v18, v32, v33
	flat_store_b32 v[24:25], v18
	s_wait_xcnt 0x0
	s_or_b32 exec_lo, exec_lo, s25
	s_and_saveexec_b32 s25, s4
	s_cbranch_execz .LBB188_27
.LBB188_29:                             ;   in Loop: Header=BB188_4 Depth=1
	flat_load_b32 v27, v[26:27] offset:64
	s_wait_xcnt 0x0
	v_mov_b32_e32 v26, v19
	v_mov_b64_e32 v[18:19], s[40:41]
	s_wait_loadcnt_dscnt 0x0
	s_delay_alu instid0(VALU_DEP_1) | instskip(NEXT) | instid1(VALU_DEP_1)
	v_pk_mul_f32 v[18:19], v[18:19], v[26:27]
	v_add_f32_e32 v18, v18, v19
	flat_store_b32 v[24:25], v18 offset:64
	s_wait_xcnt 0x0
	s_or_b32 exec_lo, exec_lo, s25
	s_delay_alu instid0(SALU_CYCLE_1)
	s_and_b32 exec_lo, exec_lo, s5
	s_cbranch_execz .LBB188_2
.LBB188_30:                             ;   in Loop: Header=BB188_4 Depth=1
	v_lshl_add_u64 v[18:19], s[10:11], 2, v[22:23]
	v_lshl_add_u64 v[20:21], s[6:7], 2, v[20:21]
	s_delay_alu instid0(VALU_DEP_2) | instskip(NEXT) | instid1(VALU_DEP_2)
	v_add_nc_u64_e32 v[18:19], v[18:19], v[16:17]
	v_add_nc_u64_e32 v[16:17], v[20:21], v[16:17]
	s_and_saveexec_b32 s25, s3
	s_cbranch_execz .LBB188_32
; %bb.31:                               ;   in Loop: Header=BB188_4 Depth=1
	flat_load_b32 v21, v[18:19]
	v_mov_b64_e32 v[22:23], s[40:41]
	v_mov_b32_e32 v20, v14
	s_wait_loadcnt_dscnt 0x0
	s_delay_alu instid0(VALU_DEP_1) | instskip(NEXT) | instid1(VALU_DEP_1)
	v_pk_mul_f32 v[20:21], v[22:23], v[20:21]
	v_add_f32_e32 v14, v20, v21
	flat_store_b32 v[16:17], v14
.LBB188_32:                             ;   in Loop: Header=BB188_4 Depth=1
	s_wait_xcnt 0x0
	s_or_b32 exec_lo, exec_lo, s25
	s_delay_alu instid0(SALU_CYCLE_1)
	s_and_b32 exec_lo, exec_lo, s4
	s_cbranch_execz .LBB188_2
; %bb.33:                               ;   in Loop: Header=BB188_4 Depth=1
	flat_load_b32 v19, v[18:19] offset:64
	s_wait_xcnt 0x0
	v_mov_b32_e32 v18, v15
	v_mov_b64_e32 v[14:15], s[40:41]
	s_wait_loadcnt_dscnt 0x0
	s_delay_alu instid0(VALU_DEP_1) | instskip(NEXT) | instid1(VALU_DEP_1)
	v_pk_mul_f32 v[14:15], v[14:15], v[18:19]
	v_add_f32_e32 v14, v14, v15
	flat_store_b32 v[16:17], v14 offset:64
	s_branch .LBB188_2
.LBB188_34:
	s_endpgm
	.section	.rodata,"a",@progbits
	.p2align	6, 0x0
	.amdhsa_kernel _ZN12_GLOBAL__N_135rocblas_gemm_batched_general_kernelIfLi16ELi16ELi32ELi32ELi8ELi32ELi8ELi8ELi32ELc84ELc84EKPK16rocblas_bfloat16KPKfKPfEEvlllT_PT11_llSC_llSA_PT12_llPT13_lli
		.amdhsa_group_segment_fixed_size 2048
		.amdhsa_private_segment_fixed_size 0
		.amdhsa_kernarg_size 140
		.amdhsa_user_sgpr_count 2
		.amdhsa_user_sgpr_dispatch_ptr 0
		.amdhsa_user_sgpr_queue_ptr 0
		.amdhsa_user_sgpr_kernarg_segment_ptr 1
		.amdhsa_user_sgpr_dispatch_id 0
		.amdhsa_user_sgpr_kernarg_preload_length 0
		.amdhsa_user_sgpr_kernarg_preload_offset 0
		.amdhsa_user_sgpr_private_segment_size 0
		.amdhsa_wavefront_size32 1
		.amdhsa_uses_dynamic_stack 0
		.amdhsa_enable_private_segment 0
		.amdhsa_system_sgpr_workgroup_id_x 1
		.amdhsa_system_sgpr_workgroup_id_y 1
		.amdhsa_system_sgpr_workgroup_id_z 1
		.amdhsa_system_sgpr_workgroup_info 0
		.amdhsa_system_vgpr_workitem_id 1
		.amdhsa_next_free_vgpr 56
		.amdhsa_next_free_sgpr 42
		.amdhsa_named_barrier_count 0
		.amdhsa_reserve_vcc 1
		.amdhsa_float_round_mode_32 0
		.amdhsa_float_round_mode_16_64 0
		.amdhsa_float_denorm_mode_32 3
		.amdhsa_float_denorm_mode_16_64 3
		.amdhsa_fp16_overflow 0
		.amdhsa_memory_ordered 1
		.amdhsa_forward_progress 1
		.amdhsa_inst_pref_size 15
		.amdhsa_round_robin_scheduling 0
		.amdhsa_exception_fp_ieee_invalid_op 0
		.amdhsa_exception_fp_denorm_src 0
		.amdhsa_exception_fp_ieee_div_zero 0
		.amdhsa_exception_fp_ieee_overflow 0
		.amdhsa_exception_fp_ieee_underflow 0
		.amdhsa_exception_fp_ieee_inexact 0
		.amdhsa_exception_int_div_zero 0
	.end_amdhsa_kernel
	.section	.text._ZN12_GLOBAL__N_135rocblas_gemm_batched_general_kernelIfLi16ELi16ELi32ELi32ELi8ELi32ELi8ELi8ELi32ELc84ELc84EKPK16rocblas_bfloat16KPKfKPfEEvlllT_PT11_llSC_llSA_PT12_llPT13_lli,"axG",@progbits,_ZN12_GLOBAL__N_135rocblas_gemm_batched_general_kernelIfLi16ELi16ELi32ELi32ELi8ELi32ELi8ELi8ELi32ELc84ELc84EKPK16rocblas_bfloat16KPKfKPfEEvlllT_PT11_llSC_llSA_PT12_llPT13_lli,comdat
.Lfunc_end188:
	.size	_ZN12_GLOBAL__N_135rocblas_gemm_batched_general_kernelIfLi16ELi16ELi32ELi32ELi8ELi32ELi8ELi8ELi32ELc84ELc84EKPK16rocblas_bfloat16KPKfKPfEEvlllT_PT11_llSC_llSA_PT12_llPT13_lli, .Lfunc_end188-_ZN12_GLOBAL__N_135rocblas_gemm_batched_general_kernelIfLi16ELi16ELi32ELi32ELi8ELi32ELi8ELi8ELi32ELc84ELc84EKPK16rocblas_bfloat16KPKfKPfEEvlllT_PT11_llSC_llSA_PT12_llPT13_lli
                                        ; -- End function
	.set _ZN12_GLOBAL__N_135rocblas_gemm_batched_general_kernelIfLi16ELi16ELi32ELi32ELi8ELi32ELi8ELi8ELi32ELc84ELc84EKPK16rocblas_bfloat16KPKfKPfEEvlllT_PT11_llSC_llSA_PT12_llPT13_lli.num_vgpr, 56
	.set _ZN12_GLOBAL__N_135rocblas_gemm_batched_general_kernelIfLi16ELi16ELi32ELi32ELi8ELi32ELi8ELi8ELi32ELc84ELc84EKPK16rocblas_bfloat16KPKfKPfEEvlllT_PT11_llSC_llSA_PT12_llPT13_lli.num_agpr, 0
	.set _ZN12_GLOBAL__N_135rocblas_gemm_batched_general_kernelIfLi16ELi16ELi32ELi32ELi8ELi32ELi8ELi8ELi32ELc84ELc84EKPK16rocblas_bfloat16KPKfKPfEEvlllT_PT11_llSC_llSA_PT12_llPT13_lli.numbered_sgpr, 42
	.set _ZN12_GLOBAL__N_135rocblas_gemm_batched_general_kernelIfLi16ELi16ELi32ELi32ELi8ELi32ELi8ELi8ELi32ELc84ELc84EKPK16rocblas_bfloat16KPKfKPfEEvlllT_PT11_llSC_llSA_PT12_llPT13_lli.num_named_barrier, 0
	.set _ZN12_GLOBAL__N_135rocblas_gemm_batched_general_kernelIfLi16ELi16ELi32ELi32ELi8ELi32ELi8ELi8ELi32ELc84ELc84EKPK16rocblas_bfloat16KPKfKPfEEvlllT_PT11_llSC_llSA_PT12_llPT13_lli.private_seg_size, 0
	.set _ZN12_GLOBAL__N_135rocblas_gemm_batched_general_kernelIfLi16ELi16ELi32ELi32ELi8ELi32ELi8ELi8ELi32ELc84ELc84EKPK16rocblas_bfloat16KPKfKPfEEvlllT_PT11_llSC_llSA_PT12_llPT13_lli.uses_vcc, 1
	.set _ZN12_GLOBAL__N_135rocblas_gemm_batched_general_kernelIfLi16ELi16ELi32ELi32ELi8ELi32ELi8ELi8ELi32ELc84ELc84EKPK16rocblas_bfloat16KPKfKPfEEvlllT_PT11_llSC_llSA_PT12_llPT13_lli.uses_flat_scratch, 0
	.set _ZN12_GLOBAL__N_135rocblas_gemm_batched_general_kernelIfLi16ELi16ELi32ELi32ELi8ELi32ELi8ELi8ELi32ELc84ELc84EKPK16rocblas_bfloat16KPKfKPfEEvlllT_PT11_llSC_llSA_PT12_llPT13_lli.has_dyn_sized_stack, 0
	.set _ZN12_GLOBAL__N_135rocblas_gemm_batched_general_kernelIfLi16ELi16ELi32ELi32ELi8ELi32ELi8ELi8ELi32ELc84ELc84EKPK16rocblas_bfloat16KPKfKPfEEvlllT_PT11_llSC_llSA_PT12_llPT13_lli.has_recursion, 0
	.set _ZN12_GLOBAL__N_135rocblas_gemm_batched_general_kernelIfLi16ELi16ELi32ELi32ELi8ELi32ELi8ELi8ELi32ELc84ELc84EKPK16rocblas_bfloat16KPKfKPfEEvlllT_PT11_llSC_llSA_PT12_llPT13_lli.has_indirect_call, 0
	.section	.AMDGPU.csdata,"",@progbits
; Kernel info:
; codeLenInByte = 1848
; TotalNumSgprs: 44
; NumVgprs: 56
; ScratchSize: 0
; MemoryBound: 0
; FloatMode: 240
; IeeeMode: 1
; LDSByteSize: 2048 bytes/workgroup (compile time only)
; SGPRBlocks: 0
; VGPRBlocks: 3
; NumSGPRsForWavesPerEU: 44
; NumVGPRsForWavesPerEU: 56
; NamedBarCnt: 0
; Occupancy: 16
; WaveLimiterHint : 1
; COMPUTE_PGM_RSRC2:SCRATCH_EN: 0
; COMPUTE_PGM_RSRC2:USER_SGPR: 2
; COMPUTE_PGM_RSRC2:TRAP_HANDLER: 0
; COMPUTE_PGM_RSRC2:TGID_X_EN: 1
; COMPUTE_PGM_RSRC2:TGID_Y_EN: 1
; COMPUTE_PGM_RSRC2:TGID_Z_EN: 1
; COMPUTE_PGM_RSRC2:TIDIG_COMP_CNT: 1
	.section	.text._ZN12_GLOBAL__N_135rocblas_gemm_batched_general_kernelIfLi16ELi16ELi32ELi32ELi8ELi32ELi8ELi8ELi32ELc67ELc67EKPK16rocblas_bfloat16KPKfKPfEEvlllT_PT11_llSC_llSA_PT12_llPT13_lli,"axG",@progbits,_ZN12_GLOBAL__N_135rocblas_gemm_batched_general_kernelIfLi16ELi16ELi32ELi32ELi8ELi32ELi8ELi8ELi32ELc67ELc67EKPK16rocblas_bfloat16KPKfKPfEEvlllT_PT11_llSC_llSA_PT12_llPT13_lli,comdat
	.globl	_ZN12_GLOBAL__N_135rocblas_gemm_batched_general_kernelIfLi16ELi16ELi32ELi32ELi8ELi32ELi8ELi8ELi32ELc67ELc67EKPK16rocblas_bfloat16KPKfKPfEEvlllT_PT11_llSC_llSA_PT12_llPT13_lli ; -- Begin function _ZN12_GLOBAL__N_135rocblas_gemm_batched_general_kernelIfLi16ELi16ELi32ELi32ELi8ELi32ELi8ELi8ELi32ELc67ELc67EKPK16rocblas_bfloat16KPKfKPfEEvlllT_PT11_llSC_llSA_PT12_llPT13_lli
	.p2align	8
	.type	_ZN12_GLOBAL__N_135rocblas_gemm_batched_general_kernelIfLi16ELi16ELi32ELi32ELi8ELi32ELi8ELi8ELi32ELc67ELc67EKPK16rocblas_bfloat16KPKfKPfEEvlllT_PT11_llSC_llSA_PT12_llPT13_lli,@function
_ZN12_GLOBAL__N_135rocblas_gemm_batched_general_kernelIfLi16ELi16ELi32ELi32ELi8ELi32ELi8ELi8ELi32ELc67ELc67EKPK16rocblas_bfloat16KPKfKPfEEvlllT_PT11_llSC_llSA_PT12_llPT13_lli: ; @_ZN12_GLOBAL__N_135rocblas_gemm_batched_general_kernelIfLi16ELi16ELi32ELi32ELi8ELi32ELi8ELi8ELi32ELc67ELc67EKPK16rocblas_bfloat16KPKfKPfEEvlllT_PT11_llSC_llSA_PT12_llPT13_lli
; %bb.0:
	s_load_b32 s33, s[0:1], 0x88
	s_bfe_u32 s2, ttmp6, 0x40014
	s_lshr_b32 s3, ttmp7, 16
	s_add_co_i32 s2, s2, 1
	s_bfe_u32 s5, ttmp6, 0x40008
	s_mul_i32 s4, s3, s2
	s_getreg_b32 s2, hwreg(HW_REG_IB_STS2, 6, 4)
	s_add_co_i32 s5, s5, s4
	s_cmp_eq_u32 s2, 0
	s_mov_b32 s35, 0
	s_cselect_b32 s34, s3, s5
	s_wait_kmcnt 0x0
	s_cmp_ge_i32 s34, s33
	s_cbranch_scc1 .LBB189_34
; %bb.1:
	v_bfe_u32 v10, v0, 10, 10
	v_and_b32_e32 v12, 0x3ff, v0
	s_clause 0x6
	s_load_b128 s[4:7], s[0:1], 0x0
	s_load_b96 s[36:38], s[0:1], 0x10
	s_load_b256 s[8:15], s[0:1], 0x20
	s_load_b128 s[24:27], s[0:1], 0x40
	s_load_b32 s41, s[0:1], 0x50
	s_load_b128 s[28:31], s[0:1], 0x78
	s_load_b256 s[16:23], s[0:1], 0x58
	s_wait_xcnt 0x0
	s_bfe_u32 s0, ttmp6, 0x4000c
	s_bfe_u32 s3, ttmp6, 0x40010
	s_add_co_i32 s0, s0, 1
	s_and_b32 s39, ttmp7, 0xffff
	s_add_co_i32 s3, s3, 1
	s_and_b32 s1, ttmp6, 15
	s_mul_i32 s0, ttmp9, s0
	s_mul_i32 s3, s39, s3
	s_bfe_u32 s40, ttmp6, 0x40004
	v_lshl_add_u32 v6, v10, 4, v12
	s_add_co_i32 s1, s1, s0
	s_add_co_i32 s40, s40, s3
	s_cmp_eq_u32 s2, 0
	s_delay_alu instid0(VALU_DEP_1) | instskip(SKIP_3) | instid1(VALU_DEP_1)
	v_dual_mov_b32 v1, 0 :: v_dual_bitop2_b32 v8, 31, v6 bitop3:0x40
	s_cselect_b32 s0, ttmp9, s1
	s_cselect_b32 s40, s39, s40
	s_ashr_i32 s1, s0, 31
	v_dual_mov_b32 v11, v1 :: v_dual_bitop2_b32 v2, 7, v0 bitop3:0x40
	s_lshl_b64 s[2:3], s[0:1], 5
	v_dual_mov_b32 v3, v1 :: v_dual_lshrrev_b32 v14, 3, v6
	v_dual_mov_b32 v15, v1 :: v_dual_bitop2_b32 v4, s2, v8 bitop3:0x54
	s_delay_alu instid0(VALU_DEP_3) | instskip(SKIP_1) | instid1(VALU_DEP_3)
	v_dual_mov_b32 v5, s3 :: v_dual_lshlrev_b32 v9, 2, v2
	s_wait_kmcnt 0x0
	v_mul_u64_e32 v[16:17], s[24:25], v[2:3]
	s_lshl_b32 s0, s40, 5
	s_mov_b32 s1, s35
	v_mul_u64_e32 v[18:19], s[10:11], v[4:5]
	v_dual_lshrrev_b32 v0, 5, v6 :: v_dual_lshlrev_b32 v8, 2, v8
	v_add_nc_u64_e32 v[6:7], s[0:1], v[14:15]
	v_add_nc_u64_e32 v[20:21], s[0:1], v[10:11]
	v_lshl_or_b32 v9, v14, 5, v9
	v_dual_mov_b32 v13, v1 :: v_dual_lshlrev_b32 v30, 2, v12
	v_lshl_or_b32 v28, v0, 7, v8
	v_cmp_gt_i64_e64 s0, s[4:5], v[4:5]
	v_cmp_gt_i64_e64 s1, s[6:7], v[6:7]
	v_add_nc_u32_e32 v29, 0x400, v9
	v_mul_u64_e32 v[6:7], s[28:29], v[20:21]
	v_mul_u64_e32 v[8:9], s[18:19], v[20:21]
	v_add_nc_u64_e32 v[4:5], s[2:3], v[12:13]
	v_lshl_add_u32 v31, v10, 5, 0x400
	v_add_nc_u64_e32 v[12:13], 16, v[20:21]
	s_cmp_eq_f32 s41, 0
	s_mov_b32 s11, s35
	v_cmp_gt_i64_e64 s2, s[6:7], v[20:21]
	s_delay_alu instid0(VALU_DEP_4)
	v_add_nc_u64_e32 v[10:11], 16, v[4:5]
	s_cselect_b32 s39, -1, 0
	s_lshl_b32 s10, s40, 6
	s_lshl_b64 s[26:27], s[26:27], 1
	v_cmp_gt_i64_e64 s3, s[4:5], v[4:5]
	s_add_nc_u64 s[10:11], s[26:27], s[10:11]
	v_cmp_gt_i64_e64 s26, s[36:37], 0
	v_cmp_gt_i64_e64 s4, s[4:5], v[10:11]
	;; [unrolled: 1-line block ×3, first 2 shown]
	s_lshl_b64 s[6:7], s[12:13], 1
	v_lshl_add_u64 v[10:11], v[16:17], 1, s[10:11]
	v_dual_mov_b32 v13, v1 :: v_dual_lshlrev_b32 v12, 1, v14
	v_lshl_add_u64 v[14:15], v[18:19], 1, s[6:7]
	v_dual_mov_b32 v17, v1 :: v_dual_lshlrev_b32 v16, 1, v0
	s_lshl_b64 s[6:7], s[28:29], 4
	s_delay_alu instid0(VALU_DEP_3)
	v_add_nc_u64_e32 v[10:11], v[10:11], v[12:13]
	s_mov_b32 s40, s38
	s_lshl_b64 s[10:11], s[18:19], 4
	v_add_nc_u64_e32 v[12:13], v[14:15], v[16:17]
	s_lshl_b64 s[12:13], s[24:25], 4
	s_lshl_b64 s[18:19], s[30:31], 2
	;; [unrolled: 1-line block ×3, first 2 shown]
	s_branch .LBB189_4
.LBB189_2:                              ;   in Loop: Header=BB189_4 Depth=1
	s_wait_xcnt 0x0
	s_or_b32 exec_lo, exec_lo, s24
.LBB189_3:                              ;   in Loop: Header=BB189_4 Depth=1
	s_add_co_i32 s34, s34, 0x10000
	s_delay_alu instid0(SALU_CYCLE_1)
	s_cmp_lt_i32 s34, s33
	s_cbranch_scc0 .LBB189_34
.LBB189_4:                              ; =>This Loop Header: Depth=1
                                        ;     Child Loop BB189_7 Depth 2
	v_dual_mov_b32 v14, s34 :: v_dual_mov_b32 v19, 0
	v_dual_mov_b32 v18, 0 :: v_dual_mov_b32 v15, 0
	s_and_not1_b32 vcc_lo, exec_lo, s26
	s_clause 0x1
	global_load_b64 v[16:17], v14, s[16:17] scale_offset
	global_load_b64 v[20:21], v14, s[22:23] scale_offset
	s_wait_xcnt 0x0
	v_mov_b32_e32 v14, 0
	s_cbranch_vccnz .LBB189_11
; %bb.5:                                ;   in Loop: Header=BB189_4 Depth=1
	s_lshl_b64 s[24:25], s[34:35], 3
	v_mov_b32_e32 v18, 0
	s_add_nc_u64 s[28:29], s[14:15], s[24:25]
	s_add_nc_u64 s[24:25], s[8:9], s[24:25]
	s_clause 0x1
	global_load_b64 v[14:15], v1, s[28:29]
	global_load_b64 v[24:25], v1, s[24:25]
	s_wait_xcnt 0x0
	s_mov_b64 s[24:25], 0
	v_mov_b32_e32 v19, v18
	s_wait_loadcnt 0x1
	v_add_nc_u64_e32 v[22:23], v[14:15], v[10:11]
	s_wait_loadcnt 0x0
	v_add_nc_u64_e32 v[24:25], v[24:25], v[12:13]
	v_dual_mov_b32 v14, v18 :: v_dual_mov_b32 v15, v18
	s_branch .LBB189_7
.LBB189_6:                              ;   in Loop: Header=BB189_7 Depth=2
	s_wait_xcnt 0x0
	s_or_b32 exec_lo, exec_lo, s27
	ds_store_b32 v29, v27
	s_wait_dscnt 0x0
	s_barrier_signal -1
	s_barrier_wait -1
	ds_load_b128 v[32:35], v31
	ds_load_2addr_b32 v[26:27], v30 offset1:16
	ds_load_b128 v[36:39], v31 offset:512
	ds_load_2addr_b32 v[48:49], v30 offset0:32 offset1:48
	ds_load_2addr_b32 v[50:51], v30 offset0:64 offset1:80
	;; [unrolled: 1-line block ×3, first 2 shown]
	ds_load_b128 v[40:43], v31 offset:16
	ds_load_2addr_b32 v[54:55], v30 offset0:128 offset1:144
	ds_load_b128 v[44:47], v31 offset:528
	s_add_nc_u64 s[24:25], s[24:25], 8
	v_add_nc_u64_e32 v[22:23], s[12:13], v[22:23]
	v_cmp_lt_i64_e64 s27, s[24:25], s[36:37]
	v_add_nc_u64_e32 v[24:25], 16, v[24:25]
	s_and_b32 vcc_lo, exec_lo, s27
	s_wait_dscnt 0x7
	v_pk_fma_f32 v[18:19], v[26:27], v[32:33], v[18:19] op_sel_hi:[1,0,1]
	s_wait_dscnt 0x6
	v_pk_fma_f32 v[14:15], v[26:27], v[36:37], v[14:15] op_sel_hi:[1,0,1]
	ds_load_2addr_b32 v[26:27], v30 offset0:160 offset1:176
	s_wait_dscnt 0x6
	v_pk_fma_f32 v[18:19], v[48:49], v[32:33], v[18:19] op_sel:[0,1,0]
	v_pk_fma_f32 v[14:15], v[48:49], v[36:37], v[14:15] op_sel:[0,1,0]
	ds_load_2addr_b32 v[32:33], v30 offset0:192 offset1:208
	v_dual_mov_b32 v36, v35 :: v_dual_mov_b32 v48, v39
	s_wait_dscnt 0x6
	v_pk_fma_f32 v[18:19], v[50:51], v[34:35], v[18:19] op_sel_hi:[1,0,1]
	v_pk_fma_f32 v[14:15], v[50:51], v[38:39], v[14:15] op_sel_hi:[1,0,1]
	ds_load_2addr_b32 v[34:35], v30 offset0:224 offset1:240
	s_wait_dscnt 0x0
	s_barrier_signal -1
	v_pk_fma_f32 v[18:19], v[52:53], v[36:37], v[18:19] op_sel_hi:[1,0,1]
	v_pk_fma_f32 v[14:15], v[52:53], v[48:49], v[14:15] op_sel_hi:[1,0,1]
	s_barrier_wait -1
	v_mov_b32_e32 v36, v47
	s_delay_alu instid0(VALU_DEP_3) | instskip(NEXT) | instid1(VALU_DEP_3)
	v_pk_fma_f32 v[18:19], v[54:55], v[40:41], v[18:19] op_sel_hi:[1,0,1]
	v_pk_fma_f32 v[14:15], v[54:55], v[44:45], v[14:15] op_sel_hi:[1,0,1]
	s_delay_alu instid0(VALU_DEP_2) | instskip(NEXT) | instid1(VALU_DEP_2)
	v_pk_fma_f32 v[18:19], v[26:27], v[40:41], v[18:19] op_sel:[0,1,0]
	v_pk_fma_f32 v[14:15], v[26:27], v[44:45], v[14:15] op_sel:[0,1,0]
	v_mov_b32_e32 v26, v43
	s_delay_alu instid0(VALU_DEP_3) | instskip(NEXT) | instid1(VALU_DEP_3)
	v_pk_fma_f32 v[18:19], v[32:33], v[42:43], v[18:19] op_sel_hi:[1,0,1]
	v_pk_fma_f32 v[14:15], v[32:33], v[46:47], v[14:15] op_sel_hi:[1,0,1]
	s_delay_alu instid0(VALU_DEP_2) | instskip(NEXT) | instid1(VALU_DEP_2)
	v_pk_fma_f32 v[18:19], v[34:35], v[26:27], v[18:19] op_sel_hi:[1,0,1]
	v_pk_fma_f32 v[14:15], v[34:35], v[36:37], v[14:15] op_sel_hi:[1,0,1]
	s_cbranch_vccz .LBB189_11
.LBB189_7:                              ;   Parent Loop BB189_4 Depth=1
                                        ; =>  This Inner Loop Header: Depth=2
	v_add_nc_u64_e32 v[26:27], s[24:25], v[0:1]
	s_delay_alu instid0(VALU_DEP_1) | instskip(SKIP_2) | instid1(SALU_CYCLE_1)
	v_cmp_gt_i64_e32 vcc_lo, s[36:37], v[26:27]
	v_mov_b32_e32 v26, 0
	s_and_b32 s28, s0, vcc_lo
	s_and_saveexec_b32 s27, s28
	s_cbranch_execz .LBB189_9
; %bb.8:                                ;   in Loop: Header=BB189_7 Depth=2
	flat_load_u16 v26, v[24:25]
	s_wait_loadcnt_dscnt 0x0
	v_lshlrev_b32_e32 v26, 16, v26
.LBB189_9:                              ;   in Loop: Header=BB189_7 Depth=2
	s_wait_xcnt 0x0
	s_or_b32 exec_lo, exec_lo, s27
	v_add_nc_u64_e32 v[32:33], s[24:25], v[2:3]
	v_mov_b32_e32 v27, 0
	ds_store_b32 v28, v26
	v_cmp_gt_i64_e32 vcc_lo, s[36:37], v[32:33]
	s_and_b32 s28, vcc_lo, s1
	s_delay_alu instid0(SALU_CYCLE_1)
	s_and_saveexec_b32 s27, s28
	s_cbranch_execz .LBB189_6
; %bb.10:                               ;   in Loop: Header=BB189_7 Depth=2
	flat_load_u16 v26, v[22:23]
	s_wait_loadcnt_dscnt 0x0
	v_lshlrev_b32_e32 v27, 16, v26
	s_branch .LBB189_6
.LBB189_11:                             ;   in Loop: Header=BB189_4 Depth=1
	s_wait_loadcnt 0x0
	v_add_nc_u64_e32 v[20:21], s[18:19], v[20:21]
	s_and_not1_b32 vcc_lo, exec_lo, s39
	s_cbranch_vccnz .LBB189_16
; %bb.12:                               ;   in Loop: Header=BB189_4 Depth=1
	s_and_saveexec_b32 s24, s2
	s_cbranch_execz .LBB189_23
; %bb.13:                               ;   in Loop: Header=BB189_4 Depth=1
	s_delay_alu instid0(VALU_DEP_1) | instskip(NEXT) | instid1(VALU_DEP_1)
	v_lshl_add_u64 v[22:23], v[6:7], 2, v[20:21]
	v_lshl_add_u64 v[24:25], v[4:5], 2, v[22:23]
	s_and_saveexec_b32 s25, s3
	s_cbranch_execnz .LBB189_17
; %bb.14:                               ;   in Loop: Header=BB189_4 Depth=1
	s_or_b32 exec_lo, exec_lo, s25
	s_and_saveexec_b32 s25, s4
	s_cbranch_execnz .LBB189_18
.LBB189_15:                             ;   in Loop: Header=BB189_4 Depth=1
	s_or_b32 exec_lo, exec_lo, s25
	s_delay_alu instid0(SALU_CYCLE_1)
	s_and_b32 exec_lo, exec_lo, s5
	s_cbranch_execnz .LBB189_19
	s_branch .LBB189_23
.LBB189_16:                             ;   in Loop: Header=BB189_4 Depth=1
	s_branch .LBB189_24
.LBB189_17:                             ;   in Loop: Header=BB189_4 Depth=1
	v_mul_f32_e32 v26, s38, v18
	flat_store_b32 v[24:25], v26
	s_wait_xcnt 0x0
	s_or_b32 exec_lo, exec_lo, s25
	s_and_saveexec_b32 s25, s4
	s_cbranch_execz .LBB189_15
.LBB189_18:                             ;   in Loop: Header=BB189_4 Depth=1
	v_mul_f32_e32 v26, s38, v19
	flat_store_b32 v[24:25], v26 offset:64
	s_wait_xcnt 0x0
	s_or_b32 exec_lo, exec_lo, s25
	s_delay_alu instid0(SALU_CYCLE_1)
	s_and_b32 exec_lo, exec_lo, s5
	s_cbranch_execz .LBB189_23
.LBB189_19:                             ;   in Loop: Header=BB189_4 Depth=1
	v_lshl_add_u64 v[22:23], s[6:7], 2, v[22:23]
	s_delay_alu instid0(VALU_DEP_1)
	v_lshl_add_u64 v[22:23], v[4:5], 2, v[22:23]
	s_and_saveexec_b32 s25, s3
	s_cbranch_execz .LBB189_21
; %bb.20:                               ;   in Loop: Header=BB189_4 Depth=1
	v_mul_f32_e32 v24, s38, v14
	flat_store_b32 v[22:23], v24
.LBB189_21:                             ;   in Loop: Header=BB189_4 Depth=1
	s_wait_xcnt 0x0
	s_or_b32 exec_lo, exec_lo, s25
	s_delay_alu instid0(SALU_CYCLE_1)
	s_and_b32 exec_lo, exec_lo, s4
	s_cbranch_execz .LBB189_23
; %bb.22:                               ;   in Loop: Header=BB189_4 Depth=1
	v_mul_f32_e32 v24, s38, v15
	flat_store_b32 v[22:23], v24 offset:64
.LBB189_23:                             ;   in Loop: Header=BB189_4 Depth=1
	s_wait_xcnt 0x0
	s_or_b32 exec_lo, exec_lo, s24
	s_cbranch_execnz .LBB189_3
.LBB189_24:                             ;   in Loop: Header=BB189_4 Depth=1
	s_and_saveexec_b32 s24, s2
	s_cbranch_execz .LBB189_2
; %bb.25:                               ;   in Loop: Header=BB189_4 Depth=1
	v_add_nc_u64_e32 v[22:23], s[20:21], v[16:17]
	v_lshlrev_b64_e32 v[16:17], 2, v[4:5]
	v_lshl_add_u64 v[20:21], v[6:7], 2, v[20:21]
	s_delay_alu instid0(VALU_DEP_3) | instskip(NEXT) | instid1(VALU_DEP_2)
	v_lshl_add_u64 v[22:23], v[8:9], 2, v[22:23]
	v_add_nc_u64_e32 v[24:25], v[20:21], v[16:17]
	s_delay_alu instid0(VALU_DEP_2)
	v_add_nc_u64_e32 v[26:27], v[22:23], v[16:17]
	s_and_saveexec_b32 s25, s3
	s_cbranch_execnz .LBB189_28
; %bb.26:                               ;   in Loop: Header=BB189_4 Depth=1
	s_or_b32 exec_lo, exec_lo, s25
	s_and_saveexec_b32 s25, s4
	s_cbranch_execnz .LBB189_29
.LBB189_27:                             ;   in Loop: Header=BB189_4 Depth=1
	s_or_b32 exec_lo, exec_lo, s25
	s_delay_alu instid0(SALU_CYCLE_1)
	s_and_b32 exec_lo, exec_lo, s5
	s_cbranch_execz .LBB189_2
	s_branch .LBB189_30
.LBB189_28:                             ;   in Loop: Header=BB189_4 Depth=1
	flat_load_b32 v33, v[26:27]
	v_mov_b64_e32 v[34:35], s[40:41]
	v_mov_b32_e32 v32, v18
	s_wait_loadcnt_dscnt 0x0
	s_delay_alu instid0(VALU_DEP_1) | instskip(NEXT) | instid1(VALU_DEP_1)
	v_pk_mul_f32 v[32:33], v[34:35], v[32:33]
	v_add_f32_e32 v18, v32, v33
	flat_store_b32 v[24:25], v18
	s_wait_xcnt 0x0
	s_or_b32 exec_lo, exec_lo, s25
	s_and_saveexec_b32 s25, s4
	s_cbranch_execz .LBB189_27
.LBB189_29:                             ;   in Loop: Header=BB189_4 Depth=1
	flat_load_b32 v27, v[26:27] offset:64
	s_wait_xcnt 0x0
	v_mov_b32_e32 v26, v19
	v_mov_b64_e32 v[18:19], s[40:41]
	s_wait_loadcnt_dscnt 0x0
	s_delay_alu instid0(VALU_DEP_1) | instskip(NEXT) | instid1(VALU_DEP_1)
	v_pk_mul_f32 v[18:19], v[18:19], v[26:27]
	v_add_f32_e32 v18, v18, v19
	flat_store_b32 v[24:25], v18 offset:64
	s_wait_xcnt 0x0
	s_or_b32 exec_lo, exec_lo, s25
	s_delay_alu instid0(SALU_CYCLE_1)
	s_and_b32 exec_lo, exec_lo, s5
	s_cbranch_execz .LBB189_2
.LBB189_30:                             ;   in Loop: Header=BB189_4 Depth=1
	v_lshl_add_u64 v[18:19], s[10:11], 2, v[22:23]
	v_lshl_add_u64 v[20:21], s[6:7], 2, v[20:21]
	s_delay_alu instid0(VALU_DEP_2) | instskip(NEXT) | instid1(VALU_DEP_2)
	v_add_nc_u64_e32 v[18:19], v[18:19], v[16:17]
	v_add_nc_u64_e32 v[16:17], v[20:21], v[16:17]
	s_and_saveexec_b32 s25, s3
	s_cbranch_execz .LBB189_32
; %bb.31:                               ;   in Loop: Header=BB189_4 Depth=1
	flat_load_b32 v21, v[18:19]
	v_mov_b64_e32 v[22:23], s[40:41]
	v_mov_b32_e32 v20, v14
	s_wait_loadcnt_dscnt 0x0
	s_delay_alu instid0(VALU_DEP_1) | instskip(NEXT) | instid1(VALU_DEP_1)
	v_pk_mul_f32 v[20:21], v[22:23], v[20:21]
	v_add_f32_e32 v14, v20, v21
	flat_store_b32 v[16:17], v14
.LBB189_32:                             ;   in Loop: Header=BB189_4 Depth=1
	s_wait_xcnt 0x0
	s_or_b32 exec_lo, exec_lo, s25
	s_delay_alu instid0(SALU_CYCLE_1)
	s_and_b32 exec_lo, exec_lo, s4
	s_cbranch_execz .LBB189_2
; %bb.33:                               ;   in Loop: Header=BB189_4 Depth=1
	flat_load_b32 v19, v[18:19] offset:64
	s_wait_xcnt 0x0
	v_mov_b32_e32 v18, v15
	v_mov_b64_e32 v[14:15], s[40:41]
	s_wait_loadcnt_dscnt 0x0
	s_delay_alu instid0(VALU_DEP_1) | instskip(NEXT) | instid1(VALU_DEP_1)
	v_pk_mul_f32 v[14:15], v[14:15], v[18:19]
	v_add_f32_e32 v14, v14, v15
	flat_store_b32 v[16:17], v14 offset:64
	s_branch .LBB189_2
.LBB189_34:
	s_endpgm
	.section	.rodata,"a",@progbits
	.p2align	6, 0x0
	.amdhsa_kernel _ZN12_GLOBAL__N_135rocblas_gemm_batched_general_kernelIfLi16ELi16ELi32ELi32ELi8ELi32ELi8ELi8ELi32ELc67ELc67EKPK16rocblas_bfloat16KPKfKPfEEvlllT_PT11_llSC_llSA_PT12_llPT13_lli
		.amdhsa_group_segment_fixed_size 2048
		.amdhsa_private_segment_fixed_size 0
		.amdhsa_kernarg_size 140
		.amdhsa_user_sgpr_count 2
		.amdhsa_user_sgpr_dispatch_ptr 0
		.amdhsa_user_sgpr_queue_ptr 0
		.amdhsa_user_sgpr_kernarg_segment_ptr 1
		.amdhsa_user_sgpr_dispatch_id 0
		.amdhsa_user_sgpr_kernarg_preload_length 0
		.amdhsa_user_sgpr_kernarg_preload_offset 0
		.amdhsa_user_sgpr_private_segment_size 0
		.amdhsa_wavefront_size32 1
		.amdhsa_uses_dynamic_stack 0
		.amdhsa_enable_private_segment 0
		.amdhsa_system_sgpr_workgroup_id_x 1
		.amdhsa_system_sgpr_workgroup_id_y 1
		.amdhsa_system_sgpr_workgroup_id_z 1
		.amdhsa_system_sgpr_workgroup_info 0
		.amdhsa_system_vgpr_workitem_id 1
		.amdhsa_next_free_vgpr 56
		.amdhsa_next_free_sgpr 42
		.amdhsa_named_barrier_count 0
		.amdhsa_reserve_vcc 1
		.amdhsa_float_round_mode_32 0
		.amdhsa_float_round_mode_16_64 0
		.amdhsa_float_denorm_mode_32 3
		.amdhsa_float_denorm_mode_16_64 3
		.amdhsa_fp16_overflow 0
		.amdhsa_memory_ordered 1
		.amdhsa_forward_progress 1
		.amdhsa_inst_pref_size 15
		.amdhsa_round_robin_scheduling 0
		.amdhsa_exception_fp_ieee_invalid_op 0
		.amdhsa_exception_fp_denorm_src 0
		.amdhsa_exception_fp_ieee_div_zero 0
		.amdhsa_exception_fp_ieee_overflow 0
		.amdhsa_exception_fp_ieee_underflow 0
		.amdhsa_exception_fp_ieee_inexact 0
		.amdhsa_exception_int_div_zero 0
	.end_amdhsa_kernel
	.section	.text._ZN12_GLOBAL__N_135rocblas_gemm_batched_general_kernelIfLi16ELi16ELi32ELi32ELi8ELi32ELi8ELi8ELi32ELc67ELc67EKPK16rocblas_bfloat16KPKfKPfEEvlllT_PT11_llSC_llSA_PT12_llPT13_lli,"axG",@progbits,_ZN12_GLOBAL__N_135rocblas_gemm_batched_general_kernelIfLi16ELi16ELi32ELi32ELi8ELi32ELi8ELi8ELi32ELc67ELc67EKPK16rocblas_bfloat16KPKfKPfEEvlllT_PT11_llSC_llSA_PT12_llPT13_lli,comdat
.Lfunc_end189:
	.size	_ZN12_GLOBAL__N_135rocblas_gemm_batched_general_kernelIfLi16ELi16ELi32ELi32ELi8ELi32ELi8ELi8ELi32ELc67ELc67EKPK16rocblas_bfloat16KPKfKPfEEvlllT_PT11_llSC_llSA_PT12_llPT13_lli, .Lfunc_end189-_ZN12_GLOBAL__N_135rocblas_gemm_batched_general_kernelIfLi16ELi16ELi32ELi32ELi8ELi32ELi8ELi8ELi32ELc67ELc67EKPK16rocblas_bfloat16KPKfKPfEEvlllT_PT11_llSC_llSA_PT12_llPT13_lli
                                        ; -- End function
	.set _ZN12_GLOBAL__N_135rocblas_gemm_batched_general_kernelIfLi16ELi16ELi32ELi32ELi8ELi32ELi8ELi8ELi32ELc67ELc67EKPK16rocblas_bfloat16KPKfKPfEEvlllT_PT11_llSC_llSA_PT12_llPT13_lli.num_vgpr, 56
	.set _ZN12_GLOBAL__N_135rocblas_gemm_batched_general_kernelIfLi16ELi16ELi32ELi32ELi8ELi32ELi8ELi8ELi32ELc67ELc67EKPK16rocblas_bfloat16KPKfKPfEEvlllT_PT11_llSC_llSA_PT12_llPT13_lli.num_agpr, 0
	.set _ZN12_GLOBAL__N_135rocblas_gemm_batched_general_kernelIfLi16ELi16ELi32ELi32ELi8ELi32ELi8ELi8ELi32ELc67ELc67EKPK16rocblas_bfloat16KPKfKPfEEvlllT_PT11_llSC_llSA_PT12_llPT13_lli.numbered_sgpr, 42
	.set _ZN12_GLOBAL__N_135rocblas_gemm_batched_general_kernelIfLi16ELi16ELi32ELi32ELi8ELi32ELi8ELi8ELi32ELc67ELc67EKPK16rocblas_bfloat16KPKfKPfEEvlllT_PT11_llSC_llSA_PT12_llPT13_lli.num_named_barrier, 0
	.set _ZN12_GLOBAL__N_135rocblas_gemm_batched_general_kernelIfLi16ELi16ELi32ELi32ELi8ELi32ELi8ELi8ELi32ELc67ELc67EKPK16rocblas_bfloat16KPKfKPfEEvlllT_PT11_llSC_llSA_PT12_llPT13_lli.private_seg_size, 0
	.set _ZN12_GLOBAL__N_135rocblas_gemm_batched_general_kernelIfLi16ELi16ELi32ELi32ELi8ELi32ELi8ELi8ELi32ELc67ELc67EKPK16rocblas_bfloat16KPKfKPfEEvlllT_PT11_llSC_llSA_PT12_llPT13_lli.uses_vcc, 1
	.set _ZN12_GLOBAL__N_135rocblas_gemm_batched_general_kernelIfLi16ELi16ELi32ELi32ELi8ELi32ELi8ELi8ELi32ELc67ELc67EKPK16rocblas_bfloat16KPKfKPfEEvlllT_PT11_llSC_llSA_PT12_llPT13_lli.uses_flat_scratch, 0
	.set _ZN12_GLOBAL__N_135rocblas_gemm_batched_general_kernelIfLi16ELi16ELi32ELi32ELi8ELi32ELi8ELi8ELi32ELc67ELc67EKPK16rocblas_bfloat16KPKfKPfEEvlllT_PT11_llSC_llSA_PT12_llPT13_lli.has_dyn_sized_stack, 0
	.set _ZN12_GLOBAL__N_135rocblas_gemm_batched_general_kernelIfLi16ELi16ELi32ELi32ELi8ELi32ELi8ELi8ELi32ELc67ELc67EKPK16rocblas_bfloat16KPKfKPfEEvlllT_PT11_llSC_llSA_PT12_llPT13_lli.has_recursion, 0
	.set _ZN12_GLOBAL__N_135rocblas_gemm_batched_general_kernelIfLi16ELi16ELi32ELi32ELi8ELi32ELi8ELi8ELi32ELc67ELc67EKPK16rocblas_bfloat16KPKfKPfEEvlllT_PT11_llSC_llSA_PT12_llPT13_lli.has_indirect_call, 0
	.section	.AMDGPU.csdata,"",@progbits
; Kernel info:
; codeLenInByte = 1848
; TotalNumSgprs: 44
; NumVgprs: 56
; ScratchSize: 0
; MemoryBound: 0
; FloatMode: 240
; IeeeMode: 1
; LDSByteSize: 2048 bytes/workgroup (compile time only)
; SGPRBlocks: 0
; VGPRBlocks: 3
; NumSGPRsForWavesPerEU: 44
; NumVGPRsForWavesPerEU: 56
; NamedBarCnt: 0
; Occupancy: 16
; WaveLimiterHint : 1
; COMPUTE_PGM_RSRC2:SCRATCH_EN: 0
; COMPUTE_PGM_RSRC2:USER_SGPR: 2
; COMPUTE_PGM_RSRC2:TRAP_HANDLER: 0
; COMPUTE_PGM_RSRC2:TGID_X_EN: 1
; COMPUTE_PGM_RSRC2:TGID_Y_EN: 1
; COMPUTE_PGM_RSRC2:TGID_Z_EN: 1
; COMPUTE_PGM_RSRC2:TIDIG_COMP_CNT: 1
	.section	.text._ZN12_GLOBAL__N_135rocblas_gemm_batched_general_kernelIfLi16ELi16ELi32ELi32ELi8ELi32ELi8ELi8ELi32ELc67ELc78EKPK16rocblas_bfloat16KPKfKPfEEvlllT_PT11_llSC_llSA_PT12_llPT13_lli,"axG",@progbits,_ZN12_GLOBAL__N_135rocblas_gemm_batched_general_kernelIfLi16ELi16ELi32ELi32ELi8ELi32ELi8ELi8ELi32ELc67ELc78EKPK16rocblas_bfloat16KPKfKPfEEvlllT_PT11_llSC_llSA_PT12_llPT13_lli,comdat
	.globl	_ZN12_GLOBAL__N_135rocblas_gemm_batched_general_kernelIfLi16ELi16ELi32ELi32ELi8ELi32ELi8ELi8ELi32ELc67ELc78EKPK16rocblas_bfloat16KPKfKPfEEvlllT_PT11_llSC_llSA_PT12_llPT13_lli ; -- Begin function _ZN12_GLOBAL__N_135rocblas_gemm_batched_general_kernelIfLi16ELi16ELi32ELi32ELi8ELi32ELi8ELi8ELi32ELc67ELc78EKPK16rocblas_bfloat16KPKfKPfEEvlllT_PT11_llSC_llSA_PT12_llPT13_lli
	.p2align	8
	.type	_ZN12_GLOBAL__N_135rocblas_gemm_batched_general_kernelIfLi16ELi16ELi32ELi32ELi8ELi32ELi8ELi8ELi32ELc67ELc78EKPK16rocblas_bfloat16KPKfKPfEEvlllT_PT11_llSC_llSA_PT12_llPT13_lli,@function
_ZN12_GLOBAL__N_135rocblas_gemm_batched_general_kernelIfLi16ELi16ELi32ELi32ELi8ELi32ELi8ELi8ELi32ELc67ELc78EKPK16rocblas_bfloat16KPKfKPfEEvlllT_PT11_llSC_llSA_PT12_llPT13_lli: ; @_ZN12_GLOBAL__N_135rocblas_gemm_batched_general_kernelIfLi16ELi16ELi32ELi32ELi8ELi32ELi8ELi8ELi32ELc67ELc78EKPK16rocblas_bfloat16KPKfKPfEEvlllT_PT11_llSC_llSA_PT12_llPT13_lli
; %bb.0:
	s_load_b32 s33, s[0:1], 0x88
	s_bfe_u32 s2, ttmp6, 0x40014
	s_lshr_b32 s3, ttmp7, 16
	s_add_co_i32 s2, s2, 1
	s_bfe_u32 s5, ttmp6, 0x40008
	s_mul_i32 s4, s3, s2
	s_getreg_b32 s2, hwreg(HW_REG_IB_STS2, 6, 4)
	s_add_co_i32 s5, s5, s4
	s_cmp_eq_u32 s2, 0
	s_mov_b32 s35, 0
	s_cselect_b32 s34, s3, s5
	s_wait_kmcnt 0x0
	s_cmp_ge_i32 s34, s33
	s_cbranch_scc1 .LBB190_34
; %bb.1:
	v_bfe_u32 v10, v0, 10, 10
	v_and_b32_e32 v12, 0x3ff, v0
	s_bfe_u32 s16, ttmp6, 0x4000c
	s_bfe_u32 s17, ttmp6, 0x40010
	s_clause 0x3
	s_load_b128 s[4:7], s[0:1], 0x0
	s_load_b256 s[8:15], s[0:1], 0x20
	s_load_b128 s[24:27], s[0:1], 0x40
	s_load_b32 s41, s[0:1], 0x50
	s_add_co_i32 s16, s16, 1
	s_and_b32 s18, ttmp7, 0xffff
	s_add_co_i32 s17, s17, 1
	v_lshl_add_u32 v3, v10, 4, v12
	v_mov_b32_e32 v1, 0
	s_and_b32 s3, ttmp6, 15
	s_mul_i32 s16, ttmp9, s16
	s_mul_i32 s17, s18, s17
	s_bfe_u32 s19, ttmp6, 0x40004
	s_add_co_i32 s3, s3, s16
	s_add_co_i32 s19, s19, s17
	s_cmp_eq_u32 s2, 0
	v_dual_mov_b32 v7, v1 :: v_dual_lshrrev_b32 v6, 3, v3
	v_and_b32_e32 v8, 31, v3
	s_cselect_b32 s16, s18, s19
	s_cselect_b32 s2, ttmp9, s3
	s_lshl_b32 s42, s16, 5
	s_mov_b32 s43, s35
	s_ashr_i32 s3, s2, 31
	v_add_nc_u64_e32 v[14:15], s[42:43], v[6:7]
	s_clause 0x1
	s_load_b128 s[28:31], s[0:1], 0x78
	s_load_b256 s[16:23], s[0:1], 0x58
	s_lshl_b64 s[2:3], s[2:3], 5
	v_dual_mov_b32 v11, v1 :: v_dual_bitop2_b32 v2, 7, v0 bitop3:0x40
	v_dual_mov_b32 v5, s3 :: v_dual_bitop2_b32 v4, s2, v8 bitop3:0x54
	s_wait_kmcnt 0x0
	v_mul_u64_e32 v[16:17], s[24:25], v[14:15]
	s_delay_alu instid0(VALU_DEP_3)
	v_add_nc_u64_e32 v[20:21], s[42:43], v[10:11]
	v_dual_mov_b32 v13, v1 :: v_dual_lshrrev_b32 v0, 5, v3
	v_mul_u64_e32 v[18:19], s[10:11], v[4:5]
	v_dual_lshlrev_b32 v7, 2, v2 :: v_dual_mov_b32 v3, v1
	s_load_b96 s[36:38], s[0:1], 0x10
	s_wait_xcnt 0x0
	v_cmp_gt_i64_e64 s0, s[4:5], v[4:5]
	v_lshlrev_b32_e32 v11, 2, v8
	v_add_nc_u64_e32 v[4:5], s[2:3], v[12:13]
	v_lshl_or_b32 v13, v6, 5, v7
	v_cmp_gt_i64_e64 s1, s[6:7], v[14:15]
	v_mul_u64_e32 v[6:7], s[28:29], v[20:21]
	v_mul_u64_e32 v[8:9], s[18:19], v[20:21]
	s_cmp_eq_f32 s41, 0
	v_add_nc_u32_e32 v29, 0x400, v13
	v_add_nc_u64_e32 v[14:15], 16, v[4:5]
	v_lshlrev_b32_e32 v30, 2, v12
	s_cselect_b32 s24, -1, 0
	s_lshl_b64 s[10:11], s[26:27], 1
	v_lshl_add_u32 v31, v10, 5, 0x400
	v_cmp_gt_i64_e64 s3, s[4:5], v[4:5]
	v_cmp_gt_i64_e64 s2, s[6:7], v[20:21]
	;; [unrolled: 1-line block ×3, first 2 shown]
	v_lshlrev_b32_e32 v14, 1, v2
	v_lshl_or_b32 v28, v0, 7, v11
	v_add_nc_u64_e32 v[10:11], 16, v[20:21]
	v_mov_b32_e32 v15, v1
	s_wait_kmcnt 0x0
	v_cmp_gt_i64_e64 s25, s[36:37], 0
	s_mov_b32 s40, s38
	v_lshl_add_u64 v[12:13], v[16:17], 1, s[10:11]
	s_lshl_b64 s[10:11], s[12:13], 1
	v_cmp_gt_i64_e64 s5, s[6:7], v[10:11]
	s_lshl_b64 s[6:7], s[28:29], 4
	v_lshl_add_u64 v[16:17], v[18:19], 1, s[10:11]
	v_dual_mov_b32 v19, v1 :: v_dual_lshlrev_b32 v18, 1, v0
	v_add_nc_u64_e32 v[10:11], v[12:13], v[14:15]
	s_lshl_b64 s[10:11], s[18:19], 4
	s_lshl_b64 s[12:13], s[30:31], 2
	;; [unrolled: 1-line block ×3, first 2 shown]
	v_add_nc_u64_e32 v[12:13], v[16:17], v[18:19]
	s_branch .LBB190_4
.LBB190_2:                              ;   in Loop: Header=BB190_4 Depth=1
	s_wait_xcnt 0x0
	s_or_b32 exec_lo, exec_lo, s20
.LBB190_3:                              ;   in Loop: Header=BB190_4 Depth=1
	s_add_co_i32 s34, s34, 0x10000
	s_delay_alu instid0(SALU_CYCLE_1)
	s_cmp_lt_i32 s34, s33
	s_cbranch_scc0 .LBB190_34
.LBB190_4:                              ; =>This Loop Header: Depth=1
                                        ;     Child Loop BB190_7 Depth 2
	v_dual_mov_b32 v14, s34 :: v_dual_mov_b32 v19, 0
	v_dual_mov_b32 v18, 0 :: v_dual_mov_b32 v15, 0
	s_and_not1_b32 vcc_lo, exec_lo, s25
	s_clause 0x1
	global_load_b64 v[16:17], v14, s[16:17] scale_offset
	global_load_b64 v[20:21], v14, s[22:23] scale_offset
	s_wait_xcnt 0x0
	v_mov_b32_e32 v14, 0
	s_cbranch_vccnz .LBB190_11
; %bb.5:                                ;   in Loop: Header=BB190_4 Depth=1
	s_lshl_b64 s[20:21], s[34:35], 3
	v_mov_b32_e32 v18, 0
	s_add_nc_u64 s[26:27], s[14:15], s[20:21]
	s_add_nc_u64 s[20:21], s[8:9], s[20:21]
	s_clause 0x1
	global_load_b64 v[14:15], v1, s[26:27]
	global_load_b64 v[24:25], v1, s[20:21]
	s_wait_xcnt 0x0
	s_mov_b64 s[20:21], 0
	v_mov_b32_e32 v19, v18
	s_wait_loadcnt 0x1
	v_add_nc_u64_e32 v[22:23], v[14:15], v[10:11]
	s_wait_loadcnt 0x0
	v_add_nc_u64_e32 v[24:25], v[24:25], v[12:13]
	v_dual_mov_b32 v14, v18 :: v_dual_mov_b32 v15, v18
	s_branch .LBB190_7
.LBB190_6:                              ;   in Loop: Header=BB190_7 Depth=2
	s_wait_xcnt 0x0
	s_or_b32 exec_lo, exec_lo, s26
	ds_store_b32 v29, v27
	s_wait_dscnt 0x0
	s_barrier_signal -1
	s_barrier_wait -1
	ds_load_b128 v[32:35], v31
	ds_load_2addr_b32 v[26:27], v30 offset1:16
	ds_load_b128 v[36:39], v31 offset:512
	ds_load_2addr_b32 v[48:49], v30 offset0:32 offset1:48
	ds_load_2addr_b32 v[50:51], v30 offset0:64 offset1:80
	;; [unrolled: 1-line block ×3, first 2 shown]
	ds_load_b128 v[40:43], v31 offset:16
	ds_load_2addr_b32 v[54:55], v30 offset0:128 offset1:144
	ds_load_b128 v[44:47], v31 offset:528
	s_add_nc_u64 s[20:21], s[20:21], 8
	v_add_nc_u64_e32 v[22:23], 16, v[22:23]
	v_cmp_lt_i64_e64 s26, s[20:21], s[36:37]
	v_add_nc_u64_e32 v[24:25], 16, v[24:25]
	s_and_b32 vcc_lo, exec_lo, s26
	s_wait_dscnt 0x7
	v_pk_fma_f32 v[18:19], v[26:27], v[32:33], v[18:19] op_sel_hi:[1,0,1]
	s_wait_dscnt 0x6
	v_pk_fma_f32 v[14:15], v[26:27], v[36:37], v[14:15] op_sel_hi:[1,0,1]
	ds_load_2addr_b32 v[26:27], v30 offset0:160 offset1:176
	s_wait_dscnt 0x6
	v_pk_fma_f32 v[18:19], v[48:49], v[32:33], v[18:19] op_sel:[0,1,0]
	v_pk_fma_f32 v[14:15], v[48:49], v[36:37], v[14:15] op_sel:[0,1,0]
	ds_load_2addr_b32 v[32:33], v30 offset0:192 offset1:208
	v_dual_mov_b32 v36, v35 :: v_dual_mov_b32 v48, v39
	s_wait_dscnt 0x6
	v_pk_fma_f32 v[18:19], v[50:51], v[34:35], v[18:19] op_sel_hi:[1,0,1]
	v_pk_fma_f32 v[14:15], v[50:51], v[38:39], v[14:15] op_sel_hi:[1,0,1]
	ds_load_2addr_b32 v[34:35], v30 offset0:224 offset1:240
	s_wait_dscnt 0x0
	s_barrier_signal -1
	v_pk_fma_f32 v[18:19], v[52:53], v[36:37], v[18:19] op_sel_hi:[1,0,1]
	v_pk_fma_f32 v[14:15], v[52:53], v[48:49], v[14:15] op_sel_hi:[1,0,1]
	s_barrier_wait -1
	v_mov_b32_e32 v36, v47
	s_delay_alu instid0(VALU_DEP_3) | instskip(NEXT) | instid1(VALU_DEP_3)
	v_pk_fma_f32 v[18:19], v[54:55], v[40:41], v[18:19] op_sel_hi:[1,0,1]
	v_pk_fma_f32 v[14:15], v[54:55], v[44:45], v[14:15] op_sel_hi:[1,0,1]
	s_delay_alu instid0(VALU_DEP_2) | instskip(NEXT) | instid1(VALU_DEP_2)
	v_pk_fma_f32 v[18:19], v[26:27], v[40:41], v[18:19] op_sel:[0,1,0]
	v_pk_fma_f32 v[14:15], v[26:27], v[44:45], v[14:15] op_sel:[0,1,0]
	v_mov_b32_e32 v26, v43
	s_delay_alu instid0(VALU_DEP_3) | instskip(NEXT) | instid1(VALU_DEP_3)
	v_pk_fma_f32 v[18:19], v[32:33], v[42:43], v[18:19] op_sel_hi:[1,0,1]
	v_pk_fma_f32 v[14:15], v[32:33], v[46:47], v[14:15] op_sel_hi:[1,0,1]
	s_delay_alu instid0(VALU_DEP_2) | instskip(NEXT) | instid1(VALU_DEP_2)
	v_pk_fma_f32 v[18:19], v[34:35], v[26:27], v[18:19] op_sel_hi:[1,0,1]
	v_pk_fma_f32 v[14:15], v[34:35], v[36:37], v[14:15] op_sel_hi:[1,0,1]
	s_cbranch_vccz .LBB190_11
.LBB190_7:                              ;   Parent Loop BB190_4 Depth=1
                                        ; =>  This Inner Loop Header: Depth=2
	v_add_nc_u64_e32 v[26:27], s[20:21], v[0:1]
	s_delay_alu instid0(VALU_DEP_1) | instskip(SKIP_2) | instid1(SALU_CYCLE_1)
	v_cmp_gt_i64_e32 vcc_lo, s[36:37], v[26:27]
	v_mov_b32_e32 v26, 0
	s_and_b32 s27, s0, vcc_lo
	s_and_saveexec_b32 s26, s27
	s_cbranch_execz .LBB190_9
; %bb.8:                                ;   in Loop: Header=BB190_7 Depth=2
	flat_load_u16 v26, v[24:25]
	s_wait_loadcnt_dscnt 0x0
	v_lshlrev_b32_e32 v26, 16, v26
.LBB190_9:                              ;   in Loop: Header=BB190_7 Depth=2
	s_wait_xcnt 0x0
	s_or_b32 exec_lo, exec_lo, s26
	v_add_nc_u64_e32 v[32:33], s[20:21], v[2:3]
	v_mov_b32_e32 v27, 0
	ds_store_b32 v28, v26
	v_cmp_gt_i64_e32 vcc_lo, s[36:37], v[32:33]
	s_and_b32 s27, vcc_lo, s1
	s_delay_alu instid0(SALU_CYCLE_1)
	s_and_saveexec_b32 s26, s27
	s_cbranch_execz .LBB190_6
; %bb.10:                               ;   in Loop: Header=BB190_7 Depth=2
	flat_load_u16 v26, v[22:23]
	s_wait_loadcnt_dscnt 0x0
	v_lshlrev_b32_e32 v27, 16, v26
	s_branch .LBB190_6
.LBB190_11:                             ;   in Loop: Header=BB190_4 Depth=1
	s_wait_loadcnt 0x0
	v_add_nc_u64_e32 v[20:21], s[12:13], v[20:21]
	s_and_not1_b32 vcc_lo, exec_lo, s24
	s_cbranch_vccnz .LBB190_16
; %bb.12:                               ;   in Loop: Header=BB190_4 Depth=1
	s_and_saveexec_b32 s20, s2
	s_cbranch_execz .LBB190_23
; %bb.13:                               ;   in Loop: Header=BB190_4 Depth=1
	s_delay_alu instid0(VALU_DEP_1) | instskip(NEXT) | instid1(VALU_DEP_1)
	v_lshl_add_u64 v[22:23], v[6:7], 2, v[20:21]
	v_lshl_add_u64 v[24:25], v[4:5], 2, v[22:23]
	s_and_saveexec_b32 s21, s3
	s_cbranch_execnz .LBB190_17
; %bb.14:                               ;   in Loop: Header=BB190_4 Depth=1
	s_or_b32 exec_lo, exec_lo, s21
	s_and_saveexec_b32 s21, s4
	s_cbranch_execnz .LBB190_18
.LBB190_15:                             ;   in Loop: Header=BB190_4 Depth=1
	s_or_b32 exec_lo, exec_lo, s21
	s_delay_alu instid0(SALU_CYCLE_1)
	s_and_b32 exec_lo, exec_lo, s5
	s_cbranch_execnz .LBB190_19
	s_branch .LBB190_23
.LBB190_16:                             ;   in Loop: Header=BB190_4 Depth=1
	s_branch .LBB190_24
.LBB190_17:                             ;   in Loop: Header=BB190_4 Depth=1
	v_mul_f32_e32 v26, s38, v18
	flat_store_b32 v[24:25], v26
	s_wait_xcnt 0x0
	s_or_b32 exec_lo, exec_lo, s21
	s_and_saveexec_b32 s21, s4
	s_cbranch_execz .LBB190_15
.LBB190_18:                             ;   in Loop: Header=BB190_4 Depth=1
	v_mul_f32_e32 v26, s38, v19
	flat_store_b32 v[24:25], v26 offset:64
	s_wait_xcnt 0x0
	s_or_b32 exec_lo, exec_lo, s21
	s_delay_alu instid0(SALU_CYCLE_1)
	s_and_b32 exec_lo, exec_lo, s5
	s_cbranch_execz .LBB190_23
.LBB190_19:                             ;   in Loop: Header=BB190_4 Depth=1
	v_lshl_add_u64 v[22:23], s[6:7], 2, v[22:23]
	s_delay_alu instid0(VALU_DEP_1)
	v_lshl_add_u64 v[22:23], v[4:5], 2, v[22:23]
	s_and_saveexec_b32 s21, s3
	s_cbranch_execz .LBB190_21
; %bb.20:                               ;   in Loop: Header=BB190_4 Depth=1
	v_mul_f32_e32 v24, s38, v14
	flat_store_b32 v[22:23], v24
.LBB190_21:                             ;   in Loop: Header=BB190_4 Depth=1
	s_wait_xcnt 0x0
	s_or_b32 exec_lo, exec_lo, s21
	s_delay_alu instid0(SALU_CYCLE_1)
	s_and_b32 exec_lo, exec_lo, s4
	s_cbranch_execz .LBB190_23
; %bb.22:                               ;   in Loop: Header=BB190_4 Depth=1
	v_mul_f32_e32 v24, s38, v15
	flat_store_b32 v[22:23], v24 offset:64
.LBB190_23:                             ;   in Loop: Header=BB190_4 Depth=1
	s_wait_xcnt 0x0
	s_or_b32 exec_lo, exec_lo, s20
	s_cbranch_execnz .LBB190_3
.LBB190_24:                             ;   in Loop: Header=BB190_4 Depth=1
	s_and_saveexec_b32 s20, s2
	s_cbranch_execz .LBB190_2
; %bb.25:                               ;   in Loop: Header=BB190_4 Depth=1
	v_add_nc_u64_e32 v[22:23], s[18:19], v[16:17]
	v_lshlrev_b64_e32 v[16:17], 2, v[4:5]
	v_lshl_add_u64 v[20:21], v[6:7], 2, v[20:21]
	s_delay_alu instid0(VALU_DEP_3) | instskip(NEXT) | instid1(VALU_DEP_2)
	v_lshl_add_u64 v[22:23], v[8:9], 2, v[22:23]
	v_add_nc_u64_e32 v[24:25], v[20:21], v[16:17]
	s_delay_alu instid0(VALU_DEP_2)
	v_add_nc_u64_e32 v[26:27], v[22:23], v[16:17]
	s_and_saveexec_b32 s21, s3
	s_cbranch_execnz .LBB190_28
; %bb.26:                               ;   in Loop: Header=BB190_4 Depth=1
	s_or_b32 exec_lo, exec_lo, s21
	s_and_saveexec_b32 s21, s4
	s_cbranch_execnz .LBB190_29
.LBB190_27:                             ;   in Loop: Header=BB190_4 Depth=1
	s_or_b32 exec_lo, exec_lo, s21
	s_delay_alu instid0(SALU_CYCLE_1)
	s_and_b32 exec_lo, exec_lo, s5
	s_cbranch_execz .LBB190_2
	s_branch .LBB190_30
.LBB190_28:                             ;   in Loop: Header=BB190_4 Depth=1
	flat_load_b32 v33, v[26:27]
	v_mov_b64_e32 v[34:35], s[40:41]
	v_mov_b32_e32 v32, v18
	s_wait_loadcnt_dscnt 0x0
	s_delay_alu instid0(VALU_DEP_1) | instskip(NEXT) | instid1(VALU_DEP_1)
	v_pk_mul_f32 v[32:33], v[34:35], v[32:33]
	v_add_f32_e32 v18, v32, v33
	flat_store_b32 v[24:25], v18
	s_wait_xcnt 0x0
	s_or_b32 exec_lo, exec_lo, s21
	s_and_saveexec_b32 s21, s4
	s_cbranch_execz .LBB190_27
.LBB190_29:                             ;   in Loop: Header=BB190_4 Depth=1
	flat_load_b32 v27, v[26:27] offset:64
	s_wait_xcnt 0x0
	v_mov_b32_e32 v26, v19
	v_mov_b64_e32 v[18:19], s[40:41]
	s_wait_loadcnt_dscnt 0x0
	s_delay_alu instid0(VALU_DEP_1) | instskip(NEXT) | instid1(VALU_DEP_1)
	v_pk_mul_f32 v[18:19], v[18:19], v[26:27]
	v_add_f32_e32 v18, v18, v19
	flat_store_b32 v[24:25], v18 offset:64
	s_wait_xcnt 0x0
	s_or_b32 exec_lo, exec_lo, s21
	s_delay_alu instid0(SALU_CYCLE_1)
	s_and_b32 exec_lo, exec_lo, s5
	s_cbranch_execz .LBB190_2
.LBB190_30:                             ;   in Loop: Header=BB190_4 Depth=1
	v_lshl_add_u64 v[18:19], s[10:11], 2, v[22:23]
	v_lshl_add_u64 v[20:21], s[6:7], 2, v[20:21]
	s_delay_alu instid0(VALU_DEP_2) | instskip(NEXT) | instid1(VALU_DEP_2)
	v_add_nc_u64_e32 v[18:19], v[18:19], v[16:17]
	v_add_nc_u64_e32 v[16:17], v[20:21], v[16:17]
	s_and_saveexec_b32 s21, s3
	s_cbranch_execz .LBB190_32
; %bb.31:                               ;   in Loop: Header=BB190_4 Depth=1
	flat_load_b32 v21, v[18:19]
	v_mov_b64_e32 v[22:23], s[40:41]
	v_mov_b32_e32 v20, v14
	s_wait_loadcnt_dscnt 0x0
	s_delay_alu instid0(VALU_DEP_1) | instskip(NEXT) | instid1(VALU_DEP_1)
	v_pk_mul_f32 v[20:21], v[22:23], v[20:21]
	v_add_f32_e32 v14, v20, v21
	flat_store_b32 v[16:17], v14
.LBB190_32:                             ;   in Loop: Header=BB190_4 Depth=1
	s_wait_xcnt 0x0
	s_or_b32 exec_lo, exec_lo, s21
	s_delay_alu instid0(SALU_CYCLE_1)
	s_and_b32 exec_lo, exec_lo, s4
	s_cbranch_execz .LBB190_2
; %bb.33:                               ;   in Loop: Header=BB190_4 Depth=1
	flat_load_b32 v19, v[18:19] offset:64
	s_wait_xcnt 0x0
	v_mov_b32_e32 v18, v15
	v_mov_b64_e32 v[14:15], s[40:41]
	s_wait_loadcnt_dscnt 0x0
	s_delay_alu instid0(VALU_DEP_1) | instskip(NEXT) | instid1(VALU_DEP_1)
	v_pk_mul_f32 v[14:15], v[14:15], v[18:19]
	v_add_f32_e32 v14, v14, v15
	flat_store_b32 v[16:17], v14 offset:64
	s_branch .LBB190_2
.LBB190_34:
	s_endpgm
	.section	.rodata,"a",@progbits
	.p2align	6, 0x0
	.amdhsa_kernel _ZN12_GLOBAL__N_135rocblas_gemm_batched_general_kernelIfLi16ELi16ELi32ELi32ELi8ELi32ELi8ELi8ELi32ELc67ELc78EKPK16rocblas_bfloat16KPKfKPfEEvlllT_PT11_llSC_llSA_PT12_llPT13_lli
		.amdhsa_group_segment_fixed_size 2048
		.amdhsa_private_segment_fixed_size 0
		.amdhsa_kernarg_size 140
		.amdhsa_user_sgpr_count 2
		.amdhsa_user_sgpr_dispatch_ptr 0
		.amdhsa_user_sgpr_queue_ptr 0
		.amdhsa_user_sgpr_kernarg_segment_ptr 1
		.amdhsa_user_sgpr_dispatch_id 0
		.amdhsa_user_sgpr_kernarg_preload_length 0
		.amdhsa_user_sgpr_kernarg_preload_offset 0
		.amdhsa_user_sgpr_private_segment_size 0
		.amdhsa_wavefront_size32 1
		.amdhsa_uses_dynamic_stack 0
		.amdhsa_enable_private_segment 0
		.amdhsa_system_sgpr_workgroup_id_x 1
		.amdhsa_system_sgpr_workgroup_id_y 1
		.amdhsa_system_sgpr_workgroup_id_z 1
		.amdhsa_system_sgpr_workgroup_info 0
		.amdhsa_system_vgpr_workitem_id 1
		.amdhsa_next_free_vgpr 56
		.amdhsa_next_free_sgpr 44
		.amdhsa_named_barrier_count 0
		.amdhsa_reserve_vcc 1
		.amdhsa_float_round_mode_32 0
		.amdhsa_float_round_mode_16_64 0
		.amdhsa_float_denorm_mode_32 3
		.amdhsa_float_denorm_mode_16_64 3
		.amdhsa_fp16_overflow 0
		.amdhsa_memory_ordered 1
		.amdhsa_forward_progress 1
		.amdhsa_inst_pref_size 15
		.amdhsa_round_robin_scheduling 0
		.amdhsa_exception_fp_ieee_invalid_op 0
		.amdhsa_exception_fp_denorm_src 0
		.amdhsa_exception_fp_ieee_div_zero 0
		.amdhsa_exception_fp_ieee_overflow 0
		.amdhsa_exception_fp_ieee_underflow 0
		.amdhsa_exception_fp_ieee_inexact 0
		.amdhsa_exception_int_div_zero 0
	.end_amdhsa_kernel
	.section	.text._ZN12_GLOBAL__N_135rocblas_gemm_batched_general_kernelIfLi16ELi16ELi32ELi32ELi8ELi32ELi8ELi8ELi32ELc67ELc78EKPK16rocblas_bfloat16KPKfKPfEEvlllT_PT11_llSC_llSA_PT12_llPT13_lli,"axG",@progbits,_ZN12_GLOBAL__N_135rocblas_gemm_batched_general_kernelIfLi16ELi16ELi32ELi32ELi8ELi32ELi8ELi8ELi32ELc67ELc78EKPK16rocblas_bfloat16KPKfKPfEEvlllT_PT11_llSC_llSA_PT12_llPT13_lli,comdat
.Lfunc_end190:
	.size	_ZN12_GLOBAL__N_135rocblas_gemm_batched_general_kernelIfLi16ELi16ELi32ELi32ELi8ELi32ELi8ELi8ELi32ELc67ELc78EKPK16rocblas_bfloat16KPKfKPfEEvlllT_PT11_llSC_llSA_PT12_llPT13_lli, .Lfunc_end190-_ZN12_GLOBAL__N_135rocblas_gemm_batched_general_kernelIfLi16ELi16ELi32ELi32ELi8ELi32ELi8ELi8ELi32ELc67ELc78EKPK16rocblas_bfloat16KPKfKPfEEvlllT_PT11_llSC_llSA_PT12_llPT13_lli
                                        ; -- End function
	.set _ZN12_GLOBAL__N_135rocblas_gemm_batched_general_kernelIfLi16ELi16ELi32ELi32ELi8ELi32ELi8ELi8ELi32ELc67ELc78EKPK16rocblas_bfloat16KPKfKPfEEvlllT_PT11_llSC_llSA_PT12_llPT13_lli.num_vgpr, 56
	.set _ZN12_GLOBAL__N_135rocblas_gemm_batched_general_kernelIfLi16ELi16ELi32ELi32ELi8ELi32ELi8ELi8ELi32ELc67ELc78EKPK16rocblas_bfloat16KPKfKPfEEvlllT_PT11_llSC_llSA_PT12_llPT13_lli.num_agpr, 0
	.set _ZN12_GLOBAL__N_135rocblas_gemm_batched_general_kernelIfLi16ELi16ELi32ELi32ELi8ELi32ELi8ELi8ELi32ELc67ELc78EKPK16rocblas_bfloat16KPKfKPfEEvlllT_PT11_llSC_llSA_PT12_llPT13_lli.numbered_sgpr, 44
	.set _ZN12_GLOBAL__N_135rocblas_gemm_batched_general_kernelIfLi16ELi16ELi32ELi32ELi8ELi32ELi8ELi8ELi32ELc67ELc78EKPK16rocblas_bfloat16KPKfKPfEEvlllT_PT11_llSC_llSA_PT12_llPT13_lli.num_named_barrier, 0
	.set _ZN12_GLOBAL__N_135rocblas_gemm_batched_general_kernelIfLi16ELi16ELi32ELi32ELi8ELi32ELi8ELi8ELi32ELc67ELc78EKPK16rocblas_bfloat16KPKfKPfEEvlllT_PT11_llSC_llSA_PT12_llPT13_lli.private_seg_size, 0
	.set _ZN12_GLOBAL__N_135rocblas_gemm_batched_general_kernelIfLi16ELi16ELi32ELi32ELi8ELi32ELi8ELi8ELi32ELc67ELc78EKPK16rocblas_bfloat16KPKfKPfEEvlllT_PT11_llSC_llSA_PT12_llPT13_lli.uses_vcc, 1
	.set _ZN12_GLOBAL__N_135rocblas_gemm_batched_general_kernelIfLi16ELi16ELi32ELi32ELi8ELi32ELi8ELi8ELi32ELc67ELc78EKPK16rocblas_bfloat16KPKfKPfEEvlllT_PT11_llSC_llSA_PT12_llPT13_lli.uses_flat_scratch, 0
	.set _ZN12_GLOBAL__N_135rocblas_gemm_batched_general_kernelIfLi16ELi16ELi32ELi32ELi8ELi32ELi8ELi8ELi32ELc67ELc78EKPK16rocblas_bfloat16KPKfKPfEEvlllT_PT11_llSC_llSA_PT12_llPT13_lli.has_dyn_sized_stack, 0
	.set _ZN12_GLOBAL__N_135rocblas_gemm_batched_general_kernelIfLi16ELi16ELi32ELi32ELi8ELi32ELi8ELi8ELi32ELc67ELc78EKPK16rocblas_bfloat16KPKfKPfEEvlllT_PT11_llSC_llSA_PT12_llPT13_lli.has_recursion, 0
	.set _ZN12_GLOBAL__N_135rocblas_gemm_batched_general_kernelIfLi16ELi16ELi32ELi32ELi8ELi32ELi8ELi8ELi32ELc67ELc78EKPK16rocblas_bfloat16KPKfKPfEEvlllT_PT11_llSC_llSA_PT12_llPT13_lli.has_indirect_call, 0
	.section	.AMDGPU.csdata,"",@progbits
; Kernel info:
; codeLenInByte = 1820
; TotalNumSgprs: 46
; NumVgprs: 56
; ScratchSize: 0
; MemoryBound: 0
; FloatMode: 240
; IeeeMode: 1
; LDSByteSize: 2048 bytes/workgroup (compile time only)
; SGPRBlocks: 0
; VGPRBlocks: 3
; NumSGPRsForWavesPerEU: 46
; NumVGPRsForWavesPerEU: 56
; NamedBarCnt: 0
; Occupancy: 16
; WaveLimiterHint : 1
; COMPUTE_PGM_RSRC2:SCRATCH_EN: 0
; COMPUTE_PGM_RSRC2:USER_SGPR: 2
; COMPUTE_PGM_RSRC2:TRAP_HANDLER: 0
; COMPUTE_PGM_RSRC2:TGID_X_EN: 1
; COMPUTE_PGM_RSRC2:TGID_Y_EN: 1
; COMPUTE_PGM_RSRC2:TGID_Z_EN: 1
; COMPUTE_PGM_RSRC2:TIDIG_COMP_CNT: 1
	.section	.text._ZN12_GLOBAL__N_135rocblas_gemm_batched_general_kernelIfLi16ELi16ELi32ELi32ELi8ELi32ELi8ELi8ELi32ELc67ELc84EKPK16rocblas_bfloat16KPKfKPfEEvlllT_PT11_llSC_llSA_PT12_llPT13_lli,"axG",@progbits,_ZN12_GLOBAL__N_135rocblas_gemm_batched_general_kernelIfLi16ELi16ELi32ELi32ELi8ELi32ELi8ELi8ELi32ELc67ELc84EKPK16rocblas_bfloat16KPKfKPfEEvlllT_PT11_llSC_llSA_PT12_llPT13_lli,comdat
	.globl	_ZN12_GLOBAL__N_135rocblas_gemm_batched_general_kernelIfLi16ELi16ELi32ELi32ELi8ELi32ELi8ELi8ELi32ELc67ELc84EKPK16rocblas_bfloat16KPKfKPfEEvlllT_PT11_llSC_llSA_PT12_llPT13_lli ; -- Begin function _ZN12_GLOBAL__N_135rocblas_gemm_batched_general_kernelIfLi16ELi16ELi32ELi32ELi8ELi32ELi8ELi8ELi32ELc67ELc84EKPK16rocblas_bfloat16KPKfKPfEEvlllT_PT11_llSC_llSA_PT12_llPT13_lli
	.p2align	8
	.type	_ZN12_GLOBAL__N_135rocblas_gemm_batched_general_kernelIfLi16ELi16ELi32ELi32ELi8ELi32ELi8ELi8ELi32ELc67ELc84EKPK16rocblas_bfloat16KPKfKPfEEvlllT_PT11_llSC_llSA_PT12_llPT13_lli,@function
_ZN12_GLOBAL__N_135rocblas_gemm_batched_general_kernelIfLi16ELi16ELi32ELi32ELi8ELi32ELi8ELi8ELi32ELc67ELc84EKPK16rocblas_bfloat16KPKfKPfEEvlllT_PT11_llSC_llSA_PT12_llPT13_lli: ; @_ZN12_GLOBAL__N_135rocblas_gemm_batched_general_kernelIfLi16ELi16ELi32ELi32ELi8ELi32ELi8ELi8ELi32ELc67ELc84EKPK16rocblas_bfloat16KPKfKPfEEvlllT_PT11_llSC_llSA_PT12_llPT13_lli
; %bb.0:
	s_load_b32 s33, s[0:1], 0x88
	s_bfe_u32 s2, ttmp6, 0x40014
	s_lshr_b32 s3, ttmp7, 16
	s_add_co_i32 s2, s2, 1
	s_bfe_u32 s5, ttmp6, 0x40008
	s_mul_i32 s4, s3, s2
	s_getreg_b32 s2, hwreg(HW_REG_IB_STS2, 6, 4)
	s_add_co_i32 s5, s5, s4
	s_cmp_eq_u32 s2, 0
	s_mov_b32 s35, 0
	s_cselect_b32 s34, s3, s5
	s_wait_kmcnt 0x0
	s_cmp_ge_i32 s34, s33
	s_cbranch_scc1 .LBB191_34
; %bb.1:
	v_bfe_u32 v10, v0, 10, 10
	v_and_b32_e32 v12, 0x3ff, v0
	s_clause 0x6
	s_load_b128 s[4:7], s[0:1], 0x0
	s_load_b96 s[36:38], s[0:1], 0x10
	s_load_b256 s[8:15], s[0:1], 0x20
	s_load_b128 s[24:27], s[0:1], 0x40
	s_load_b32 s41, s[0:1], 0x50
	s_load_b128 s[28:31], s[0:1], 0x78
	s_load_b256 s[16:23], s[0:1], 0x58
	s_wait_xcnt 0x0
	s_bfe_u32 s0, ttmp6, 0x4000c
	s_bfe_u32 s3, ttmp6, 0x40010
	s_add_co_i32 s0, s0, 1
	s_and_b32 s39, ttmp7, 0xffff
	s_add_co_i32 s3, s3, 1
	s_and_b32 s1, ttmp6, 15
	s_mul_i32 s0, ttmp9, s0
	s_mul_i32 s3, s39, s3
	s_bfe_u32 s40, ttmp6, 0x40004
	v_lshl_add_u32 v6, v10, 4, v12
	s_add_co_i32 s1, s1, s0
	s_add_co_i32 s40, s40, s3
	s_cmp_eq_u32 s2, 0
	s_delay_alu instid0(VALU_DEP_1) | instskip(SKIP_3) | instid1(VALU_DEP_1)
	v_dual_mov_b32 v1, 0 :: v_dual_bitop2_b32 v8, 31, v6 bitop3:0x40
	s_cselect_b32 s0, ttmp9, s1
	s_cselect_b32 s40, s39, s40
	s_ashr_i32 s1, s0, 31
	v_dual_mov_b32 v11, v1 :: v_dual_bitop2_b32 v2, 7, v0 bitop3:0x40
	s_lshl_b64 s[2:3], s[0:1], 5
	v_dual_mov_b32 v3, v1 :: v_dual_lshrrev_b32 v14, 3, v6
	v_dual_mov_b32 v15, v1 :: v_dual_bitop2_b32 v4, s2, v8 bitop3:0x54
	s_delay_alu instid0(VALU_DEP_3) | instskip(SKIP_1) | instid1(VALU_DEP_3)
	v_dual_mov_b32 v5, s3 :: v_dual_lshlrev_b32 v9, 2, v2
	s_wait_kmcnt 0x0
	v_mul_u64_e32 v[16:17], s[24:25], v[2:3]
	s_lshl_b32 s0, s40, 5
	s_mov_b32 s1, s35
	v_mul_u64_e32 v[18:19], s[10:11], v[4:5]
	v_dual_lshrrev_b32 v0, 5, v6 :: v_dual_lshlrev_b32 v8, 2, v8
	v_add_nc_u64_e32 v[6:7], s[0:1], v[14:15]
	v_add_nc_u64_e32 v[20:21], s[0:1], v[10:11]
	v_lshl_or_b32 v9, v14, 5, v9
	v_dual_mov_b32 v13, v1 :: v_dual_lshlrev_b32 v30, 2, v12
	v_lshl_or_b32 v28, v0, 7, v8
	v_cmp_gt_i64_e64 s0, s[4:5], v[4:5]
	v_cmp_gt_i64_e64 s1, s[6:7], v[6:7]
	v_add_nc_u32_e32 v29, 0x400, v9
	v_mul_u64_e32 v[6:7], s[28:29], v[20:21]
	v_mul_u64_e32 v[8:9], s[18:19], v[20:21]
	v_add_nc_u64_e32 v[4:5], s[2:3], v[12:13]
	v_lshl_add_u32 v31, v10, 5, 0x400
	v_add_nc_u64_e32 v[12:13], 16, v[20:21]
	s_cmp_eq_f32 s41, 0
	s_mov_b32 s11, s35
	v_cmp_gt_i64_e64 s2, s[6:7], v[20:21]
	s_delay_alu instid0(VALU_DEP_4)
	v_add_nc_u64_e32 v[10:11], 16, v[4:5]
	s_cselect_b32 s39, -1, 0
	s_lshl_b32 s10, s40, 6
	s_lshl_b64 s[26:27], s[26:27], 1
	v_cmp_gt_i64_e64 s3, s[4:5], v[4:5]
	s_add_nc_u64 s[10:11], s[26:27], s[10:11]
	v_cmp_gt_i64_e64 s26, s[36:37], 0
	v_cmp_gt_i64_e64 s4, s[4:5], v[10:11]
	;; [unrolled: 1-line block ×3, first 2 shown]
	s_lshl_b64 s[6:7], s[12:13], 1
	v_lshl_add_u64 v[10:11], v[16:17], 1, s[10:11]
	v_dual_mov_b32 v13, v1 :: v_dual_lshlrev_b32 v12, 1, v14
	v_lshl_add_u64 v[14:15], v[18:19], 1, s[6:7]
	v_dual_mov_b32 v17, v1 :: v_dual_lshlrev_b32 v16, 1, v0
	s_lshl_b64 s[6:7], s[28:29], 4
	s_delay_alu instid0(VALU_DEP_3)
	v_add_nc_u64_e32 v[10:11], v[10:11], v[12:13]
	s_mov_b32 s40, s38
	s_lshl_b64 s[10:11], s[18:19], 4
	v_add_nc_u64_e32 v[12:13], v[14:15], v[16:17]
	s_lshl_b64 s[12:13], s[24:25], 4
	s_lshl_b64 s[18:19], s[30:31], 2
	;; [unrolled: 1-line block ×3, first 2 shown]
	s_branch .LBB191_4
.LBB191_2:                              ;   in Loop: Header=BB191_4 Depth=1
	s_wait_xcnt 0x0
	s_or_b32 exec_lo, exec_lo, s24
.LBB191_3:                              ;   in Loop: Header=BB191_4 Depth=1
	s_add_co_i32 s34, s34, 0x10000
	s_delay_alu instid0(SALU_CYCLE_1)
	s_cmp_lt_i32 s34, s33
	s_cbranch_scc0 .LBB191_34
.LBB191_4:                              ; =>This Loop Header: Depth=1
                                        ;     Child Loop BB191_7 Depth 2
	v_dual_mov_b32 v14, s34 :: v_dual_mov_b32 v19, 0
	v_dual_mov_b32 v18, 0 :: v_dual_mov_b32 v15, 0
	s_and_not1_b32 vcc_lo, exec_lo, s26
	s_clause 0x1
	global_load_b64 v[16:17], v14, s[16:17] scale_offset
	global_load_b64 v[20:21], v14, s[22:23] scale_offset
	s_wait_xcnt 0x0
	v_mov_b32_e32 v14, 0
	s_cbranch_vccnz .LBB191_11
; %bb.5:                                ;   in Loop: Header=BB191_4 Depth=1
	s_lshl_b64 s[24:25], s[34:35], 3
	v_mov_b32_e32 v18, 0
	s_add_nc_u64 s[28:29], s[14:15], s[24:25]
	s_add_nc_u64 s[24:25], s[8:9], s[24:25]
	s_clause 0x1
	global_load_b64 v[14:15], v1, s[28:29]
	global_load_b64 v[24:25], v1, s[24:25]
	s_wait_xcnt 0x0
	s_mov_b64 s[24:25], 0
	v_mov_b32_e32 v19, v18
	s_wait_loadcnt 0x1
	v_add_nc_u64_e32 v[22:23], v[14:15], v[10:11]
	s_wait_loadcnt 0x0
	v_add_nc_u64_e32 v[24:25], v[24:25], v[12:13]
	v_dual_mov_b32 v14, v18 :: v_dual_mov_b32 v15, v18
	s_branch .LBB191_7
.LBB191_6:                              ;   in Loop: Header=BB191_7 Depth=2
	s_wait_xcnt 0x0
	s_or_b32 exec_lo, exec_lo, s27
	ds_store_b32 v29, v27
	s_wait_dscnt 0x0
	s_barrier_signal -1
	s_barrier_wait -1
	ds_load_b128 v[32:35], v31
	ds_load_2addr_b32 v[26:27], v30 offset1:16
	ds_load_b128 v[36:39], v31 offset:512
	ds_load_2addr_b32 v[48:49], v30 offset0:32 offset1:48
	ds_load_2addr_b32 v[50:51], v30 offset0:64 offset1:80
	;; [unrolled: 1-line block ×3, first 2 shown]
	ds_load_b128 v[40:43], v31 offset:16
	ds_load_2addr_b32 v[54:55], v30 offset0:128 offset1:144
	ds_load_b128 v[44:47], v31 offset:528
	s_add_nc_u64 s[24:25], s[24:25], 8
	v_add_nc_u64_e32 v[22:23], s[12:13], v[22:23]
	v_cmp_lt_i64_e64 s27, s[24:25], s[36:37]
	v_add_nc_u64_e32 v[24:25], 16, v[24:25]
	s_and_b32 vcc_lo, exec_lo, s27
	s_wait_dscnt 0x7
	v_pk_fma_f32 v[18:19], v[26:27], v[32:33], v[18:19] op_sel_hi:[1,0,1]
	s_wait_dscnt 0x6
	v_pk_fma_f32 v[14:15], v[26:27], v[36:37], v[14:15] op_sel_hi:[1,0,1]
	ds_load_2addr_b32 v[26:27], v30 offset0:160 offset1:176
	s_wait_dscnt 0x6
	v_pk_fma_f32 v[18:19], v[48:49], v[32:33], v[18:19] op_sel:[0,1,0]
	v_pk_fma_f32 v[14:15], v[48:49], v[36:37], v[14:15] op_sel:[0,1,0]
	ds_load_2addr_b32 v[32:33], v30 offset0:192 offset1:208
	v_dual_mov_b32 v36, v35 :: v_dual_mov_b32 v48, v39
	s_wait_dscnt 0x6
	v_pk_fma_f32 v[18:19], v[50:51], v[34:35], v[18:19] op_sel_hi:[1,0,1]
	v_pk_fma_f32 v[14:15], v[50:51], v[38:39], v[14:15] op_sel_hi:[1,0,1]
	ds_load_2addr_b32 v[34:35], v30 offset0:224 offset1:240
	s_wait_dscnt 0x0
	s_barrier_signal -1
	v_pk_fma_f32 v[18:19], v[52:53], v[36:37], v[18:19] op_sel_hi:[1,0,1]
	v_pk_fma_f32 v[14:15], v[52:53], v[48:49], v[14:15] op_sel_hi:[1,0,1]
	s_barrier_wait -1
	v_mov_b32_e32 v36, v47
	s_delay_alu instid0(VALU_DEP_3) | instskip(NEXT) | instid1(VALU_DEP_3)
	v_pk_fma_f32 v[18:19], v[54:55], v[40:41], v[18:19] op_sel_hi:[1,0,1]
	v_pk_fma_f32 v[14:15], v[54:55], v[44:45], v[14:15] op_sel_hi:[1,0,1]
	s_delay_alu instid0(VALU_DEP_2) | instskip(NEXT) | instid1(VALU_DEP_2)
	v_pk_fma_f32 v[18:19], v[26:27], v[40:41], v[18:19] op_sel:[0,1,0]
	v_pk_fma_f32 v[14:15], v[26:27], v[44:45], v[14:15] op_sel:[0,1,0]
	v_mov_b32_e32 v26, v43
	s_delay_alu instid0(VALU_DEP_3) | instskip(NEXT) | instid1(VALU_DEP_3)
	v_pk_fma_f32 v[18:19], v[32:33], v[42:43], v[18:19] op_sel_hi:[1,0,1]
	v_pk_fma_f32 v[14:15], v[32:33], v[46:47], v[14:15] op_sel_hi:[1,0,1]
	s_delay_alu instid0(VALU_DEP_2) | instskip(NEXT) | instid1(VALU_DEP_2)
	v_pk_fma_f32 v[18:19], v[34:35], v[26:27], v[18:19] op_sel_hi:[1,0,1]
	v_pk_fma_f32 v[14:15], v[34:35], v[36:37], v[14:15] op_sel_hi:[1,0,1]
	s_cbranch_vccz .LBB191_11
.LBB191_7:                              ;   Parent Loop BB191_4 Depth=1
                                        ; =>  This Inner Loop Header: Depth=2
	v_add_nc_u64_e32 v[26:27], s[24:25], v[0:1]
	s_delay_alu instid0(VALU_DEP_1) | instskip(SKIP_2) | instid1(SALU_CYCLE_1)
	v_cmp_gt_i64_e32 vcc_lo, s[36:37], v[26:27]
	v_mov_b32_e32 v26, 0
	s_and_b32 s28, s0, vcc_lo
	s_and_saveexec_b32 s27, s28
	s_cbranch_execz .LBB191_9
; %bb.8:                                ;   in Loop: Header=BB191_7 Depth=2
	flat_load_u16 v26, v[24:25]
	s_wait_loadcnt_dscnt 0x0
	v_lshlrev_b32_e32 v26, 16, v26
.LBB191_9:                              ;   in Loop: Header=BB191_7 Depth=2
	s_wait_xcnt 0x0
	s_or_b32 exec_lo, exec_lo, s27
	v_add_nc_u64_e32 v[32:33], s[24:25], v[2:3]
	v_mov_b32_e32 v27, 0
	ds_store_b32 v28, v26
	v_cmp_gt_i64_e32 vcc_lo, s[36:37], v[32:33]
	s_and_b32 s28, vcc_lo, s1
	s_delay_alu instid0(SALU_CYCLE_1)
	s_and_saveexec_b32 s27, s28
	s_cbranch_execz .LBB191_6
; %bb.10:                               ;   in Loop: Header=BB191_7 Depth=2
	flat_load_u16 v26, v[22:23]
	s_wait_loadcnt_dscnt 0x0
	v_lshlrev_b32_e32 v27, 16, v26
	s_branch .LBB191_6
.LBB191_11:                             ;   in Loop: Header=BB191_4 Depth=1
	s_wait_loadcnt 0x0
	v_add_nc_u64_e32 v[20:21], s[18:19], v[20:21]
	s_and_not1_b32 vcc_lo, exec_lo, s39
	s_cbranch_vccnz .LBB191_16
; %bb.12:                               ;   in Loop: Header=BB191_4 Depth=1
	s_and_saveexec_b32 s24, s2
	s_cbranch_execz .LBB191_23
; %bb.13:                               ;   in Loop: Header=BB191_4 Depth=1
	s_delay_alu instid0(VALU_DEP_1) | instskip(NEXT) | instid1(VALU_DEP_1)
	v_lshl_add_u64 v[22:23], v[6:7], 2, v[20:21]
	v_lshl_add_u64 v[24:25], v[4:5], 2, v[22:23]
	s_and_saveexec_b32 s25, s3
	s_cbranch_execnz .LBB191_17
; %bb.14:                               ;   in Loop: Header=BB191_4 Depth=1
	s_or_b32 exec_lo, exec_lo, s25
	s_and_saveexec_b32 s25, s4
	s_cbranch_execnz .LBB191_18
.LBB191_15:                             ;   in Loop: Header=BB191_4 Depth=1
	s_or_b32 exec_lo, exec_lo, s25
	s_delay_alu instid0(SALU_CYCLE_1)
	s_and_b32 exec_lo, exec_lo, s5
	s_cbranch_execnz .LBB191_19
	s_branch .LBB191_23
.LBB191_16:                             ;   in Loop: Header=BB191_4 Depth=1
	s_branch .LBB191_24
.LBB191_17:                             ;   in Loop: Header=BB191_4 Depth=1
	v_mul_f32_e32 v26, s38, v18
	flat_store_b32 v[24:25], v26
	s_wait_xcnt 0x0
	s_or_b32 exec_lo, exec_lo, s25
	s_and_saveexec_b32 s25, s4
	s_cbranch_execz .LBB191_15
.LBB191_18:                             ;   in Loop: Header=BB191_4 Depth=1
	v_mul_f32_e32 v26, s38, v19
	flat_store_b32 v[24:25], v26 offset:64
	s_wait_xcnt 0x0
	s_or_b32 exec_lo, exec_lo, s25
	s_delay_alu instid0(SALU_CYCLE_1)
	s_and_b32 exec_lo, exec_lo, s5
	s_cbranch_execz .LBB191_23
.LBB191_19:                             ;   in Loop: Header=BB191_4 Depth=1
	v_lshl_add_u64 v[22:23], s[6:7], 2, v[22:23]
	s_delay_alu instid0(VALU_DEP_1)
	v_lshl_add_u64 v[22:23], v[4:5], 2, v[22:23]
	s_and_saveexec_b32 s25, s3
	s_cbranch_execz .LBB191_21
; %bb.20:                               ;   in Loop: Header=BB191_4 Depth=1
	v_mul_f32_e32 v24, s38, v14
	flat_store_b32 v[22:23], v24
.LBB191_21:                             ;   in Loop: Header=BB191_4 Depth=1
	s_wait_xcnt 0x0
	s_or_b32 exec_lo, exec_lo, s25
	s_delay_alu instid0(SALU_CYCLE_1)
	s_and_b32 exec_lo, exec_lo, s4
	s_cbranch_execz .LBB191_23
; %bb.22:                               ;   in Loop: Header=BB191_4 Depth=1
	v_mul_f32_e32 v24, s38, v15
	flat_store_b32 v[22:23], v24 offset:64
.LBB191_23:                             ;   in Loop: Header=BB191_4 Depth=1
	s_wait_xcnt 0x0
	s_or_b32 exec_lo, exec_lo, s24
	s_cbranch_execnz .LBB191_3
.LBB191_24:                             ;   in Loop: Header=BB191_4 Depth=1
	s_and_saveexec_b32 s24, s2
	s_cbranch_execz .LBB191_2
; %bb.25:                               ;   in Loop: Header=BB191_4 Depth=1
	v_add_nc_u64_e32 v[22:23], s[20:21], v[16:17]
	v_lshlrev_b64_e32 v[16:17], 2, v[4:5]
	v_lshl_add_u64 v[20:21], v[6:7], 2, v[20:21]
	s_delay_alu instid0(VALU_DEP_3) | instskip(NEXT) | instid1(VALU_DEP_2)
	v_lshl_add_u64 v[22:23], v[8:9], 2, v[22:23]
	v_add_nc_u64_e32 v[24:25], v[20:21], v[16:17]
	s_delay_alu instid0(VALU_DEP_2)
	v_add_nc_u64_e32 v[26:27], v[22:23], v[16:17]
	s_and_saveexec_b32 s25, s3
	s_cbranch_execnz .LBB191_28
; %bb.26:                               ;   in Loop: Header=BB191_4 Depth=1
	s_or_b32 exec_lo, exec_lo, s25
	s_and_saveexec_b32 s25, s4
	s_cbranch_execnz .LBB191_29
.LBB191_27:                             ;   in Loop: Header=BB191_4 Depth=1
	s_or_b32 exec_lo, exec_lo, s25
	s_delay_alu instid0(SALU_CYCLE_1)
	s_and_b32 exec_lo, exec_lo, s5
	s_cbranch_execz .LBB191_2
	s_branch .LBB191_30
.LBB191_28:                             ;   in Loop: Header=BB191_4 Depth=1
	flat_load_b32 v33, v[26:27]
	v_mov_b64_e32 v[34:35], s[40:41]
	v_mov_b32_e32 v32, v18
	s_wait_loadcnt_dscnt 0x0
	s_delay_alu instid0(VALU_DEP_1) | instskip(NEXT) | instid1(VALU_DEP_1)
	v_pk_mul_f32 v[32:33], v[34:35], v[32:33]
	v_add_f32_e32 v18, v32, v33
	flat_store_b32 v[24:25], v18
	s_wait_xcnt 0x0
	s_or_b32 exec_lo, exec_lo, s25
	s_and_saveexec_b32 s25, s4
	s_cbranch_execz .LBB191_27
.LBB191_29:                             ;   in Loop: Header=BB191_4 Depth=1
	flat_load_b32 v27, v[26:27] offset:64
	s_wait_xcnt 0x0
	v_mov_b32_e32 v26, v19
	v_mov_b64_e32 v[18:19], s[40:41]
	s_wait_loadcnt_dscnt 0x0
	s_delay_alu instid0(VALU_DEP_1) | instskip(NEXT) | instid1(VALU_DEP_1)
	v_pk_mul_f32 v[18:19], v[18:19], v[26:27]
	v_add_f32_e32 v18, v18, v19
	flat_store_b32 v[24:25], v18 offset:64
	s_wait_xcnt 0x0
	s_or_b32 exec_lo, exec_lo, s25
	s_delay_alu instid0(SALU_CYCLE_1)
	s_and_b32 exec_lo, exec_lo, s5
	s_cbranch_execz .LBB191_2
.LBB191_30:                             ;   in Loop: Header=BB191_4 Depth=1
	v_lshl_add_u64 v[18:19], s[10:11], 2, v[22:23]
	v_lshl_add_u64 v[20:21], s[6:7], 2, v[20:21]
	s_delay_alu instid0(VALU_DEP_2) | instskip(NEXT) | instid1(VALU_DEP_2)
	v_add_nc_u64_e32 v[18:19], v[18:19], v[16:17]
	v_add_nc_u64_e32 v[16:17], v[20:21], v[16:17]
	s_and_saveexec_b32 s25, s3
	s_cbranch_execz .LBB191_32
; %bb.31:                               ;   in Loop: Header=BB191_4 Depth=1
	flat_load_b32 v21, v[18:19]
	v_mov_b64_e32 v[22:23], s[40:41]
	v_mov_b32_e32 v20, v14
	s_wait_loadcnt_dscnt 0x0
	s_delay_alu instid0(VALU_DEP_1) | instskip(NEXT) | instid1(VALU_DEP_1)
	v_pk_mul_f32 v[20:21], v[22:23], v[20:21]
	v_add_f32_e32 v14, v20, v21
	flat_store_b32 v[16:17], v14
.LBB191_32:                             ;   in Loop: Header=BB191_4 Depth=1
	s_wait_xcnt 0x0
	s_or_b32 exec_lo, exec_lo, s25
	s_delay_alu instid0(SALU_CYCLE_1)
	s_and_b32 exec_lo, exec_lo, s4
	s_cbranch_execz .LBB191_2
; %bb.33:                               ;   in Loop: Header=BB191_4 Depth=1
	flat_load_b32 v19, v[18:19] offset:64
	s_wait_xcnt 0x0
	v_mov_b32_e32 v18, v15
	v_mov_b64_e32 v[14:15], s[40:41]
	s_wait_loadcnt_dscnt 0x0
	s_delay_alu instid0(VALU_DEP_1) | instskip(NEXT) | instid1(VALU_DEP_1)
	v_pk_mul_f32 v[14:15], v[14:15], v[18:19]
	v_add_f32_e32 v14, v14, v15
	flat_store_b32 v[16:17], v14 offset:64
	s_branch .LBB191_2
.LBB191_34:
	s_endpgm
	.section	.rodata,"a",@progbits
	.p2align	6, 0x0
	.amdhsa_kernel _ZN12_GLOBAL__N_135rocblas_gemm_batched_general_kernelIfLi16ELi16ELi32ELi32ELi8ELi32ELi8ELi8ELi32ELc67ELc84EKPK16rocblas_bfloat16KPKfKPfEEvlllT_PT11_llSC_llSA_PT12_llPT13_lli
		.amdhsa_group_segment_fixed_size 2048
		.amdhsa_private_segment_fixed_size 0
		.amdhsa_kernarg_size 140
		.amdhsa_user_sgpr_count 2
		.amdhsa_user_sgpr_dispatch_ptr 0
		.amdhsa_user_sgpr_queue_ptr 0
		.amdhsa_user_sgpr_kernarg_segment_ptr 1
		.amdhsa_user_sgpr_dispatch_id 0
		.amdhsa_user_sgpr_kernarg_preload_length 0
		.amdhsa_user_sgpr_kernarg_preload_offset 0
		.amdhsa_user_sgpr_private_segment_size 0
		.amdhsa_wavefront_size32 1
		.amdhsa_uses_dynamic_stack 0
		.amdhsa_enable_private_segment 0
		.amdhsa_system_sgpr_workgroup_id_x 1
		.amdhsa_system_sgpr_workgroup_id_y 1
		.amdhsa_system_sgpr_workgroup_id_z 1
		.amdhsa_system_sgpr_workgroup_info 0
		.amdhsa_system_vgpr_workitem_id 1
		.amdhsa_next_free_vgpr 56
		.amdhsa_next_free_sgpr 42
		.amdhsa_named_barrier_count 0
		.amdhsa_reserve_vcc 1
		.amdhsa_float_round_mode_32 0
		.amdhsa_float_round_mode_16_64 0
		.amdhsa_float_denorm_mode_32 3
		.amdhsa_float_denorm_mode_16_64 3
		.amdhsa_fp16_overflow 0
		.amdhsa_memory_ordered 1
		.amdhsa_forward_progress 1
		.amdhsa_inst_pref_size 15
		.amdhsa_round_robin_scheduling 0
		.amdhsa_exception_fp_ieee_invalid_op 0
		.amdhsa_exception_fp_denorm_src 0
		.amdhsa_exception_fp_ieee_div_zero 0
		.amdhsa_exception_fp_ieee_overflow 0
		.amdhsa_exception_fp_ieee_underflow 0
		.amdhsa_exception_fp_ieee_inexact 0
		.amdhsa_exception_int_div_zero 0
	.end_amdhsa_kernel
	.section	.text._ZN12_GLOBAL__N_135rocblas_gemm_batched_general_kernelIfLi16ELi16ELi32ELi32ELi8ELi32ELi8ELi8ELi32ELc67ELc84EKPK16rocblas_bfloat16KPKfKPfEEvlllT_PT11_llSC_llSA_PT12_llPT13_lli,"axG",@progbits,_ZN12_GLOBAL__N_135rocblas_gemm_batched_general_kernelIfLi16ELi16ELi32ELi32ELi8ELi32ELi8ELi8ELi32ELc67ELc84EKPK16rocblas_bfloat16KPKfKPfEEvlllT_PT11_llSC_llSA_PT12_llPT13_lli,comdat
.Lfunc_end191:
	.size	_ZN12_GLOBAL__N_135rocblas_gemm_batched_general_kernelIfLi16ELi16ELi32ELi32ELi8ELi32ELi8ELi8ELi32ELc67ELc84EKPK16rocblas_bfloat16KPKfKPfEEvlllT_PT11_llSC_llSA_PT12_llPT13_lli, .Lfunc_end191-_ZN12_GLOBAL__N_135rocblas_gemm_batched_general_kernelIfLi16ELi16ELi32ELi32ELi8ELi32ELi8ELi8ELi32ELc67ELc84EKPK16rocblas_bfloat16KPKfKPfEEvlllT_PT11_llSC_llSA_PT12_llPT13_lli
                                        ; -- End function
	.set _ZN12_GLOBAL__N_135rocblas_gemm_batched_general_kernelIfLi16ELi16ELi32ELi32ELi8ELi32ELi8ELi8ELi32ELc67ELc84EKPK16rocblas_bfloat16KPKfKPfEEvlllT_PT11_llSC_llSA_PT12_llPT13_lli.num_vgpr, 56
	.set _ZN12_GLOBAL__N_135rocblas_gemm_batched_general_kernelIfLi16ELi16ELi32ELi32ELi8ELi32ELi8ELi8ELi32ELc67ELc84EKPK16rocblas_bfloat16KPKfKPfEEvlllT_PT11_llSC_llSA_PT12_llPT13_lli.num_agpr, 0
	.set _ZN12_GLOBAL__N_135rocblas_gemm_batched_general_kernelIfLi16ELi16ELi32ELi32ELi8ELi32ELi8ELi8ELi32ELc67ELc84EKPK16rocblas_bfloat16KPKfKPfEEvlllT_PT11_llSC_llSA_PT12_llPT13_lli.numbered_sgpr, 42
	.set _ZN12_GLOBAL__N_135rocblas_gemm_batched_general_kernelIfLi16ELi16ELi32ELi32ELi8ELi32ELi8ELi8ELi32ELc67ELc84EKPK16rocblas_bfloat16KPKfKPfEEvlllT_PT11_llSC_llSA_PT12_llPT13_lli.num_named_barrier, 0
	.set _ZN12_GLOBAL__N_135rocblas_gemm_batched_general_kernelIfLi16ELi16ELi32ELi32ELi8ELi32ELi8ELi8ELi32ELc67ELc84EKPK16rocblas_bfloat16KPKfKPfEEvlllT_PT11_llSC_llSA_PT12_llPT13_lli.private_seg_size, 0
	.set _ZN12_GLOBAL__N_135rocblas_gemm_batched_general_kernelIfLi16ELi16ELi32ELi32ELi8ELi32ELi8ELi8ELi32ELc67ELc84EKPK16rocblas_bfloat16KPKfKPfEEvlllT_PT11_llSC_llSA_PT12_llPT13_lli.uses_vcc, 1
	.set _ZN12_GLOBAL__N_135rocblas_gemm_batched_general_kernelIfLi16ELi16ELi32ELi32ELi8ELi32ELi8ELi8ELi32ELc67ELc84EKPK16rocblas_bfloat16KPKfKPfEEvlllT_PT11_llSC_llSA_PT12_llPT13_lli.uses_flat_scratch, 0
	.set _ZN12_GLOBAL__N_135rocblas_gemm_batched_general_kernelIfLi16ELi16ELi32ELi32ELi8ELi32ELi8ELi8ELi32ELc67ELc84EKPK16rocblas_bfloat16KPKfKPfEEvlllT_PT11_llSC_llSA_PT12_llPT13_lli.has_dyn_sized_stack, 0
	.set _ZN12_GLOBAL__N_135rocblas_gemm_batched_general_kernelIfLi16ELi16ELi32ELi32ELi8ELi32ELi8ELi8ELi32ELc67ELc84EKPK16rocblas_bfloat16KPKfKPfEEvlllT_PT11_llSC_llSA_PT12_llPT13_lli.has_recursion, 0
	.set _ZN12_GLOBAL__N_135rocblas_gemm_batched_general_kernelIfLi16ELi16ELi32ELi32ELi8ELi32ELi8ELi8ELi32ELc67ELc84EKPK16rocblas_bfloat16KPKfKPfEEvlllT_PT11_llSC_llSA_PT12_llPT13_lli.has_indirect_call, 0
	.section	.AMDGPU.csdata,"",@progbits
; Kernel info:
; codeLenInByte = 1848
; TotalNumSgprs: 44
; NumVgprs: 56
; ScratchSize: 0
; MemoryBound: 0
; FloatMode: 240
; IeeeMode: 1
; LDSByteSize: 2048 bytes/workgroup (compile time only)
; SGPRBlocks: 0
; VGPRBlocks: 3
; NumSGPRsForWavesPerEU: 44
; NumVGPRsForWavesPerEU: 56
; NamedBarCnt: 0
; Occupancy: 16
; WaveLimiterHint : 1
; COMPUTE_PGM_RSRC2:SCRATCH_EN: 0
; COMPUTE_PGM_RSRC2:USER_SGPR: 2
; COMPUTE_PGM_RSRC2:TRAP_HANDLER: 0
; COMPUTE_PGM_RSRC2:TGID_X_EN: 1
; COMPUTE_PGM_RSRC2:TGID_Y_EN: 1
; COMPUTE_PGM_RSRC2:TGID_Z_EN: 1
; COMPUTE_PGM_RSRC2:TIDIG_COMP_CNT: 1
	.section	.text._ZN12_GLOBAL__N_135rocblas_gemm_batched_general_kernelIfLi16ELi16ELi32ELi32ELi8ELi32ELi8ELi8ELi32ELc78ELc67EKPK16rocblas_bfloat16KPKfKPfEEvlllT_PT11_llSC_llSA_PT12_llPT13_lli,"axG",@progbits,_ZN12_GLOBAL__N_135rocblas_gemm_batched_general_kernelIfLi16ELi16ELi32ELi32ELi8ELi32ELi8ELi8ELi32ELc78ELc67EKPK16rocblas_bfloat16KPKfKPfEEvlllT_PT11_llSC_llSA_PT12_llPT13_lli,comdat
	.globl	_ZN12_GLOBAL__N_135rocblas_gemm_batched_general_kernelIfLi16ELi16ELi32ELi32ELi8ELi32ELi8ELi8ELi32ELc78ELc67EKPK16rocblas_bfloat16KPKfKPfEEvlllT_PT11_llSC_llSA_PT12_llPT13_lli ; -- Begin function _ZN12_GLOBAL__N_135rocblas_gemm_batched_general_kernelIfLi16ELi16ELi32ELi32ELi8ELi32ELi8ELi8ELi32ELc78ELc67EKPK16rocblas_bfloat16KPKfKPfEEvlllT_PT11_llSC_llSA_PT12_llPT13_lli
	.p2align	8
	.type	_ZN12_GLOBAL__N_135rocblas_gemm_batched_general_kernelIfLi16ELi16ELi32ELi32ELi8ELi32ELi8ELi8ELi32ELc78ELc67EKPK16rocblas_bfloat16KPKfKPfEEvlllT_PT11_llSC_llSA_PT12_llPT13_lli,@function
_ZN12_GLOBAL__N_135rocblas_gemm_batched_general_kernelIfLi16ELi16ELi32ELi32ELi8ELi32ELi8ELi8ELi32ELc78ELc67EKPK16rocblas_bfloat16KPKfKPfEEvlllT_PT11_llSC_llSA_PT12_llPT13_lli: ; @_ZN12_GLOBAL__N_135rocblas_gemm_batched_general_kernelIfLi16ELi16ELi32ELi32ELi8ELi32ELi8ELi8ELi32ELc78ELc67EKPK16rocblas_bfloat16KPKfKPfEEvlllT_PT11_llSC_llSA_PT12_llPT13_lli
; %bb.0:
	s_load_b32 s33, s[0:1], 0x88
	s_bfe_u32 s2, ttmp6, 0x40014
	s_lshr_b32 s3, ttmp7, 16
	s_add_co_i32 s2, s2, 1
	s_bfe_u32 s5, ttmp6, 0x40008
	s_mul_i32 s4, s3, s2
	s_getreg_b32 s2, hwreg(HW_REG_IB_STS2, 6, 4)
	s_add_co_i32 s5, s5, s4
	s_cmp_eq_u32 s2, 0
	s_mov_b32 s35, 0
	s_cselect_b32 s34, s3, s5
	s_wait_kmcnt 0x0
	s_cmp_ge_i32 s34, s33
	s_cbranch_scc1 .LBB192_34
; %bb.1:
	s_clause 0x6
	s_load_b128 s[4:7], s[0:1], 0x0
	s_load_b96 s[36:38], s[0:1], 0x10
	s_load_b256 s[8:15], s[0:1], 0x20
	s_load_b128 s[28:31], s[0:1], 0x40
	s_load_b32 s41, s[0:1], 0x50
	s_load_b128 s[24:27], s[0:1], 0x78
	s_load_b256 s[16:23], s[0:1], 0x58
	v_bfe_u32 v6, v0, 10, 10
	v_and_b32_e32 v8, 0x3ff, v0
	s_wait_xcnt 0x0
	s_bfe_u32 s0, ttmp6, 0x4000c
	s_bfe_u32 s3, ttmp6, 0x40010
	s_add_co_i32 s0, s0, 1
	s_and_b32 s39, ttmp7, 0xffff
	s_add_co_i32 s3, s3, 1
	v_lshl_add_u32 v1, v6, 4, v8
	v_mov_b32_e32 v3, 0
	s_and_b32 s1, ttmp6, 15
	s_mul_i32 s0, ttmp9, s0
	s_mul_i32 s3, s39, s3
	s_bfe_u32 s40, ttmp6, 0x40004
	s_add_co_i32 s1, s1, s0
	s_add_co_i32 s40, s40, s3
	s_cmp_eq_u32 s2, 0
	v_dual_mov_b32 v9, v3 :: v_dual_bitop2_b32 v22, 31, v1 bitop3:0x40
	v_dual_lshrrev_b32 v2, 5, v1 :: v_dual_bitop2_b32 v0, 7, v0 bitop3:0x40
	v_dual_mov_b32 v1, v3 :: v_dual_lshrrev_b32 v10, 3, v1
	v_mov_b32_e32 v11, v3
	s_cselect_b32 s40, s39, s40
	s_cselect_b32 s42, ttmp9, s1
	s_lshl_b32 s44, s40, 5
	s_mov_b32 s45, s35
	s_wait_kmcnt 0x0
	v_mul_u64_e32 v[12:13], s[28:29], v[0:1]
	v_add_nc_u64_e32 v[14:15], s[44:45], v[10:11]
	v_dual_lshlrev_b32 v11, 2, v0 :: v_dual_lshlrev_b32 v18, 2, v22
	v_mul_u64_e32 v[16:17], s[10:11], v[2:3]
	v_dual_mov_b32 v7, v3 :: v_dual_lshlrev_b32 v30, 2, v8
	s_ashr_i32 s43, s42, 31
	s_delay_alu instid0(VALU_DEP_3) | instskip(SKIP_1) | instid1(VALU_DEP_2)
	v_lshl_or_b32 v28, v2, 7, v18
	s_lshl_b64 s[2:3], s[42:43], 5
	v_add_nc_u64_e32 v[18:19], s[44:45], v[6:7]
	v_dual_mov_b32 v5, s3 :: v_dual_bitop2_b32 v4, s2, v22 bitop3:0x54
	v_lshl_add_u32 v31, v6, 5, 0x400
	v_cmp_gt_i64_e64 s1, s[6:7], v[14:15]
	s_cmp_eq_f32 s41, 0
	v_lshl_or_b32 v11, v10, 5, v11
	v_cmp_gt_i64_e64 s0, s[4:5], v[4:5]
	v_add_nc_u64_e32 v[4:5], s[2:3], v[8:9]
	v_mul_u64_e32 v[6:7], s[24:25], v[18:19]
	v_mul_u64_e32 v[8:9], s[18:19], v[18:19]
	v_add_nc_u64_e32 v[20:21], 16, v[18:19]
	s_cselect_b32 s39, -1, 0
	v_cmp_gt_i64_e64 s2, s[6:7], v[18:19]
	s_lshl_b32 s44, s40, 6
	v_add_nc_u64_e32 v[14:15], 16, v[4:5]
	v_cmp_gt_i64_e64 s3, s[4:5], v[4:5]
	s_lshl_b64 s[30:31], s[30:31], 1
	s_lshl_b64 s[12:13], s[12:13], 1
	s_add_nc_u64 s[30:31], s[30:31], s[44:45]
	v_add_nc_u32_e32 v29, 0x400, v11
	v_dual_mov_b32 v11, v3 :: v_dual_lshlrev_b32 v10, 1, v10
	v_cmp_gt_i64_e64 s4, s[4:5], v[14:15]
	v_cmp_gt_i64_e64 s5, s[6:7], v[20:21]
	s_lshl_b64 s[6:7], s[24:25], 4
	s_lshl_b64 s[24:25], s[42:43], 6
	v_lshl_add_u64 v[12:13], v[12:13], 1, s[30:31]
	s_add_nc_u64 s[12:13], s[12:13], s[24:25]
	s_mov_b32 s40, s38
	v_lshl_add_u64 v[14:15], v[16:17], 1, s[12:13]
	v_dual_mov_b32 v17, v3 :: v_dual_lshlrev_b32 v16, 1, v22
	s_lshl_b64 s[12:13], s[18:19], 4
	v_add_nc_u64_e32 v[10:11], v[12:13], v[10:11]
	s_lshl_b64 s[18:19], s[28:29], 4
	v_cmp_gt_i64_e64 s28, s[36:37], 0
	v_add_nc_u64_e32 v[12:13], v[14:15], v[16:17]
	s_lshl_b64 s[10:11], s[10:11], 4
	s_lshl_b64 s[24:25], s[26:27], 2
	;; [unrolled: 1-line block ×3, first 2 shown]
	s_branch .LBB192_4
.LBB192_2:                              ;   in Loop: Header=BB192_4 Depth=1
	s_wait_xcnt 0x0
	s_or_b32 exec_lo, exec_lo, s26
.LBB192_3:                              ;   in Loop: Header=BB192_4 Depth=1
	s_add_co_i32 s34, s34, 0x10000
	s_delay_alu instid0(SALU_CYCLE_1)
	s_cmp_lt_i32 s34, s33
	s_cbranch_scc0 .LBB192_34
.LBB192_4:                              ; =>This Loop Header: Depth=1
                                        ;     Child Loop BB192_7 Depth 2
	v_dual_mov_b32 v14, s34 :: v_dual_mov_b32 v19, 0
	v_dual_mov_b32 v18, 0 :: v_dual_mov_b32 v15, 0
	s_and_not1_b32 vcc_lo, exec_lo, s28
	s_clause 0x1
	global_load_b64 v[16:17], v14, s[16:17] scale_offset
	global_load_b64 v[20:21], v14, s[22:23] scale_offset
	s_wait_xcnt 0x0
	v_mov_b32_e32 v14, 0
	s_cbranch_vccnz .LBB192_11
; %bb.5:                                ;   in Loop: Header=BB192_4 Depth=1
	s_lshl_b64 s[26:27], s[34:35], 3
	v_mov_b32_e32 v18, 0
	s_add_nc_u64 s[30:31], s[14:15], s[26:27]
	s_add_nc_u64 s[26:27], s[8:9], s[26:27]
	s_clause 0x1
	global_load_b64 v[14:15], v3, s[30:31]
	global_load_b64 v[24:25], v3, s[26:27]
	s_wait_xcnt 0x0
	s_mov_b64 s[26:27], 0
	v_mov_b32_e32 v19, v18
	s_wait_loadcnt 0x1
	v_add_nc_u64_e32 v[22:23], v[14:15], v[10:11]
	s_wait_loadcnt 0x0
	v_add_nc_u64_e32 v[24:25], v[24:25], v[12:13]
	v_dual_mov_b32 v14, v18 :: v_dual_mov_b32 v15, v18
	s_branch .LBB192_7
.LBB192_6:                              ;   in Loop: Header=BB192_7 Depth=2
	s_wait_xcnt 0x0
	s_or_b32 exec_lo, exec_lo, s29
	ds_store_b32 v29, v27
	s_wait_dscnt 0x0
	s_barrier_signal -1
	s_barrier_wait -1
	ds_load_b128 v[32:35], v31
	ds_load_2addr_b32 v[26:27], v30 offset1:16
	ds_load_b128 v[36:39], v31 offset:512
	ds_load_2addr_b32 v[48:49], v30 offset0:32 offset1:48
	ds_load_2addr_b32 v[50:51], v30 offset0:64 offset1:80
	;; [unrolled: 1-line block ×3, first 2 shown]
	ds_load_b128 v[40:43], v31 offset:16
	ds_load_2addr_b32 v[54:55], v30 offset0:128 offset1:144
	ds_load_b128 v[44:47], v31 offset:528
	s_add_nc_u64 s[26:27], s[26:27], 8
	v_add_nc_u64_e32 v[22:23], s[18:19], v[22:23]
	v_cmp_lt_i64_e64 s29, s[26:27], s[36:37]
	v_add_nc_u64_e32 v[24:25], s[10:11], v[24:25]
	s_and_b32 vcc_lo, exec_lo, s29
	s_wait_dscnt 0x7
	v_pk_fma_f32 v[18:19], v[26:27], v[32:33], v[18:19] op_sel_hi:[1,0,1]
	s_wait_dscnt 0x6
	v_pk_fma_f32 v[14:15], v[26:27], v[36:37], v[14:15] op_sel_hi:[1,0,1]
	ds_load_2addr_b32 v[26:27], v30 offset0:160 offset1:176
	s_wait_dscnt 0x6
	v_pk_fma_f32 v[18:19], v[48:49], v[32:33], v[18:19] op_sel:[0,1,0]
	v_pk_fma_f32 v[14:15], v[48:49], v[36:37], v[14:15] op_sel:[0,1,0]
	ds_load_2addr_b32 v[32:33], v30 offset0:192 offset1:208
	v_dual_mov_b32 v36, v35 :: v_dual_mov_b32 v48, v39
	s_wait_dscnt 0x6
	v_pk_fma_f32 v[18:19], v[50:51], v[34:35], v[18:19] op_sel_hi:[1,0,1]
	v_pk_fma_f32 v[14:15], v[50:51], v[38:39], v[14:15] op_sel_hi:[1,0,1]
	ds_load_2addr_b32 v[34:35], v30 offset0:224 offset1:240
	s_wait_dscnt 0x0
	s_barrier_signal -1
	v_pk_fma_f32 v[18:19], v[52:53], v[36:37], v[18:19] op_sel_hi:[1,0,1]
	v_pk_fma_f32 v[14:15], v[52:53], v[48:49], v[14:15] op_sel_hi:[1,0,1]
	s_barrier_wait -1
	v_mov_b32_e32 v36, v47
	s_delay_alu instid0(VALU_DEP_3) | instskip(NEXT) | instid1(VALU_DEP_3)
	v_pk_fma_f32 v[18:19], v[54:55], v[40:41], v[18:19] op_sel_hi:[1,0,1]
	v_pk_fma_f32 v[14:15], v[54:55], v[44:45], v[14:15] op_sel_hi:[1,0,1]
	s_delay_alu instid0(VALU_DEP_2) | instskip(NEXT) | instid1(VALU_DEP_2)
	v_pk_fma_f32 v[18:19], v[26:27], v[40:41], v[18:19] op_sel:[0,1,0]
	v_pk_fma_f32 v[14:15], v[26:27], v[44:45], v[14:15] op_sel:[0,1,0]
	v_mov_b32_e32 v26, v43
	s_delay_alu instid0(VALU_DEP_3) | instskip(NEXT) | instid1(VALU_DEP_3)
	v_pk_fma_f32 v[18:19], v[32:33], v[42:43], v[18:19] op_sel_hi:[1,0,1]
	v_pk_fma_f32 v[14:15], v[32:33], v[46:47], v[14:15] op_sel_hi:[1,0,1]
	s_delay_alu instid0(VALU_DEP_2) | instskip(NEXT) | instid1(VALU_DEP_2)
	v_pk_fma_f32 v[18:19], v[34:35], v[26:27], v[18:19] op_sel_hi:[1,0,1]
	v_pk_fma_f32 v[14:15], v[34:35], v[36:37], v[14:15] op_sel_hi:[1,0,1]
	s_cbranch_vccz .LBB192_11
.LBB192_7:                              ;   Parent Loop BB192_4 Depth=1
                                        ; =>  This Inner Loop Header: Depth=2
	v_add_nc_u64_e32 v[26:27], s[26:27], v[2:3]
	s_delay_alu instid0(VALU_DEP_1) | instskip(SKIP_2) | instid1(SALU_CYCLE_1)
	v_cmp_gt_i64_e32 vcc_lo, s[36:37], v[26:27]
	v_mov_b32_e32 v26, 0
	s_and_b32 s30, s0, vcc_lo
	s_and_saveexec_b32 s29, s30
	s_cbranch_execz .LBB192_9
; %bb.8:                                ;   in Loop: Header=BB192_7 Depth=2
	flat_load_u16 v26, v[24:25]
	s_wait_loadcnt_dscnt 0x0
	v_lshlrev_b32_e32 v26, 16, v26
.LBB192_9:                              ;   in Loop: Header=BB192_7 Depth=2
	s_wait_xcnt 0x0
	s_or_b32 exec_lo, exec_lo, s29
	v_add_nc_u64_e32 v[32:33], s[26:27], v[0:1]
	v_mov_b32_e32 v27, 0
	ds_store_b32 v28, v26
	v_cmp_gt_i64_e32 vcc_lo, s[36:37], v[32:33]
	s_and_b32 s30, vcc_lo, s1
	s_delay_alu instid0(SALU_CYCLE_1)
	s_and_saveexec_b32 s29, s30
	s_cbranch_execz .LBB192_6
; %bb.10:                               ;   in Loop: Header=BB192_7 Depth=2
	flat_load_u16 v26, v[22:23]
	s_wait_loadcnt_dscnt 0x0
	v_lshlrev_b32_e32 v27, 16, v26
	s_branch .LBB192_6
.LBB192_11:                             ;   in Loop: Header=BB192_4 Depth=1
	s_wait_loadcnt 0x0
	v_add_nc_u64_e32 v[20:21], s[24:25], v[20:21]
	s_and_not1_b32 vcc_lo, exec_lo, s39
	s_cbranch_vccnz .LBB192_16
; %bb.12:                               ;   in Loop: Header=BB192_4 Depth=1
	s_and_saveexec_b32 s26, s2
	s_cbranch_execz .LBB192_23
; %bb.13:                               ;   in Loop: Header=BB192_4 Depth=1
	s_delay_alu instid0(VALU_DEP_1) | instskip(NEXT) | instid1(VALU_DEP_1)
	v_lshl_add_u64 v[22:23], v[6:7], 2, v[20:21]
	v_lshl_add_u64 v[24:25], v[4:5], 2, v[22:23]
	s_and_saveexec_b32 s27, s3
	s_cbranch_execnz .LBB192_17
; %bb.14:                               ;   in Loop: Header=BB192_4 Depth=1
	s_or_b32 exec_lo, exec_lo, s27
	s_and_saveexec_b32 s27, s4
	s_cbranch_execnz .LBB192_18
.LBB192_15:                             ;   in Loop: Header=BB192_4 Depth=1
	s_or_b32 exec_lo, exec_lo, s27
	s_delay_alu instid0(SALU_CYCLE_1)
	s_and_b32 exec_lo, exec_lo, s5
	s_cbranch_execnz .LBB192_19
	s_branch .LBB192_23
.LBB192_16:                             ;   in Loop: Header=BB192_4 Depth=1
	s_branch .LBB192_24
.LBB192_17:                             ;   in Loop: Header=BB192_4 Depth=1
	v_mul_f32_e32 v26, s38, v18
	flat_store_b32 v[24:25], v26
	s_wait_xcnt 0x0
	s_or_b32 exec_lo, exec_lo, s27
	s_and_saveexec_b32 s27, s4
	s_cbranch_execz .LBB192_15
.LBB192_18:                             ;   in Loop: Header=BB192_4 Depth=1
	v_mul_f32_e32 v26, s38, v19
	flat_store_b32 v[24:25], v26 offset:64
	s_wait_xcnt 0x0
	s_or_b32 exec_lo, exec_lo, s27
	s_delay_alu instid0(SALU_CYCLE_1)
	s_and_b32 exec_lo, exec_lo, s5
	s_cbranch_execz .LBB192_23
.LBB192_19:                             ;   in Loop: Header=BB192_4 Depth=1
	v_lshl_add_u64 v[22:23], s[6:7], 2, v[22:23]
	s_delay_alu instid0(VALU_DEP_1)
	v_lshl_add_u64 v[22:23], v[4:5], 2, v[22:23]
	s_and_saveexec_b32 s27, s3
	s_cbranch_execz .LBB192_21
; %bb.20:                               ;   in Loop: Header=BB192_4 Depth=1
	v_mul_f32_e32 v24, s38, v14
	flat_store_b32 v[22:23], v24
.LBB192_21:                             ;   in Loop: Header=BB192_4 Depth=1
	s_wait_xcnt 0x0
	s_or_b32 exec_lo, exec_lo, s27
	s_delay_alu instid0(SALU_CYCLE_1)
	s_and_b32 exec_lo, exec_lo, s4
	s_cbranch_execz .LBB192_23
; %bb.22:                               ;   in Loop: Header=BB192_4 Depth=1
	v_mul_f32_e32 v24, s38, v15
	flat_store_b32 v[22:23], v24 offset:64
.LBB192_23:                             ;   in Loop: Header=BB192_4 Depth=1
	s_wait_xcnt 0x0
	s_or_b32 exec_lo, exec_lo, s26
	s_cbranch_execnz .LBB192_3
.LBB192_24:                             ;   in Loop: Header=BB192_4 Depth=1
	s_and_saveexec_b32 s26, s2
	s_cbranch_execz .LBB192_2
; %bb.25:                               ;   in Loop: Header=BB192_4 Depth=1
	v_add_nc_u64_e32 v[22:23], s[20:21], v[16:17]
	v_lshlrev_b64_e32 v[16:17], 2, v[4:5]
	v_lshl_add_u64 v[20:21], v[6:7], 2, v[20:21]
	s_delay_alu instid0(VALU_DEP_3) | instskip(NEXT) | instid1(VALU_DEP_2)
	v_lshl_add_u64 v[22:23], v[8:9], 2, v[22:23]
	v_add_nc_u64_e32 v[24:25], v[20:21], v[16:17]
	s_delay_alu instid0(VALU_DEP_2)
	v_add_nc_u64_e32 v[26:27], v[22:23], v[16:17]
	s_and_saveexec_b32 s27, s3
	s_cbranch_execnz .LBB192_28
; %bb.26:                               ;   in Loop: Header=BB192_4 Depth=1
	s_or_b32 exec_lo, exec_lo, s27
	s_and_saveexec_b32 s27, s4
	s_cbranch_execnz .LBB192_29
.LBB192_27:                             ;   in Loop: Header=BB192_4 Depth=1
	s_or_b32 exec_lo, exec_lo, s27
	s_delay_alu instid0(SALU_CYCLE_1)
	s_and_b32 exec_lo, exec_lo, s5
	s_cbranch_execz .LBB192_2
	s_branch .LBB192_30
.LBB192_28:                             ;   in Loop: Header=BB192_4 Depth=1
	flat_load_b32 v33, v[26:27]
	v_mov_b64_e32 v[34:35], s[40:41]
	v_mov_b32_e32 v32, v18
	s_wait_loadcnt_dscnt 0x0
	s_delay_alu instid0(VALU_DEP_1) | instskip(NEXT) | instid1(VALU_DEP_1)
	v_pk_mul_f32 v[32:33], v[34:35], v[32:33]
	v_add_f32_e32 v18, v32, v33
	flat_store_b32 v[24:25], v18
	s_wait_xcnt 0x0
	s_or_b32 exec_lo, exec_lo, s27
	s_and_saveexec_b32 s27, s4
	s_cbranch_execz .LBB192_27
.LBB192_29:                             ;   in Loop: Header=BB192_4 Depth=1
	flat_load_b32 v27, v[26:27] offset:64
	s_wait_xcnt 0x0
	v_mov_b32_e32 v26, v19
	v_mov_b64_e32 v[18:19], s[40:41]
	s_wait_loadcnt_dscnt 0x0
	s_delay_alu instid0(VALU_DEP_1) | instskip(NEXT) | instid1(VALU_DEP_1)
	v_pk_mul_f32 v[18:19], v[18:19], v[26:27]
	v_add_f32_e32 v18, v18, v19
	flat_store_b32 v[24:25], v18 offset:64
	s_wait_xcnt 0x0
	s_or_b32 exec_lo, exec_lo, s27
	s_delay_alu instid0(SALU_CYCLE_1)
	s_and_b32 exec_lo, exec_lo, s5
	s_cbranch_execz .LBB192_2
.LBB192_30:                             ;   in Loop: Header=BB192_4 Depth=1
	v_lshl_add_u64 v[18:19], s[12:13], 2, v[22:23]
	v_lshl_add_u64 v[20:21], s[6:7], 2, v[20:21]
	s_delay_alu instid0(VALU_DEP_2) | instskip(NEXT) | instid1(VALU_DEP_2)
	v_add_nc_u64_e32 v[18:19], v[18:19], v[16:17]
	v_add_nc_u64_e32 v[16:17], v[20:21], v[16:17]
	s_and_saveexec_b32 s27, s3
	s_cbranch_execz .LBB192_32
; %bb.31:                               ;   in Loop: Header=BB192_4 Depth=1
	flat_load_b32 v21, v[18:19]
	v_mov_b64_e32 v[22:23], s[40:41]
	v_mov_b32_e32 v20, v14
	s_wait_loadcnt_dscnt 0x0
	s_delay_alu instid0(VALU_DEP_1) | instskip(NEXT) | instid1(VALU_DEP_1)
	v_pk_mul_f32 v[20:21], v[22:23], v[20:21]
	v_add_f32_e32 v14, v20, v21
	flat_store_b32 v[16:17], v14
.LBB192_32:                             ;   in Loop: Header=BB192_4 Depth=1
	s_wait_xcnt 0x0
	s_or_b32 exec_lo, exec_lo, s27
	s_delay_alu instid0(SALU_CYCLE_1)
	s_and_b32 exec_lo, exec_lo, s4
	s_cbranch_execz .LBB192_2
; %bb.33:                               ;   in Loop: Header=BB192_4 Depth=1
	flat_load_b32 v19, v[18:19] offset:64
	s_wait_xcnt 0x0
	v_mov_b32_e32 v18, v15
	v_mov_b64_e32 v[14:15], s[40:41]
	s_wait_loadcnt_dscnt 0x0
	s_delay_alu instid0(VALU_DEP_1) | instskip(NEXT) | instid1(VALU_DEP_1)
	v_pk_mul_f32 v[14:15], v[14:15], v[18:19]
	v_add_f32_e32 v14, v14, v15
	flat_store_b32 v[16:17], v14 offset:64
	s_branch .LBB192_2
.LBB192_34:
	s_endpgm
	.section	.rodata,"a",@progbits
	.p2align	6, 0x0
	.amdhsa_kernel _ZN12_GLOBAL__N_135rocblas_gemm_batched_general_kernelIfLi16ELi16ELi32ELi32ELi8ELi32ELi8ELi8ELi32ELc78ELc67EKPK16rocblas_bfloat16KPKfKPfEEvlllT_PT11_llSC_llSA_PT12_llPT13_lli
		.amdhsa_group_segment_fixed_size 2048
		.amdhsa_private_segment_fixed_size 0
		.amdhsa_kernarg_size 140
		.amdhsa_user_sgpr_count 2
		.amdhsa_user_sgpr_dispatch_ptr 0
		.amdhsa_user_sgpr_queue_ptr 0
		.amdhsa_user_sgpr_kernarg_segment_ptr 1
		.amdhsa_user_sgpr_dispatch_id 0
		.amdhsa_user_sgpr_kernarg_preload_length 0
		.amdhsa_user_sgpr_kernarg_preload_offset 0
		.amdhsa_user_sgpr_private_segment_size 0
		.amdhsa_wavefront_size32 1
		.amdhsa_uses_dynamic_stack 0
		.amdhsa_enable_private_segment 0
		.amdhsa_system_sgpr_workgroup_id_x 1
		.amdhsa_system_sgpr_workgroup_id_y 1
		.amdhsa_system_sgpr_workgroup_id_z 1
		.amdhsa_system_sgpr_workgroup_info 0
		.amdhsa_system_vgpr_workitem_id 1
		.amdhsa_next_free_vgpr 56
		.amdhsa_next_free_sgpr 46
		.amdhsa_named_barrier_count 0
		.amdhsa_reserve_vcc 1
		.amdhsa_float_round_mode_32 0
		.amdhsa_float_round_mode_16_64 0
		.amdhsa_float_denorm_mode_32 3
		.amdhsa_float_denorm_mode_16_64 3
		.amdhsa_fp16_overflow 0
		.amdhsa_memory_ordered 1
		.amdhsa_forward_progress 1
		.amdhsa_inst_pref_size 15
		.amdhsa_round_robin_scheduling 0
		.amdhsa_exception_fp_ieee_invalid_op 0
		.amdhsa_exception_fp_denorm_src 0
		.amdhsa_exception_fp_ieee_div_zero 0
		.amdhsa_exception_fp_ieee_overflow 0
		.amdhsa_exception_fp_ieee_underflow 0
		.amdhsa_exception_fp_ieee_inexact 0
		.amdhsa_exception_int_div_zero 0
	.end_amdhsa_kernel
	.section	.text._ZN12_GLOBAL__N_135rocblas_gemm_batched_general_kernelIfLi16ELi16ELi32ELi32ELi8ELi32ELi8ELi8ELi32ELc78ELc67EKPK16rocblas_bfloat16KPKfKPfEEvlllT_PT11_llSC_llSA_PT12_llPT13_lli,"axG",@progbits,_ZN12_GLOBAL__N_135rocblas_gemm_batched_general_kernelIfLi16ELi16ELi32ELi32ELi8ELi32ELi8ELi8ELi32ELc78ELc67EKPK16rocblas_bfloat16KPKfKPfEEvlllT_PT11_llSC_llSA_PT12_llPT13_lli,comdat
.Lfunc_end192:
	.size	_ZN12_GLOBAL__N_135rocblas_gemm_batched_general_kernelIfLi16ELi16ELi32ELi32ELi8ELi32ELi8ELi8ELi32ELc78ELc67EKPK16rocblas_bfloat16KPKfKPfEEvlllT_PT11_llSC_llSA_PT12_llPT13_lli, .Lfunc_end192-_ZN12_GLOBAL__N_135rocblas_gemm_batched_general_kernelIfLi16ELi16ELi32ELi32ELi8ELi32ELi8ELi8ELi32ELc78ELc67EKPK16rocblas_bfloat16KPKfKPfEEvlllT_PT11_llSC_llSA_PT12_llPT13_lli
                                        ; -- End function
	.set _ZN12_GLOBAL__N_135rocblas_gemm_batched_general_kernelIfLi16ELi16ELi32ELi32ELi8ELi32ELi8ELi8ELi32ELc78ELc67EKPK16rocblas_bfloat16KPKfKPfEEvlllT_PT11_llSC_llSA_PT12_llPT13_lli.num_vgpr, 56
	.set _ZN12_GLOBAL__N_135rocblas_gemm_batched_general_kernelIfLi16ELi16ELi32ELi32ELi8ELi32ELi8ELi8ELi32ELc78ELc67EKPK16rocblas_bfloat16KPKfKPfEEvlllT_PT11_llSC_llSA_PT12_llPT13_lli.num_agpr, 0
	.set _ZN12_GLOBAL__N_135rocblas_gemm_batched_general_kernelIfLi16ELi16ELi32ELi32ELi8ELi32ELi8ELi8ELi32ELc78ELc67EKPK16rocblas_bfloat16KPKfKPfEEvlllT_PT11_llSC_llSA_PT12_llPT13_lli.numbered_sgpr, 46
	.set _ZN12_GLOBAL__N_135rocblas_gemm_batched_general_kernelIfLi16ELi16ELi32ELi32ELi8ELi32ELi8ELi8ELi32ELc78ELc67EKPK16rocblas_bfloat16KPKfKPfEEvlllT_PT11_llSC_llSA_PT12_llPT13_lli.num_named_barrier, 0
	.set _ZN12_GLOBAL__N_135rocblas_gemm_batched_general_kernelIfLi16ELi16ELi32ELi32ELi8ELi32ELi8ELi8ELi32ELc78ELc67EKPK16rocblas_bfloat16KPKfKPfEEvlllT_PT11_llSC_llSA_PT12_llPT13_lli.private_seg_size, 0
	.set _ZN12_GLOBAL__N_135rocblas_gemm_batched_general_kernelIfLi16ELi16ELi32ELi32ELi8ELi32ELi8ELi8ELi32ELc78ELc67EKPK16rocblas_bfloat16KPKfKPfEEvlllT_PT11_llSC_llSA_PT12_llPT13_lli.uses_vcc, 1
	.set _ZN12_GLOBAL__N_135rocblas_gemm_batched_general_kernelIfLi16ELi16ELi32ELi32ELi8ELi32ELi8ELi8ELi32ELc78ELc67EKPK16rocblas_bfloat16KPKfKPfEEvlllT_PT11_llSC_llSA_PT12_llPT13_lli.uses_flat_scratch, 0
	.set _ZN12_GLOBAL__N_135rocblas_gemm_batched_general_kernelIfLi16ELi16ELi32ELi32ELi8ELi32ELi8ELi8ELi32ELc78ELc67EKPK16rocblas_bfloat16KPKfKPfEEvlllT_PT11_llSC_llSA_PT12_llPT13_lli.has_dyn_sized_stack, 0
	.set _ZN12_GLOBAL__N_135rocblas_gemm_batched_general_kernelIfLi16ELi16ELi32ELi32ELi8ELi32ELi8ELi8ELi32ELc78ELc67EKPK16rocblas_bfloat16KPKfKPfEEvlllT_PT11_llSC_llSA_PT12_llPT13_lli.has_recursion, 0
	.set _ZN12_GLOBAL__N_135rocblas_gemm_batched_general_kernelIfLi16ELi16ELi32ELi32ELi8ELi32ELi8ELi8ELi32ELc78ELc67EKPK16rocblas_bfloat16KPKfKPfEEvlllT_PT11_llSC_llSA_PT12_llPT13_lli.has_indirect_call, 0
	.section	.AMDGPU.csdata,"",@progbits
; Kernel info:
; codeLenInByte = 1840
; TotalNumSgprs: 48
; NumVgprs: 56
; ScratchSize: 0
; MemoryBound: 0
; FloatMode: 240
; IeeeMode: 1
; LDSByteSize: 2048 bytes/workgroup (compile time only)
; SGPRBlocks: 0
; VGPRBlocks: 3
; NumSGPRsForWavesPerEU: 48
; NumVGPRsForWavesPerEU: 56
; NamedBarCnt: 0
; Occupancy: 16
; WaveLimiterHint : 1
; COMPUTE_PGM_RSRC2:SCRATCH_EN: 0
; COMPUTE_PGM_RSRC2:USER_SGPR: 2
; COMPUTE_PGM_RSRC2:TRAP_HANDLER: 0
; COMPUTE_PGM_RSRC2:TGID_X_EN: 1
; COMPUTE_PGM_RSRC2:TGID_Y_EN: 1
; COMPUTE_PGM_RSRC2:TGID_Z_EN: 1
; COMPUTE_PGM_RSRC2:TIDIG_COMP_CNT: 1
	.section	.text._ZN12_GLOBAL__N_135rocblas_gemm_batched_general_kernelIfLi16ELi16ELi32ELi32ELi8ELi32ELi8ELi8ELi32ELc84ELc67EKPK16rocblas_bfloat16KPKfKPfEEvlllT_PT11_llSC_llSA_PT12_llPT13_lli,"axG",@progbits,_ZN12_GLOBAL__N_135rocblas_gemm_batched_general_kernelIfLi16ELi16ELi32ELi32ELi8ELi32ELi8ELi8ELi32ELc84ELc67EKPK16rocblas_bfloat16KPKfKPfEEvlllT_PT11_llSC_llSA_PT12_llPT13_lli,comdat
	.globl	_ZN12_GLOBAL__N_135rocblas_gemm_batched_general_kernelIfLi16ELi16ELi32ELi32ELi8ELi32ELi8ELi8ELi32ELc84ELc67EKPK16rocblas_bfloat16KPKfKPfEEvlllT_PT11_llSC_llSA_PT12_llPT13_lli ; -- Begin function _ZN12_GLOBAL__N_135rocblas_gemm_batched_general_kernelIfLi16ELi16ELi32ELi32ELi8ELi32ELi8ELi8ELi32ELc84ELc67EKPK16rocblas_bfloat16KPKfKPfEEvlllT_PT11_llSC_llSA_PT12_llPT13_lli
	.p2align	8
	.type	_ZN12_GLOBAL__N_135rocblas_gemm_batched_general_kernelIfLi16ELi16ELi32ELi32ELi8ELi32ELi8ELi8ELi32ELc84ELc67EKPK16rocblas_bfloat16KPKfKPfEEvlllT_PT11_llSC_llSA_PT12_llPT13_lli,@function
_ZN12_GLOBAL__N_135rocblas_gemm_batched_general_kernelIfLi16ELi16ELi32ELi32ELi8ELi32ELi8ELi8ELi32ELc84ELc67EKPK16rocblas_bfloat16KPKfKPfEEvlllT_PT11_llSC_llSA_PT12_llPT13_lli: ; @_ZN12_GLOBAL__N_135rocblas_gemm_batched_general_kernelIfLi16ELi16ELi32ELi32ELi8ELi32ELi8ELi8ELi32ELc84ELc67EKPK16rocblas_bfloat16KPKfKPfEEvlllT_PT11_llSC_llSA_PT12_llPT13_lli
; %bb.0:
	s_load_b32 s33, s[0:1], 0x88
	s_bfe_u32 s2, ttmp6, 0x40014
	s_lshr_b32 s3, ttmp7, 16
	s_add_co_i32 s2, s2, 1
	s_bfe_u32 s5, ttmp6, 0x40008
	s_mul_i32 s4, s3, s2
	s_getreg_b32 s2, hwreg(HW_REG_IB_STS2, 6, 4)
	s_add_co_i32 s5, s5, s4
	s_cmp_eq_u32 s2, 0
	s_mov_b32 s35, 0
	s_cselect_b32 s34, s3, s5
	s_wait_kmcnt 0x0
	s_cmp_ge_i32 s34, s33
	s_cbranch_scc1 .LBB193_34
; %bb.1:
	v_bfe_u32 v10, v0, 10, 10
	v_and_b32_e32 v12, 0x3ff, v0
	s_clause 0x6
	s_load_b128 s[4:7], s[0:1], 0x0
	s_load_b96 s[36:38], s[0:1], 0x10
	s_load_b256 s[8:15], s[0:1], 0x20
	s_load_b128 s[24:27], s[0:1], 0x40
	s_load_b32 s41, s[0:1], 0x50
	s_load_b128 s[28:31], s[0:1], 0x78
	s_load_b256 s[16:23], s[0:1], 0x58
	s_wait_xcnt 0x0
	s_bfe_u32 s0, ttmp6, 0x4000c
	s_bfe_u32 s3, ttmp6, 0x40010
	s_add_co_i32 s0, s0, 1
	s_and_b32 s39, ttmp7, 0xffff
	s_add_co_i32 s3, s3, 1
	s_and_b32 s1, ttmp6, 15
	s_mul_i32 s0, ttmp9, s0
	s_mul_i32 s3, s39, s3
	s_bfe_u32 s40, ttmp6, 0x40004
	v_lshl_add_u32 v6, v10, 4, v12
	s_add_co_i32 s1, s1, s0
	s_add_co_i32 s40, s40, s3
	s_cmp_eq_u32 s2, 0
	s_delay_alu instid0(VALU_DEP_1) | instskip(SKIP_3) | instid1(VALU_DEP_1)
	v_dual_mov_b32 v1, 0 :: v_dual_bitop2_b32 v8, 31, v6 bitop3:0x40
	s_cselect_b32 s0, ttmp9, s1
	s_cselect_b32 s40, s39, s40
	s_ashr_i32 s1, s0, 31
	v_dual_mov_b32 v11, v1 :: v_dual_bitop2_b32 v2, 7, v0 bitop3:0x40
	s_lshl_b64 s[2:3], s[0:1], 5
	v_dual_mov_b32 v3, v1 :: v_dual_lshrrev_b32 v14, 3, v6
	v_dual_mov_b32 v15, v1 :: v_dual_bitop2_b32 v4, s2, v8 bitop3:0x54
	s_delay_alu instid0(VALU_DEP_3) | instskip(SKIP_1) | instid1(VALU_DEP_3)
	v_dual_mov_b32 v5, s3 :: v_dual_lshlrev_b32 v9, 2, v2
	s_wait_kmcnt 0x0
	v_mul_u64_e32 v[16:17], s[24:25], v[2:3]
	s_lshl_b32 s0, s40, 5
	s_mov_b32 s1, s35
	v_mul_u64_e32 v[18:19], s[10:11], v[4:5]
	v_dual_lshrrev_b32 v0, 5, v6 :: v_dual_lshlrev_b32 v8, 2, v8
	v_add_nc_u64_e32 v[6:7], s[0:1], v[14:15]
	v_add_nc_u64_e32 v[20:21], s[0:1], v[10:11]
	v_lshl_or_b32 v9, v14, 5, v9
	v_dual_mov_b32 v13, v1 :: v_dual_lshlrev_b32 v30, 2, v12
	v_lshl_or_b32 v28, v0, 7, v8
	v_cmp_gt_i64_e64 s0, s[4:5], v[4:5]
	v_cmp_gt_i64_e64 s1, s[6:7], v[6:7]
	v_add_nc_u32_e32 v29, 0x400, v9
	v_mul_u64_e32 v[6:7], s[28:29], v[20:21]
	v_mul_u64_e32 v[8:9], s[18:19], v[20:21]
	v_add_nc_u64_e32 v[4:5], s[2:3], v[12:13]
	v_lshl_add_u32 v31, v10, 5, 0x400
	v_add_nc_u64_e32 v[12:13], 16, v[20:21]
	s_cmp_eq_f32 s41, 0
	s_mov_b32 s11, s35
	v_cmp_gt_i64_e64 s2, s[6:7], v[20:21]
	s_delay_alu instid0(VALU_DEP_4)
	v_add_nc_u64_e32 v[10:11], 16, v[4:5]
	s_cselect_b32 s39, -1, 0
	s_lshl_b32 s10, s40, 6
	s_lshl_b64 s[26:27], s[26:27], 1
	v_cmp_gt_i64_e64 s3, s[4:5], v[4:5]
	s_add_nc_u64 s[10:11], s[26:27], s[10:11]
	v_cmp_gt_i64_e64 s26, s[36:37], 0
	v_cmp_gt_i64_e64 s4, s[4:5], v[10:11]
	;; [unrolled: 1-line block ×3, first 2 shown]
	s_lshl_b64 s[6:7], s[12:13], 1
	v_lshl_add_u64 v[10:11], v[16:17], 1, s[10:11]
	v_dual_mov_b32 v13, v1 :: v_dual_lshlrev_b32 v12, 1, v14
	v_lshl_add_u64 v[14:15], v[18:19], 1, s[6:7]
	v_dual_mov_b32 v17, v1 :: v_dual_lshlrev_b32 v16, 1, v0
	s_lshl_b64 s[6:7], s[28:29], 4
	s_delay_alu instid0(VALU_DEP_3)
	v_add_nc_u64_e32 v[10:11], v[10:11], v[12:13]
	s_mov_b32 s40, s38
	s_lshl_b64 s[10:11], s[18:19], 4
	v_add_nc_u64_e32 v[12:13], v[14:15], v[16:17]
	s_lshl_b64 s[12:13], s[24:25], 4
	s_lshl_b64 s[18:19], s[30:31], 2
	;; [unrolled: 1-line block ×3, first 2 shown]
	s_branch .LBB193_4
.LBB193_2:                              ;   in Loop: Header=BB193_4 Depth=1
	s_wait_xcnt 0x0
	s_or_b32 exec_lo, exec_lo, s24
.LBB193_3:                              ;   in Loop: Header=BB193_4 Depth=1
	s_add_co_i32 s34, s34, 0x10000
	s_delay_alu instid0(SALU_CYCLE_1)
	s_cmp_lt_i32 s34, s33
	s_cbranch_scc0 .LBB193_34
.LBB193_4:                              ; =>This Loop Header: Depth=1
                                        ;     Child Loop BB193_7 Depth 2
	v_dual_mov_b32 v14, s34 :: v_dual_mov_b32 v19, 0
	v_dual_mov_b32 v18, 0 :: v_dual_mov_b32 v15, 0
	s_and_not1_b32 vcc_lo, exec_lo, s26
	s_clause 0x1
	global_load_b64 v[16:17], v14, s[16:17] scale_offset
	global_load_b64 v[20:21], v14, s[22:23] scale_offset
	s_wait_xcnt 0x0
	v_mov_b32_e32 v14, 0
	s_cbranch_vccnz .LBB193_11
; %bb.5:                                ;   in Loop: Header=BB193_4 Depth=1
	s_lshl_b64 s[24:25], s[34:35], 3
	v_mov_b32_e32 v18, 0
	s_add_nc_u64 s[28:29], s[14:15], s[24:25]
	s_add_nc_u64 s[24:25], s[8:9], s[24:25]
	s_clause 0x1
	global_load_b64 v[14:15], v1, s[28:29]
	global_load_b64 v[24:25], v1, s[24:25]
	s_wait_xcnt 0x0
	s_mov_b64 s[24:25], 0
	v_mov_b32_e32 v19, v18
	s_wait_loadcnt 0x1
	v_add_nc_u64_e32 v[22:23], v[14:15], v[10:11]
	s_wait_loadcnt 0x0
	v_add_nc_u64_e32 v[24:25], v[24:25], v[12:13]
	v_dual_mov_b32 v14, v18 :: v_dual_mov_b32 v15, v18
	s_branch .LBB193_7
.LBB193_6:                              ;   in Loop: Header=BB193_7 Depth=2
	s_wait_xcnt 0x0
	s_or_b32 exec_lo, exec_lo, s27
	ds_store_b32 v29, v27
	s_wait_dscnt 0x0
	s_barrier_signal -1
	s_barrier_wait -1
	ds_load_b128 v[32:35], v31
	ds_load_2addr_b32 v[26:27], v30 offset1:16
	ds_load_b128 v[36:39], v31 offset:512
	ds_load_2addr_b32 v[48:49], v30 offset0:32 offset1:48
	ds_load_2addr_b32 v[50:51], v30 offset0:64 offset1:80
	;; [unrolled: 1-line block ×3, first 2 shown]
	ds_load_b128 v[40:43], v31 offset:16
	ds_load_2addr_b32 v[54:55], v30 offset0:128 offset1:144
	ds_load_b128 v[44:47], v31 offset:528
	s_add_nc_u64 s[24:25], s[24:25], 8
	v_add_nc_u64_e32 v[22:23], s[12:13], v[22:23]
	v_cmp_lt_i64_e64 s27, s[24:25], s[36:37]
	v_add_nc_u64_e32 v[24:25], 16, v[24:25]
	s_and_b32 vcc_lo, exec_lo, s27
	s_wait_dscnt 0x7
	v_pk_fma_f32 v[18:19], v[26:27], v[32:33], v[18:19] op_sel_hi:[1,0,1]
	s_wait_dscnt 0x6
	v_pk_fma_f32 v[14:15], v[26:27], v[36:37], v[14:15] op_sel_hi:[1,0,1]
	ds_load_2addr_b32 v[26:27], v30 offset0:160 offset1:176
	s_wait_dscnt 0x6
	v_pk_fma_f32 v[18:19], v[48:49], v[32:33], v[18:19] op_sel:[0,1,0]
	v_pk_fma_f32 v[14:15], v[48:49], v[36:37], v[14:15] op_sel:[0,1,0]
	ds_load_2addr_b32 v[32:33], v30 offset0:192 offset1:208
	v_dual_mov_b32 v36, v35 :: v_dual_mov_b32 v48, v39
	s_wait_dscnt 0x6
	v_pk_fma_f32 v[18:19], v[50:51], v[34:35], v[18:19] op_sel_hi:[1,0,1]
	v_pk_fma_f32 v[14:15], v[50:51], v[38:39], v[14:15] op_sel_hi:[1,0,1]
	ds_load_2addr_b32 v[34:35], v30 offset0:224 offset1:240
	s_wait_dscnt 0x0
	s_barrier_signal -1
	v_pk_fma_f32 v[18:19], v[52:53], v[36:37], v[18:19] op_sel_hi:[1,0,1]
	v_pk_fma_f32 v[14:15], v[52:53], v[48:49], v[14:15] op_sel_hi:[1,0,1]
	s_barrier_wait -1
	v_mov_b32_e32 v36, v47
	s_delay_alu instid0(VALU_DEP_3) | instskip(NEXT) | instid1(VALU_DEP_3)
	v_pk_fma_f32 v[18:19], v[54:55], v[40:41], v[18:19] op_sel_hi:[1,0,1]
	v_pk_fma_f32 v[14:15], v[54:55], v[44:45], v[14:15] op_sel_hi:[1,0,1]
	s_delay_alu instid0(VALU_DEP_2) | instskip(NEXT) | instid1(VALU_DEP_2)
	v_pk_fma_f32 v[18:19], v[26:27], v[40:41], v[18:19] op_sel:[0,1,0]
	v_pk_fma_f32 v[14:15], v[26:27], v[44:45], v[14:15] op_sel:[0,1,0]
	v_mov_b32_e32 v26, v43
	s_delay_alu instid0(VALU_DEP_3) | instskip(NEXT) | instid1(VALU_DEP_3)
	v_pk_fma_f32 v[18:19], v[32:33], v[42:43], v[18:19] op_sel_hi:[1,0,1]
	v_pk_fma_f32 v[14:15], v[32:33], v[46:47], v[14:15] op_sel_hi:[1,0,1]
	s_delay_alu instid0(VALU_DEP_2) | instskip(NEXT) | instid1(VALU_DEP_2)
	v_pk_fma_f32 v[18:19], v[34:35], v[26:27], v[18:19] op_sel_hi:[1,0,1]
	v_pk_fma_f32 v[14:15], v[34:35], v[36:37], v[14:15] op_sel_hi:[1,0,1]
	s_cbranch_vccz .LBB193_11
.LBB193_7:                              ;   Parent Loop BB193_4 Depth=1
                                        ; =>  This Inner Loop Header: Depth=2
	v_add_nc_u64_e32 v[26:27], s[24:25], v[0:1]
	s_delay_alu instid0(VALU_DEP_1) | instskip(SKIP_2) | instid1(SALU_CYCLE_1)
	v_cmp_gt_i64_e32 vcc_lo, s[36:37], v[26:27]
	v_mov_b32_e32 v26, 0
	s_and_b32 s28, s0, vcc_lo
	s_and_saveexec_b32 s27, s28
	s_cbranch_execz .LBB193_9
; %bb.8:                                ;   in Loop: Header=BB193_7 Depth=2
	flat_load_u16 v26, v[24:25]
	s_wait_loadcnt_dscnt 0x0
	v_lshlrev_b32_e32 v26, 16, v26
.LBB193_9:                              ;   in Loop: Header=BB193_7 Depth=2
	s_wait_xcnt 0x0
	s_or_b32 exec_lo, exec_lo, s27
	v_add_nc_u64_e32 v[32:33], s[24:25], v[2:3]
	v_mov_b32_e32 v27, 0
	ds_store_b32 v28, v26
	v_cmp_gt_i64_e32 vcc_lo, s[36:37], v[32:33]
	s_and_b32 s28, vcc_lo, s1
	s_delay_alu instid0(SALU_CYCLE_1)
	s_and_saveexec_b32 s27, s28
	s_cbranch_execz .LBB193_6
; %bb.10:                               ;   in Loop: Header=BB193_7 Depth=2
	flat_load_u16 v26, v[22:23]
	s_wait_loadcnt_dscnt 0x0
	v_lshlrev_b32_e32 v27, 16, v26
	s_branch .LBB193_6
.LBB193_11:                             ;   in Loop: Header=BB193_4 Depth=1
	s_wait_loadcnt 0x0
	v_add_nc_u64_e32 v[20:21], s[18:19], v[20:21]
	s_and_not1_b32 vcc_lo, exec_lo, s39
	s_cbranch_vccnz .LBB193_16
; %bb.12:                               ;   in Loop: Header=BB193_4 Depth=1
	s_and_saveexec_b32 s24, s2
	s_cbranch_execz .LBB193_23
; %bb.13:                               ;   in Loop: Header=BB193_4 Depth=1
	s_delay_alu instid0(VALU_DEP_1) | instskip(NEXT) | instid1(VALU_DEP_1)
	v_lshl_add_u64 v[22:23], v[6:7], 2, v[20:21]
	v_lshl_add_u64 v[24:25], v[4:5], 2, v[22:23]
	s_and_saveexec_b32 s25, s3
	s_cbranch_execnz .LBB193_17
; %bb.14:                               ;   in Loop: Header=BB193_4 Depth=1
	s_or_b32 exec_lo, exec_lo, s25
	s_and_saveexec_b32 s25, s4
	s_cbranch_execnz .LBB193_18
.LBB193_15:                             ;   in Loop: Header=BB193_4 Depth=1
	s_or_b32 exec_lo, exec_lo, s25
	s_delay_alu instid0(SALU_CYCLE_1)
	s_and_b32 exec_lo, exec_lo, s5
	s_cbranch_execnz .LBB193_19
	s_branch .LBB193_23
.LBB193_16:                             ;   in Loop: Header=BB193_4 Depth=1
	s_branch .LBB193_24
.LBB193_17:                             ;   in Loop: Header=BB193_4 Depth=1
	v_mul_f32_e32 v26, s38, v18
	flat_store_b32 v[24:25], v26
	s_wait_xcnt 0x0
	s_or_b32 exec_lo, exec_lo, s25
	s_and_saveexec_b32 s25, s4
	s_cbranch_execz .LBB193_15
.LBB193_18:                             ;   in Loop: Header=BB193_4 Depth=1
	v_mul_f32_e32 v26, s38, v19
	flat_store_b32 v[24:25], v26 offset:64
	s_wait_xcnt 0x0
	s_or_b32 exec_lo, exec_lo, s25
	s_delay_alu instid0(SALU_CYCLE_1)
	s_and_b32 exec_lo, exec_lo, s5
	s_cbranch_execz .LBB193_23
.LBB193_19:                             ;   in Loop: Header=BB193_4 Depth=1
	v_lshl_add_u64 v[22:23], s[6:7], 2, v[22:23]
	s_delay_alu instid0(VALU_DEP_1)
	v_lshl_add_u64 v[22:23], v[4:5], 2, v[22:23]
	s_and_saveexec_b32 s25, s3
	s_cbranch_execz .LBB193_21
; %bb.20:                               ;   in Loop: Header=BB193_4 Depth=1
	v_mul_f32_e32 v24, s38, v14
	flat_store_b32 v[22:23], v24
.LBB193_21:                             ;   in Loop: Header=BB193_4 Depth=1
	s_wait_xcnt 0x0
	s_or_b32 exec_lo, exec_lo, s25
	s_delay_alu instid0(SALU_CYCLE_1)
	s_and_b32 exec_lo, exec_lo, s4
	s_cbranch_execz .LBB193_23
; %bb.22:                               ;   in Loop: Header=BB193_4 Depth=1
	v_mul_f32_e32 v24, s38, v15
	flat_store_b32 v[22:23], v24 offset:64
.LBB193_23:                             ;   in Loop: Header=BB193_4 Depth=1
	s_wait_xcnt 0x0
	s_or_b32 exec_lo, exec_lo, s24
	s_cbranch_execnz .LBB193_3
.LBB193_24:                             ;   in Loop: Header=BB193_4 Depth=1
	s_and_saveexec_b32 s24, s2
	s_cbranch_execz .LBB193_2
; %bb.25:                               ;   in Loop: Header=BB193_4 Depth=1
	v_add_nc_u64_e32 v[22:23], s[20:21], v[16:17]
	v_lshlrev_b64_e32 v[16:17], 2, v[4:5]
	v_lshl_add_u64 v[20:21], v[6:7], 2, v[20:21]
	s_delay_alu instid0(VALU_DEP_3) | instskip(NEXT) | instid1(VALU_DEP_2)
	v_lshl_add_u64 v[22:23], v[8:9], 2, v[22:23]
	v_add_nc_u64_e32 v[24:25], v[20:21], v[16:17]
	s_delay_alu instid0(VALU_DEP_2)
	v_add_nc_u64_e32 v[26:27], v[22:23], v[16:17]
	s_and_saveexec_b32 s25, s3
	s_cbranch_execnz .LBB193_28
; %bb.26:                               ;   in Loop: Header=BB193_4 Depth=1
	s_or_b32 exec_lo, exec_lo, s25
	s_and_saveexec_b32 s25, s4
	s_cbranch_execnz .LBB193_29
.LBB193_27:                             ;   in Loop: Header=BB193_4 Depth=1
	s_or_b32 exec_lo, exec_lo, s25
	s_delay_alu instid0(SALU_CYCLE_1)
	s_and_b32 exec_lo, exec_lo, s5
	s_cbranch_execz .LBB193_2
	s_branch .LBB193_30
.LBB193_28:                             ;   in Loop: Header=BB193_4 Depth=1
	flat_load_b32 v33, v[26:27]
	v_mov_b64_e32 v[34:35], s[40:41]
	v_mov_b32_e32 v32, v18
	s_wait_loadcnt_dscnt 0x0
	s_delay_alu instid0(VALU_DEP_1) | instskip(NEXT) | instid1(VALU_DEP_1)
	v_pk_mul_f32 v[32:33], v[34:35], v[32:33]
	v_add_f32_e32 v18, v32, v33
	flat_store_b32 v[24:25], v18
	s_wait_xcnt 0x0
	s_or_b32 exec_lo, exec_lo, s25
	s_and_saveexec_b32 s25, s4
	s_cbranch_execz .LBB193_27
.LBB193_29:                             ;   in Loop: Header=BB193_4 Depth=1
	flat_load_b32 v27, v[26:27] offset:64
	s_wait_xcnt 0x0
	v_mov_b32_e32 v26, v19
	v_mov_b64_e32 v[18:19], s[40:41]
	s_wait_loadcnt_dscnt 0x0
	s_delay_alu instid0(VALU_DEP_1) | instskip(NEXT) | instid1(VALU_DEP_1)
	v_pk_mul_f32 v[18:19], v[18:19], v[26:27]
	v_add_f32_e32 v18, v18, v19
	flat_store_b32 v[24:25], v18 offset:64
	s_wait_xcnt 0x0
	s_or_b32 exec_lo, exec_lo, s25
	s_delay_alu instid0(SALU_CYCLE_1)
	s_and_b32 exec_lo, exec_lo, s5
	s_cbranch_execz .LBB193_2
.LBB193_30:                             ;   in Loop: Header=BB193_4 Depth=1
	v_lshl_add_u64 v[18:19], s[10:11], 2, v[22:23]
	v_lshl_add_u64 v[20:21], s[6:7], 2, v[20:21]
	s_delay_alu instid0(VALU_DEP_2) | instskip(NEXT) | instid1(VALU_DEP_2)
	v_add_nc_u64_e32 v[18:19], v[18:19], v[16:17]
	v_add_nc_u64_e32 v[16:17], v[20:21], v[16:17]
	s_and_saveexec_b32 s25, s3
	s_cbranch_execz .LBB193_32
; %bb.31:                               ;   in Loop: Header=BB193_4 Depth=1
	flat_load_b32 v21, v[18:19]
	v_mov_b64_e32 v[22:23], s[40:41]
	v_mov_b32_e32 v20, v14
	s_wait_loadcnt_dscnt 0x0
	s_delay_alu instid0(VALU_DEP_1) | instskip(NEXT) | instid1(VALU_DEP_1)
	v_pk_mul_f32 v[20:21], v[22:23], v[20:21]
	v_add_f32_e32 v14, v20, v21
	flat_store_b32 v[16:17], v14
.LBB193_32:                             ;   in Loop: Header=BB193_4 Depth=1
	s_wait_xcnt 0x0
	s_or_b32 exec_lo, exec_lo, s25
	s_delay_alu instid0(SALU_CYCLE_1)
	s_and_b32 exec_lo, exec_lo, s4
	s_cbranch_execz .LBB193_2
; %bb.33:                               ;   in Loop: Header=BB193_4 Depth=1
	flat_load_b32 v19, v[18:19] offset:64
	s_wait_xcnt 0x0
	v_mov_b32_e32 v18, v15
	v_mov_b64_e32 v[14:15], s[40:41]
	s_wait_loadcnt_dscnt 0x0
	s_delay_alu instid0(VALU_DEP_1) | instskip(NEXT) | instid1(VALU_DEP_1)
	v_pk_mul_f32 v[14:15], v[14:15], v[18:19]
	v_add_f32_e32 v14, v14, v15
	flat_store_b32 v[16:17], v14 offset:64
	s_branch .LBB193_2
.LBB193_34:
	s_endpgm
	.section	.rodata,"a",@progbits
	.p2align	6, 0x0
	.amdhsa_kernel _ZN12_GLOBAL__N_135rocblas_gemm_batched_general_kernelIfLi16ELi16ELi32ELi32ELi8ELi32ELi8ELi8ELi32ELc84ELc67EKPK16rocblas_bfloat16KPKfKPfEEvlllT_PT11_llSC_llSA_PT12_llPT13_lli
		.amdhsa_group_segment_fixed_size 2048
		.amdhsa_private_segment_fixed_size 0
		.amdhsa_kernarg_size 140
		.amdhsa_user_sgpr_count 2
		.amdhsa_user_sgpr_dispatch_ptr 0
		.amdhsa_user_sgpr_queue_ptr 0
		.amdhsa_user_sgpr_kernarg_segment_ptr 1
		.amdhsa_user_sgpr_dispatch_id 0
		.amdhsa_user_sgpr_kernarg_preload_length 0
		.amdhsa_user_sgpr_kernarg_preload_offset 0
		.amdhsa_user_sgpr_private_segment_size 0
		.amdhsa_wavefront_size32 1
		.amdhsa_uses_dynamic_stack 0
		.amdhsa_enable_private_segment 0
		.amdhsa_system_sgpr_workgroup_id_x 1
		.amdhsa_system_sgpr_workgroup_id_y 1
		.amdhsa_system_sgpr_workgroup_id_z 1
		.amdhsa_system_sgpr_workgroup_info 0
		.amdhsa_system_vgpr_workitem_id 1
		.amdhsa_next_free_vgpr 56
		.amdhsa_next_free_sgpr 42
		.amdhsa_named_barrier_count 0
		.amdhsa_reserve_vcc 1
		.amdhsa_float_round_mode_32 0
		.amdhsa_float_round_mode_16_64 0
		.amdhsa_float_denorm_mode_32 3
		.amdhsa_float_denorm_mode_16_64 3
		.amdhsa_fp16_overflow 0
		.amdhsa_memory_ordered 1
		.amdhsa_forward_progress 1
		.amdhsa_inst_pref_size 15
		.amdhsa_round_robin_scheduling 0
		.amdhsa_exception_fp_ieee_invalid_op 0
		.amdhsa_exception_fp_denorm_src 0
		.amdhsa_exception_fp_ieee_div_zero 0
		.amdhsa_exception_fp_ieee_overflow 0
		.amdhsa_exception_fp_ieee_underflow 0
		.amdhsa_exception_fp_ieee_inexact 0
		.amdhsa_exception_int_div_zero 0
	.end_amdhsa_kernel
	.section	.text._ZN12_GLOBAL__N_135rocblas_gemm_batched_general_kernelIfLi16ELi16ELi32ELi32ELi8ELi32ELi8ELi8ELi32ELc84ELc67EKPK16rocblas_bfloat16KPKfKPfEEvlllT_PT11_llSC_llSA_PT12_llPT13_lli,"axG",@progbits,_ZN12_GLOBAL__N_135rocblas_gemm_batched_general_kernelIfLi16ELi16ELi32ELi32ELi8ELi32ELi8ELi8ELi32ELc84ELc67EKPK16rocblas_bfloat16KPKfKPfEEvlllT_PT11_llSC_llSA_PT12_llPT13_lli,comdat
.Lfunc_end193:
	.size	_ZN12_GLOBAL__N_135rocblas_gemm_batched_general_kernelIfLi16ELi16ELi32ELi32ELi8ELi32ELi8ELi8ELi32ELc84ELc67EKPK16rocblas_bfloat16KPKfKPfEEvlllT_PT11_llSC_llSA_PT12_llPT13_lli, .Lfunc_end193-_ZN12_GLOBAL__N_135rocblas_gemm_batched_general_kernelIfLi16ELi16ELi32ELi32ELi8ELi32ELi8ELi8ELi32ELc84ELc67EKPK16rocblas_bfloat16KPKfKPfEEvlllT_PT11_llSC_llSA_PT12_llPT13_lli
                                        ; -- End function
	.set _ZN12_GLOBAL__N_135rocblas_gemm_batched_general_kernelIfLi16ELi16ELi32ELi32ELi8ELi32ELi8ELi8ELi32ELc84ELc67EKPK16rocblas_bfloat16KPKfKPfEEvlllT_PT11_llSC_llSA_PT12_llPT13_lli.num_vgpr, 56
	.set _ZN12_GLOBAL__N_135rocblas_gemm_batched_general_kernelIfLi16ELi16ELi32ELi32ELi8ELi32ELi8ELi8ELi32ELc84ELc67EKPK16rocblas_bfloat16KPKfKPfEEvlllT_PT11_llSC_llSA_PT12_llPT13_lli.num_agpr, 0
	.set _ZN12_GLOBAL__N_135rocblas_gemm_batched_general_kernelIfLi16ELi16ELi32ELi32ELi8ELi32ELi8ELi8ELi32ELc84ELc67EKPK16rocblas_bfloat16KPKfKPfEEvlllT_PT11_llSC_llSA_PT12_llPT13_lli.numbered_sgpr, 42
	.set _ZN12_GLOBAL__N_135rocblas_gemm_batched_general_kernelIfLi16ELi16ELi32ELi32ELi8ELi32ELi8ELi8ELi32ELc84ELc67EKPK16rocblas_bfloat16KPKfKPfEEvlllT_PT11_llSC_llSA_PT12_llPT13_lli.num_named_barrier, 0
	.set _ZN12_GLOBAL__N_135rocblas_gemm_batched_general_kernelIfLi16ELi16ELi32ELi32ELi8ELi32ELi8ELi8ELi32ELc84ELc67EKPK16rocblas_bfloat16KPKfKPfEEvlllT_PT11_llSC_llSA_PT12_llPT13_lli.private_seg_size, 0
	.set _ZN12_GLOBAL__N_135rocblas_gemm_batched_general_kernelIfLi16ELi16ELi32ELi32ELi8ELi32ELi8ELi8ELi32ELc84ELc67EKPK16rocblas_bfloat16KPKfKPfEEvlllT_PT11_llSC_llSA_PT12_llPT13_lli.uses_vcc, 1
	.set _ZN12_GLOBAL__N_135rocblas_gemm_batched_general_kernelIfLi16ELi16ELi32ELi32ELi8ELi32ELi8ELi8ELi32ELc84ELc67EKPK16rocblas_bfloat16KPKfKPfEEvlllT_PT11_llSC_llSA_PT12_llPT13_lli.uses_flat_scratch, 0
	.set _ZN12_GLOBAL__N_135rocblas_gemm_batched_general_kernelIfLi16ELi16ELi32ELi32ELi8ELi32ELi8ELi8ELi32ELc84ELc67EKPK16rocblas_bfloat16KPKfKPfEEvlllT_PT11_llSC_llSA_PT12_llPT13_lli.has_dyn_sized_stack, 0
	.set _ZN12_GLOBAL__N_135rocblas_gemm_batched_general_kernelIfLi16ELi16ELi32ELi32ELi8ELi32ELi8ELi8ELi32ELc84ELc67EKPK16rocblas_bfloat16KPKfKPfEEvlllT_PT11_llSC_llSA_PT12_llPT13_lli.has_recursion, 0
	.set _ZN12_GLOBAL__N_135rocblas_gemm_batched_general_kernelIfLi16ELi16ELi32ELi32ELi8ELi32ELi8ELi8ELi32ELc84ELc67EKPK16rocblas_bfloat16KPKfKPfEEvlllT_PT11_llSC_llSA_PT12_llPT13_lli.has_indirect_call, 0
	.section	.AMDGPU.csdata,"",@progbits
; Kernel info:
; codeLenInByte = 1848
; TotalNumSgprs: 44
; NumVgprs: 56
; ScratchSize: 0
; MemoryBound: 0
; FloatMode: 240
; IeeeMode: 1
; LDSByteSize: 2048 bytes/workgroup (compile time only)
; SGPRBlocks: 0
; VGPRBlocks: 3
; NumSGPRsForWavesPerEU: 44
; NumVGPRsForWavesPerEU: 56
; NamedBarCnt: 0
; Occupancy: 16
; WaveLimiterHint : 1
; COMPUTE_PGM_RSRC2:SCRATCH_EN: 0
; COMPUTE_PGM_RSRC2:USER_SGPR: 2
; COMPUTE_PGM_RSRC2:TRAP_HANDLER: 0
; COMPUTE_PGM_RSRC2:TGID_X_EN: 1
; COMPUTE_PGM_RSRC2:TGID_Y_EN: 1
; COMPUTE_PGM_RSRC2:TGID_Z_EN: 1
; COMPUTE_PGM_RSRC2:TIDIG_COMP_CNT: 1
	.section	.text._ZN12_GLOBAL__N_120gemm_ex_scale_kernelILi32ELi32EiPKPKiPKPiEEviiT1_T2_lllT3_llli,"axG",@progbits,_ZN12_GLOBAL__N_120gemm_ex_scale_kernelILi32ELi32EiPKPKiPKPiEEviiT1_T2_lllT3_llli,comdat
	.globl	_ZN12_GLOBAL__N_120gemm_ex_scale_kernelILi32ELi32EiPKPKiPKPiEEviiT1_T2_lllT3_llli ; -- Begin function _ZN12_GLOBAL__N_120gemm_ex_scale_kernelILi32ELi32EiPKPKiPKPiEEviiT1_T2_lllT3_llli
	.p2align	8
	.type	_ZN12_GLOBAL__N_120gemm_ex_scale_kernelILi32ELi32EiPKPKiPKPiEEviiT1_T2_lllT3_llli,@function
_ZN12_GLOBAL__N_120gemm_ex_scale_kernelILi32ELi32EiPKPKiPKPiEEviiT1_T2_lllT3_llli: ; @_ZN12_GLOBAL__N_120gemm_ex_scale_kernelILi32ELi32EiPKPKiPKPiEEviiT1_T2_lllT3_llli
; %bb.0:
	s_load_b32 s15, s[0:1], 0x50
	s_bfe_u32 s2, ttmp6, 0x40014
	s_lshr_b32 s3, ttmp7, 16
	s_add_co_i32 s2, s2, 1
	s_bfe_u32 s4, ttmp6, 0x40008
	s_mul_i32 s2, s3, s2
	s_getreg_b32 s8, hwreg(HW_REG_IB_STS2, 6, 4)
	s_add_co_i32 s4, s4, s2
	s_cmp_eq_u32 s8, 0
	s_cselect_b32 s2, s3, s4
	s_mov_b32 s3, 0
	s_wait_kmcnt 0x0
	s_cmp_ge_u32 s2, s15
	s_cbranch_scc1 .LBB194_10
; %bb.1:
	s_clause 0x3
	s_load_b96 s[12:14], s[0:1], 0x0
	s_load_b128 s[4:7], s[0:1], 0x10
	s_load_b64 s[18:19], s[0:1], 0x20
	s_load_b64 s[20:21], s[0:1], 0x40
	v_bfe_u32 v1, v0, 10, 10
	v_mov_b32_e32 v7, 0
	v_and_b32_e32 v0, 0x3ff, v0
	s_wait_kmcnt 0x0
	s_cmp_lg_u32 s14, 0
	s_cselect_b32 s16, -1, 0
	s_bfe_u32 s10, ttmp6, 0x40010
	s_bfe_u32 s22, ttmp6, 0x4000c
	s_and_b32 s9, ttmp7, 0xffff
	s_add_co_i32 s10, s10, 1
	s_add_co_i32 s22, s22, 1
	s_bfe_u32 s11, ttmp6, 0x40004
	s_and_b32 s17, ttmp6, 15
	s_mul_i32 s10, s9, s10
	s_mul_i32 s22, ttmp9, s22
	s_add_co_i32 s11, s11, s10
	s_add_co_i32 s17, s17, s22
	s_cmp_eq_u32 s8, 0
	s_cselect_b32 s8, s9, s11
	s_delay_alu instid0(SALU_CYCLE_1)
	v_lshl_add_u32 v6, s8, 5, v1
	s_load_b128 s[8:11], s[0:1], 0x30
	s_wait_xcnt 0x0
	s_cselect_b32 s0, ttmp9, s17
	v_mov_b32_e32 v1, v7
	v_lshl_add_u32 v0, s0, 5, v0
	v_mul_u64_e32 v[2:3], s[18:19], v[6:7]
	v_mul_u64_e32 v[4:5], s[20:21], v[6:7]
	v_cmp_gt_u32_e64 s0, s13, v6
	s_delay_alu instid0(VALU_DEP_4)
	v_cmp_gt_u32_e32 vcc_lo, s12, v0
	s_and_b32 s12, vcc_lo, s0
	s_lshl_b64 s[0:1], s[6:7], 2
	s_wait_kmcnt 0x0
	s_lshl_b64 s[6:7], s[10:11], 2
	s_branch .LBB194_5
.LBB194_2:                              ;   in Loop: Header=BB194_5 Depth=1
	v_lshl_add_u64 v[6:7], v[2:3], 2, s[10:11]
	s_delay_alu instid0(VALU_DEP_1)
	v_lshl_add_u64 v[6:7], v[0:1], 2, v[6:7]
	flat_load_b32 v6, v[6:7]
	s_wait_loadcnt_dscnt 0x0
	s_wait_xcnt 0x0
	v_mul_lo_u32 v6, v6, s14
.LBB194_3:                              ;   in Loop: Header=BB194_5 Depth=1
	s_lshl_b64 s[10:11], s[2:3], 3
	s_delay_alu instid0(SALU_CYCLE_1) | instskip(SKIP_4) | instid1(SALU_CYCLE_1)
	s_add_nc_u64 s[10:11], s[8:9], s[10:11]
	s_load_b64 s[10:11], s[10:11], 0x0
	s_wait_kmcnt 0x0
	s_wait_xcnt 0x0
	s_add_nc_u64 s[10:11], s[10:11], s[6:7]
	v_lshl_add_u64 v[8:9], v[4:5], 2, s[10:11]
	s_delay_alu instid0(VALU_DEP_1)
	v_lshl_add_u64 v[8:9], v[0:1], 2, v[8:9]
	flat_store_b32 v[8:9], v6
.LBB194_4:                              ;   in Loop: Header=BB194_5 Depth=1
	s_wait_xcnt 0x0
	s_or_b32 exec_lo, exec_lo, s13
	s_add_co_i32 s2, s2, 0x10000
	s_delay_alu instid0(SALU_CYCLE_1)
	s_cmp_lt_u32 s2, s15
	s_cbranch_scc0 .LBB194_10
.LBB194_5:                              ; =>This Inner Loop Header: Depth=1
	s_and_not1_b32 vcc_lo, exec_lo, s16
	s_cbranch_vccnz .LBB194_7
; %bb.6:                                ;   in Loop: Header=BB194_5 Depth=1
	s_lshl_b64 s[10:11], s[2:3], 3
	s_delay_alu instid0(SALU_CYCLE_1)
	s_add_nc_u64 s[10:11], s[4:5], s[10:11]
	s_load_b64 s[10:11], s[10:11], 0x0
	s_wait_kmcnt 0x0
	s_wait_xcnt 0x0
	s_add_nc_u64 s[10:11], s[10:11], s[0:1]
	s_and_saveexec_b32 s13, s12
	s_cbranch_execz .LBB194_4
	s_branch .LBB194_8
.LBB194_7:                              ;   in Loop: Header=BB194_5 Depth=1
	s_mov_b64 s[10:11], 0
	s_and_saveexec_b32 s13, s12
	s_cbranch_execz .LBB194_4
.LBB194_8:                              ;   in Loop: Header=BB194_5 Depth=1
	s_and_not1_b32 vcc_lo, exec_lo, s16
	s_cbranch_vccz .LBB194_2
; %bb.9:                                ;   in Loop: Header=BB194_5 Depth=1
	v_mov_b32_e32 v6, 0
	s_branch .LBB194_3
.LBB194_10:
	s_endpgm
	.section	.rodata,"a",@progbits
	.p2align	6, 0x0
	.amdhsa_kernel _ZN12_GLOBAL__N_120gemm_ex_scale_kernelILi32ELi32EiPKPKiPKPiEEviiT1_T2_lllT3_llli
		.amdhsa_group_segment_fixed_size 0
		.amdhsa_private_segment_fixed_size 0
		.amdhsa_kernarg_size 84
		.amdhsa_user_sgpr_count 2
		.amdhsa_user_sgpr_dispatch_ptr 0
		.amdhsa_user_sgpr_queue_ptr 0
		.amdhsa_user_sgpr_kernarg_segment_ptr 1
		.amdhsa_user_sgpr_dispatch_id 0
		.amdhsa_user_sgpr_kernarg_preload_length 0
		.amdhsa_user_sgpr_kernarg_preload_offset 0
		.amdhsa_user_sgpr_private_segment_size 0
		.amdhsa_wavefront_size32 1
		.amdhsa_uses_dynamic_stack 0
		.amdhsa_enable_private_segment 0
		.amdhsa_system_sgpr_workgroup_id_x 1
		.amdhsa_system_sgpr_workgroup_id_y 1
		.amdhsa_system_sgpr_workgroup_id_z 1
		.amdhsa_system_sgpr_workgroup_info 0
		.amdhsa_system_vgpr_workitem_id 1
		.amdhsa_next_free_vgpr 10
		.amdhsa_next_free_sgpr 23
		.amdhsa_named_barrier_count 0
		.amdhsa_reserve_vcc 1
		.amdhsa_float_round_mode_32 0
		.amdhsa_float_round_mode_16_64 0
		.amdhsa_float_denorm_mode_32 3
		.amdhsa_float_denorm_mode_16_64 3
		.amdhsa_fp16_overflow 0
		.amdhsa_memory_ordered 1
		.amdhsa_forward_progress 1
		.amdhsa_inst_pref_size 4
		.amdhsa_round_robin_scheduling 0
		.amdhsa_exception_fp_ieee_invalid_op 0
		.amdhsa_exception_fp_denorm_src 0
		.amdhsa_exception_fp_ieee_div_zero 0
		.amdhsa_exception_fp_ieee_overflow 0
		.amdhsa_exception_fp_ieee_underflow 0
		.amdhsa_exception_fp_ieee_inexact 0
		.amdhsa_exception_int_div_zero 0
	.end_amdhsa_kernel
	.section	.text._ZN12_GLOBAL__N_120gemm_ex_scale_kernelILi32ELi32EiPKPKiPKPiEEviiT1_T2_lllT3_llli,"axG",@progbits,_ZN12_GLOBAL__N_120gemm_ex_scale_kernelILi32ELi32EiPKPKiPKPiEEviiT1_T2_lllT3_llli,comdat
.Lfunc_end194:
	.size	_ZN12_GLOBAL__N_120gemm_ex_scale_kernelILi32ELi32EiPKPKiPKPiEEviiT1_T2_lllT3_llli, .Lfunc_end194-_ZN12_GLOBAL__N_120gemm_ex_scale_kernelILi32ELi32EiPKPKiPKPiEEviiT1_T2_lllT3_llli
                                        ; -- End function
	.set _ZN12_GLOBAL__N_120gemm_ex_scale_kernelILi32ELi32EiPKPKiPKPiEEviiT1_T2_lllT3_llli.num_vgpr, 10
	.set _ZN12_GLOBAL__N_120gemm_ex_scale_kernelILi32ELi32EiPKPKiPKPiEEviiT1_T2_lllT3_llli.num_agpr, 0
	.set _ZN12_GLOBAL__N_120gemm_ex_scale_kernelILi32ELi32EiPKPKiPKPiEEviiT1_T2_lllT3_llli.numbered_sgpr, 23
	.set _ZN12_GLOBAL__N_120gemm_ex_scale_kernelILi32ELi32EiPKPKiPKPiEEviiT1_T2_lllT3_llli.num_named_barrier, 0
	.set _ZN12_GLOBAL__N_120gemm_ex_scale_kernelILi32ELi32EiPKPKiPKPiEEviiT1_T2_lllT3_llli.private_seg_size, 0
	.set _ZN12_GLOBAL__N_120gemm_ex_scale_kernelILi32ELi32EiPKPKiPKPiEEviiT1_T2_lllT3_llli.uses_vcc, 1
	.set _ZN12_GLOBAL__N_120gemm_ex_scale_kernelILi32ELi32EiPKPKiPKPiEEviiT1_T2_lllT3_llli.uses_flat_scratch, 0
	.set _ZN12_GLOBAL__N_120gemm_ex_scale_kernelILi32ELi32EiPKPKiPKPiEEviiT1_T2_lllT3_llli.has_dyn_sized_stack, 0
	.set _ZN12_GLOBAL__N_120gemm_ex_scale_kernelILi32ELi32EiPKPKiPKPiEEviiT1_T2_lllT3_llli.has_recursion, 0
	.set _ZN12_GLOBAL__N_120gemm_ex_scale_kernelILi32ELi32EiPKPKiPKPiEEviiT1_T2_lllT3_llli.has_indirect_call, 0
	.section	.AMDGPU.csdata,"",@progbits
; Kernel info:
; codeLenInByte = 512
; TotalNumSgprs: 25
; NumVgprs: 10
; ScratchSize: 0
; MemoryBound: 0
; FloatMode: 240
; IeeeMode: 1
; LDSByteSize: 0 bytes/workgroup (compile time only)
; SGPRBlocks: 0
; VGPRBlocks: 0
; NumSGPRsForWavesPerEU: 25
; NumVGPRsForWavesPerEU: 10
; NamedBarCnt: 0
; Occupancy: 16
; WaveLimiterHint : 1
; COMPUTE_PGM_RSRC2:SCRATCH_EN: 0
; COMPUTE_PGM_RSRC2:USER_SGPR: 2
; COMPUTE_PGM_RSRC2:TRAP_HANDLER: 0
; COMPUTE_PGM_RSRC2:TGID_X_EN: 1
; COMPUTE_PGM_RSRC2:TGID_Y_EN: 1
; COMPUTE_PGM_RSRC2:TGID_Z_EN: 1
; COMPUTE_PGM_RSRC2:TIDIG_COMP_CNT: 1
	.section	.text._ZN12_GLOBAL__N_127rocblas_gemm_batched_kernelIiLi16ELi16ELi64ELi64ELi4ELi64ELi4ELi4ELi64ELc78ELc78EKPKaKPKiKPiEEvlllT_PT11_llSB_llS9_PT12_llPT13_lli,"axG",@progbits,_ZN12_GLOBAL__N_127rocblas_gemm_batched_kernelIiLi16ELi16ELi64ELi64ELi4ELi64ELi4ELi4ELi64ELc78ELc78EKPKaKPKiKPiEEvlllT_PT11_llSB_llS9_PT12_llPT13_lli,comdat
	.globl	_ZN12_GLOBAL__N_127rocblas_gemm_batched_kernelIiLi16ELi16ELi64ELi64ELi4ELi64ELi4ELi4ELi64ELc78ELc78EKPKaKPKiKPiEEvlllT_PT11_llSB_llS9_PT12_llPT13_lli ; -- Begin function _ZN12_GLOBAL__N_127rocblas_gemm_batched_kernelIiLi16ELi16ELi64ELi64ELi4ELi64ELi4ELi4ELi64ELc78ELc78EKPKaKPKiKPiEEvlllT_PT11_llSB_llS9_PT12_llPT13_lli
	.p2align	8
	.type	_ZN12_GLOBAL__N_127rocblas_gemm_batched_kernelIiLi16ELi16ELi64ELi64ELi4ELi64ELi4ELi4ELi64ELc78ELc78EKPKaKPKiKPiEEvlllT_PT11_llSB_llS9_PT12_llPT13_lli,@function
_ZN12_GLOBAL__N_127rocblas_gemm_batched_kernelIiLi16ELi16ELi64ELi64ELi4ELi64ELi4ELi4ELi64ELc78ELc78EKPKaKPKiKPiEEvlllT_PT11_llSB_llS9_PT12_llPT13_lli: ; @_ZN12_GLOBAL__N_127rocblas_gemm_batched_kernelIiLi16ELi16ELi64ELi64ELi4ELi64ELi4ELi4ELi64ELc78ELc78EKPKaKPKiKPiEEvlllT_PT11_llSB_llS9_PT12_llPT13_lli
; %bb.0:
	s_load_b32 s31, s[0:1], 0x88
	s_bfe_u32 s2, ttmp6, 0x40014
	s_lshr_b32 s3, ttmp7, 16
	s_add_co_i32 s2, s2, 1
	s_bfe_u32 s4, ttmp6, 0x40008
	s_mul_i32 s2, s3, s2
	s_getreg_b32 s28, hwreg(HW_REG_IB_STS2, 6, 4)
	s_add_co_i32 s4, s4, s2
	s_cmp_eq_u32 s28, 0
	s_cselect_b32 s2, s3, s4
	s_mov_b32 s3, 0
	s_wait_kmcnt 0x0
	s_cmp_ge_i32 s2, s31
	s_cbranch_scc1 .LBB195_10
; %bb.1:
	v_bfe_u32 v4, v0, 10, 10
	s_bfe_u32 s30, ttmp6, 0x4000c
	s_bfe_u32 s34, ttmp6, 0x40010
	s_and_b32 s33, ttmp7, 0xffff
	s_add_co_i32 s30, s30, 1
	s_add_co_i32 s34, s34, 1
	v_and_b32_e32 v6, 0x3ff, v0
	v_dual_lshlrev_b32 v21, 4, v4 :: v_dual_mov_b32 v5, 0
	s_and_b32 s29, ttmp6, 15
	s_mul_i32 s30, ttmp9, s30
	s_mul_i32 s34, s33, s34
	s_bfe_u32 s35, ttmp6, 0x40004
	s_clause 0x2
	s_load_b256 s[4:11], s[0:1], 0x20
	s_load_b128 s[24:27], s[0:1], 0x40
	s_load_b128 s[20:23], s[0:1], 0x78
	s_add_co_i32 s29, s29, s30
	s_add_co_i32 s35, s35, s34
	s_cmp_eq_u32 s28, 0
	v_add_nc_u32_e32 v1, v21, v6
	s_cselect_b32 s28, s33, s35
	s_cselect_b32 s34, ttmp9, s29
	s_lshl_b32 s36, s28, 6
	s_mov_b32 s37, s3
	s_load_b256 s[12:19], s[0:1], 0x58
	v_mov_b32_e32 v9, v5
	v_add_nc_u64_e32 v[2:3], s[36:37], v[4:5]
	v_dual_lshrrev_b32 v8, 2, v1 :: v_dual_bitop2_b32 v4, 3, v0 bitop3:0x40
	s_clause 0x1
	s_load_b96 s[28:30], s[0:1], 0x10
	s_load_b32 s33, s[0:1], 0x50
	s_ashr_i32 s35, s34, 31
	v_dual_lshlrev_b32 v20, 2, v6 :: v_dual_bitop2_b32 v14, 63, v1 bitop3:0x40
	v_add_nc_u64_e32 v[10:11], s[36:37], v[8:9]
	v_dual_lshrrev_b32 v9, 6, v1 :: v_dual_lshlrev_b32 v7, 2, v4
	v_add_nc_u32_e32 v21, 0x400, v21
	v_mov_b32_e32 v15, v5
	s_wait_kmcnt 0x0
	s_delay_alu instid0(VALU_DEP_4) | instskip(SKIP_1) | instid1(SALU_CYCLE_1)
	v_mad_nc_u64_u32 v[12:13], s24, v10, s[26:27]
	s_lshl_b64 s[26:27], s[34:35], 6
	s_add_nc_u64 s[0:1], s[26:27], s[8:9]
	v_mul_u64_e32 v[0:1], s[14:15], v[2:3]
	v_mul_u64_e32 v[2:3], s[20:21], v[2:3]
	v_mad_nc_u64_u32 v[16:17], s6, v9, s[0:1]
	v_cmp_gt_i64_e64 s0, s[28:29], 0
	v_mad_u32 v10, s25, v10, v13
	v_lshlrev_b32_e32 v13, 2, v14
	v_lshl_or_b32 v8, v8, 4, v7
	v_mov_b32_e32 v7, v5
	s_delay_alu instid0(VALU_DEP_3) | instskip(SKIP_1) | instid1(VALU_DEP_4)
	v_lshl_or_b32 v18, v9, 8, v13
	v_mad_u32 v17, s7, v9, v17
	v_add_nc_u32_e32 v19, 0x400, v8
	s_delay_alu instid0(VALU_DEP_4)
	v_add_nc_u64_e32 v[8:9], s[26:27], v[6:7]
	s_lshl_b64 s[6:7], s[6:7], 2
	v_mad_u32 v13, s24, v11, v10
	v_cndmask_b32_e64 v10, 0, 1, s0
	s_cmp_lg_u32 s33, 0
	s_cselect_b32 s1, -1, 0
	s_delay_alu instid0(VALU_DEP_3) | instskip(NEXT) | instid1(VALU_DEP_2)
	v_lshlrev_b64_e32 v[8:9], 2, v[8:9]
	v_cmp_ne_u32_e64 s0, 1, v10
	v_add_nc_u64_e32 v[6:7], v[16:17], v[14:15]
	s_lshl_b64 s[24:25], s[14:15], 4
	s_lshl_b64 s[20:21], s[20:21], 4
	;; [unrolled: 1-line block ×3, first 2 shown]
	v_add_nc_u64_e32 v[4:5], v[12:13], v[4:5]
	s_lshl_b64 s[14:15], s[16:17], 2
	s_lshl_b64 s[16:17], s[24:25], 2
	;; [unrolled: 1-line block ×3, first 2 shown]
	s_branch .LBB195_3
.LBB195_2:                              ;   in Loop: Header=BB195_3 Depth=1
	s_add_co_i32 s2, s2, 0x10000
	s_delay_alu instid0(SALU_CYCLE_1)
	s_cmp_lt_i32 s2, s31
	s_cbranch_scc0 .LBB195_10
.LBB195_3:                              ; =>This Loop Header: Depth=1
                                        ;     Child Loop BB195_5 Depth 2
	s_wait_xcnt 0x6
	v_dual_mov_b32 v14, s2 :: v_dual_mov_b32 v30, 0
	v_dual_mov_b32 v24, 0 :: v_dual_mov_b32 v25, 0
	s_wait_xcnt 0x0
	v_dual_mov_b32 v23, 0 :: v_dual_mov_b32 v36, 0
	s_clause 0x1
	global_load_b64 v[10:11], v14, s[12:13] scale_offset
	global_load_b64 v[12:13], v14, s[18:19] scale_offset
	v_dual_mov_b32 v34, 0 :: v_dual_mov_b32 v28, 0
	v_dual_mov_b32 v27, 0 :: v_dual_mov_b32 v26, 0
	;; [unrolled: 1-line block ×5, first 2 shown]
	v_mov_b32_e32 v22, 0
	s_and_b32 vcc_lo, exec_lo, s0
	s_cbranch_vccnz .LBB195_6
; %bb.4:                                ;   in Loop: Header=BB195_3 Depth=1
	v_dual_mov_b32 v22, 0 :: v_dual_mov_b32 v32, 0
	s_lshl_b64 s[22:23], s[2:3], 3
	v_dual_mov_b32 v33, 0 :: v_dual_mov_b32 v35, 0
	s_add_nc_u64 s[24:25], s[10:11], s[22:23]
	s_add_nc_u64 s[22:23], s[4:5], s[22:23]
	s_clause 0x1
	global_load_b64 v[14:15], v22, s[24:25]
	global_load_b64 v[16:17], v22, s[22:23]
	v_dual_mov_b32 v37, 0 :: v_dual_mov_b32 v29, 0
	v_dual_mov_b32 v31, 0 :: v_dual_mov_b32 v26, 0
	;; [unrolled: 1-line block ×6, first 2 shown]
	s_wait_xcnt 0x0
	s_mov_b64 s[22:23], 0
	s_wait_loadcnt 0x1
	v_add_nc_u64_e32 v[14:15], v[14:15], v[4:5]
	s_wait_loadcnt 0x0
	v_add_nc_u64_e32 v[16:17], v[16:17], v[6:7]
.LBB195_5:                              ;   Parent Loop BB195_3 Depth=1
                                        ; =>  This Inner Loop Header: Depth=2
	flat_load_i8 v40, v[16:17]
	v_add_nc_u64_e32 v[38:39], s[22:23], v[14:15]
	s_add_nc_u64 s[22:23], s[22:23], 4
	s_wait_xcnt 0x0
	v_add_nc_u64_e32 v[16:17], s[6:7], v[16:17]
	v_cmp_lt_i64_e64 s24, s[22:23], s[28:29]
	s_and_b32 vcc_lo, exec_lo, s24
	s_wait_loadcnt_dscnt 0x0
	ds_store_b32 v18, v40
	flat_load_i8 v38, v[38:39]
	s_wait_loadcnt_dscnt 0x0
	ds_store_b32 v19, v38
	s_wait_dscnt 0x0
	s_barrier_signal -1
	s_barrier_wait -1
	ds_load_2addr_b32 v[54:55], v20 offset1:16
	s_wait_xcnt 0x0
	ds_load_b128 v[38:41], v21 offset:512
	ds_load_2addr_b32 v[56:57], v20 offset0:32 offset1:48
	ds_load_b128 v[42:45], v21 offset:768
	ds_load_b128 v[46:49], v21 offset:256
	ds_load_b128 v[50:53], v21
	ds_load_2addr_b32 v[58:59], v20 offset0:64 offset1:80
	ds_load_2addr_b32 v[60:61], v20 offset0:96 offset1:112
	;; [unrolled: 1-line block ×6, first 2 shown]
	s_wait_dscnt 0x0
	s_barrier_signal -1
	s_barrier_wait -1
	v_mad_u32 v37, v38, v55, v37
	v_mad_u32 v35, v38, v56, v35
	;; [unrolled: 1-line block ×64, first 2 shown]
	s_cbranch_vccnz .LBB195_5
.LBB195_6:                              ;   in Loop: Header=BB195_3 Depth=1
	s_wait_loadcnt 0x0
	v_add_nc_u64_e32 v[12:13], s[8:9], v[12:13]
	v_mul_lo_u32 v17, v28, s30
	v_mul_lo_u32 v27, v27, s30
	;; [unrolled: 1-line block ×6, first 2 shown]
	s_wait_xcnt 0x0
	v_lshl_add_u64 v[14:15], v[2:3], 2, v[12:13]
	v_mul_lo_u32 v29, v29, s30
	v_mul_lo_u32 v25, v25, s30
	;; [unrolled: 1-line block ×10, first 2 shown]
	v_add_nc_u64_e32 v[12:13], v[14:15], v[8:9]
	v_add_nc_u64_e32 v[14:15], s[20:21], v[14:15]
	s_and_not1_b32 vcc_lo, exec_lo, s1
	s_cbranch_vccnz .LBB195_8
; %bb.7:                                ;   in Loop: Header=BB195_3 Depth=1
	v_add_nc_u64_e32 v[10:11], s[14:15], v[10:11]
	s_delay_alu instid0(VALU_DEP_1) | instskip(NEXT) | instid1(VALU_DEP_1)
	v_lshl_add_u64 v[10:11], v[0:1], 2, v[10:11]
	v_add_nc_u64_e32 v[36:37], v[10:11], v[8:9]
	v_add_nc_u64_e32 v[10:11], s[16:17], v[10:11]
	flat_load_b32 v38, v[36:37]
	s_wait_loadcnt_dscnt 0x0
	v_mad_u32 v38, v38, s33, v17
	flat_store_b32 v[12:13], v38
	flat_load_b32 v38, v[36:37] offset:64
	s_wait_loadcnt_dscnt 0x0
	v_mad_u32 v38, v38, s33, v27
	flat_store_b32 v[12:13], v38 offset:64
	flat_load_b32 v38, v[36:37] offset:128
	s_wait_loadcnt_dscnt 0x0
	v_mad_u32 v38, v38, s33, v26
	flat_store_b32 v[12:13], v38 offset:128
	flat_load_b32 v36, v[36:37] offset:192
	s_wait_loadcnt_dscnt 0x0
	s_wait_xcnt 0x1
	v_mad_u32 v38, v36, s33, v28
	s_wait_xcnt 0x0
	v_add_nc_u64_e32 v[36:37], v[10:11], v[8:9]
	v_add_nc_u64_e32 v[10:11], s[16:17], v[10:11]
	flat_store_b32 v[12:13], v38 offset:192
	flat_load_b32 v38, v[36:37]
	s_wait_loadcnt_dscnt 0x0
	v_mad_u32 v40, v38, s33, v16
	v_add_nc_u64_e32 v[38:39], v[14:15], v[8:9]
	flat_store_b32 v[38:39], v40
	flat_load_b32 v40, v[36:37] offset:64
	s_wait_loadcnt_dscnt 0x0
	v_mad_u32 v40, v40, s33, v24
	flat_store_b32 v[38:39], v40 offset:64
	flat_load_b32 v40, v[36:37] offset:128
	s_wait_loadcnt_dscnt 0x0
	v_mad_u32 v40, v40, s33, v29
	flat_store_b32 v[38:39], v40 offset:128
	flat_load_b32 v36, v[36:37] offset:192
	s_wait_loadcnt_dscnt 0x0
	s_wait_xcnt 0x1
	v_mad_u32 v40, v36, s33, v25
	s_wait_xcnt 0x0
	v_add_nc_u64_e32 v[36:37], v[10:11], v[8:9]
	v_add_nc_u64_e32 v[10:11], s[16:17], v[10:11]
	s_delay_alu instid0(VALU_DEP_1)
	v_add_nc_u64_e32 v[10:11], v[10:11], v[8:9]
	flat_store_b32 v[38:39], v40 offset:192
	flat_load_b32 v40, v[36:37]
	v_add_nc_u64_e32 v[38:39], s[20:21], v[14:15]
	s_wait_loadcnt_dscnt 0x0
	v_mad_u32 v42, v40, s33, v23
	s_delay_alu instid0(VALU_DEP_2)
	v_add_nc_u64_e32 v[40:41], v[38:39], v[8:9]
	flat_store_b32 v[40:41], v42
	flat_load_b32 v42, v[36:37] offset:64
	s_wait_loadcnt_dscnt 0x0
	v_mad_u32 v42, v42, s33, v30
	flat_store_b32 v[40:41], v42 offset:64
	flat_load_b32 v42, v[36:37] offset:128
	s_wait_loadcnt_dscnt 0x0
	v_mad_u32 v42, v42, s33, v31
	flat_store_b32 v[40:41], v42 offset:128
	flat_load_b32 v36, v[36:37] offset:192
	s_wait_loadcnt_dscnt 0x0
	s_wait_xcnt 0x0
	v_mad_u32 v36, v36, s33, v35
	flat_store_b32 v[40:41], v36 offset:192
	flat_load_b32 v40, v[10:11]
	v_add_nc_u64_e32 v[36:37], s[20:21], v[38:39]
	s_delay_alu instid0(VALU_DEP_1)
	v_add_nc_u64_e32 v[36:37], v[36:37], v[8:9]
	s_wait_loadcnt_dscnt 0x0
	v_mad_u32 v38, v40, s33, v34
	flat_store_b32 v[36:37], v38
	flat_load_b32 v38, v[10:11] offset:64
	s_wait_loadcnt_dscnt 0x0
	v_mad_u32 v38, v38, s33, v33
	flat_store_b32 v[36:37], v38 offset:64
	flat_load_b32 v38, v[10:11] offset:128
	s_wait_loadcnt_dscnt 0x0
	v_mad_u32 v38, v38, s33, v32
	flat_store_b32 v[36:37], v38 offset:128
	flat_load_b32 v10, v[10:11] offset:192
	s_wait_loadcnt_dscnt 0x0
	s_wait_xcnt 0x0
	v_mad_u32 v10, v10, s33, v22
	flat_store_b32 v[36:37], v10 offset:192
	s_cbranch_execnz .LBB195_2
	s_branch .LBB195_9
.LBB195_8:                              ;   in Loop: Header=BB195_3 Depth=1
.LBB195_9:                              ;   in Loop: Header=BB195_3 Depth=1
	s_wait_xcnt 0x0
	s_delay_alu instid0(VALU_DEP_1)
	v_add_nc_u64_e32 v[10:11], s[20:21], v[14:15]
	v_add_nc_u64_e32 v[14:15], v[14:15], v[8:9]
	s_clause 0x3
	flat_store_b32 v[12:13], v17
	flat_store_b32 v[12:13], v27 offset:64
	flat_store_b32 v[12:13], v26 offset:128
	;; [unrolled: 1-line block ×3, first 2 shown]
	v_add_nc_u64_e32 v[36:37], s[20:21], v[10:11]
	v_add_nc_u64_e32 v[10:11], v[10:11], v[8:9]
	s_wait_xcnt 0x0
	s_delay_alu instid0(VALU_DEP_2)
	v_add_nc_u64_e32 v[12:13], v[36:37], v[8:9]
	s_clause 0xb
	flat_store_b32 v[14:15], v16
	flat_store_b32 v[14:15], v24 offset:64
	flat_store_b32 v[14:15], v29 offset:128
	flat_store_b32 v[14:15], v25 offset:192
	flat_store_b32 v[10:11], v23
	flat_store_b32 v[10:11], v30 offset:64
	flat_store_b32 v[10:11], v31 offset:128
	flat_store_b32 v[10:11], v35 offset:192
	;; [unrolled: 4-line block ×3, first 2 shown]
	s_branch .LBB195_2
.LBB195_10:
	s_sendmsg sendmsg(MSG_DEALLOC_VGPRS)
	s_endpgm
	.section	.rodata,"a",@progbits
	.p2align	6, 0x0
	.amdhsa_kernel _ZN12_GLOBAL__N_127rocblas_gemm_batched_kernelIiLi16ELi16ELi64ELi64ELi4ELi64ELi4ELi4ELi64ELc78ELc78EKPKaKPKiKPiEEvlllT_PT11_llSB_llS9_PT12_llPT13_lli
		.amdhsa_group_segment_fixed_size 2048
		.amdhsa_private_segment_fixed_size 0
		.amdhsa_kernarg_size 140
		.amdhsa_user_sgpr_count 2
		.amdhsa_user_sgpr_dispatch_ptr 0
		.amdhsa_user_sgpr_queue_ptr 0
		.amdhsa_user_sgpr_kernarg_segment_ptr 1
		.amdhsa_user_sgpr_dispatch_id 0
		.amdhsa_user_sgpr_kernarg_preload_length 0
		.amdhsa_user_sgpr_kernarg_preload_offset 0
		.amdhsa_user_sgpr_private_segment_size 0
		.amdhsa_wavefront_size32 1
		.amdhsa_uses_dynamic_stack 0
		.amdhsa_enable_private_segment 0
		.amdhsa_system_sgpr_workgroup_id_x 1
		.amdhsa_system_sgpr_workgroup_id_y 1
		.amdhsa_system_sgpr_workgroup_id_z 1
		.amdhsa_system_sgpr_workgroup_info 0
		.amdhsa_system_vgpr_workitem_id 1
		.amdhsa_next_free_vgpr 70
		.amdhsa_next_free_sgpr 38
		.amdhsa_named_barrier_count 0
		.amdhsa_reserve_vcc 1
		.amdhsa_float_round_mode_32 0
		.amdhsa_float_round_mode_16_64 0
		.amdhsa_float_denorm_mode_32 3
		.amdhsa_float_denorm_mode_16_64 3
		.amdhsa_fp16_overflow 0
		.amdhsa_memory_ordered 1
		.amdhsa_forward_progress 1
		.amdhsa_inst_pref_size 21
		.amdhsa_round_robin_scheduling 0
		.amdhsa_exception_fp_ieee_invalid_op 0
		.amdhsa_exception_fp_denorm_src 0
		.amdhsa_exception_fp_ieee_div_zero 0
		.amdhsa_exception_fp_ieee_overflow 0
		.amdhsa_exception_fp_ieee_underflow 0
		.amdhsa_exception_fp_ieee_inexact 0
		.amdhsa_exception_int_div_zero 0
	.end_amdhsa_kernel
	.section	.text._ZN12_GLOBAL__N_127rocblas_gemm_batched_kernelIiLi16ELi16ELi64ELi64ELi4ELi64ELi4ELi4ELi64ELc78ELc78EKPKaKPKiKPiEEvlllT_PT11_llSB_llS9_PT12_llPT13_lli,"axG",@progbits,_ZN12_GLOBAL__N_127rocblas_gemm_batched_kernelIiLi16ELi16ELi64ELi64ELi4ELi64ELi4ELi4ELi64ELc78ELc78EKPKaKPKiKPiEEvlllT_PT11_llSB_llS9_PT12_llPT13_lli,comdat
.Lfunc_end195:
	.size	_ZN12_GLOBAL__N_127rocblas_gemm_batched_kernelIiLi16ELi16ELi64ELi64ELi4ELi64ELi4ELi4ELi64ELc78ELc78EKPKaKPKiKPiEEvlllT_PT11_llSB_llS9_PT12_llPT13_lli, .Lfunc_end195-_ZN12_GLOBAL__N_127rocblas_gemm_batched_kernelIiLi16ELi16ELi64ELi64ELi4ELi64ELi4ELi4ELi64ELc78ELc78EKPKaKPKiKPiEEvlllT_PT11_llSB_llS9_PT12_llPT13_lli
                                        ; -- End function
	.set _ZN12_GLOBAL__N_127rocblas_gemm_batched_kernelIiLi16ELi16ELi64ELi64ELi4ELi64ELi4ELi4ELi64ELc78ELc78EKPKaKPKiKPiEEvlllT_PT11_llSB_llS9_PT12_llPT13_lli.num_vgpr, 70
	.set _ZN12_GLOBAL__N_127rocblas_gemm_batched_kernelIiLi16ELi16ELi64ELi64ELi4ELi64ELi4ELi4ELi64ELc78ELc78EKPKaKPKiKPiEEvlllT_PT11_llSB_llS9_PT12_llPT13_lli.num_agpr, 0
	.set _ZN12_GLOBAL__N_127rocblas_gemm_batched_kernelIiLi16ELi16ELi64ELi64ELi4ELi64ELi4ELi4ELi64ELc78ELc78EKPKaKPKiKPiEEvlllT_PT11_llSB_llS9_PT12_llPT13_lli.numbered_sgpr, 38
	.set _ZN12_GLOBAL__N_127rocblas_gemm_batched_kernelIiLi16ELi16ELi64ELi64ELi4ELi64ELi4ELi4ELi64ELc78ELc78EKPKaKPKiKPiEEvlllT_PT11_llSB_llS9_PT12_llPT13_lli.num_named_barrier, 0
	.set _ZN12_GLOBAL__N_127rocblas_gemm_batched_kernelIiLi16ELi16ELi64ELi64ELi4ELi64ELi4ELi4ELi64ELc78ELc78EKPKaKPKiKPiEEvlllT_PT11_llSB_llS9_PT12_llPT13_lli.private_seg_size, 0
	.set _ZN12_GLOBAL__N_127rocblas_gemm_batched_kernelIiLi16ELi16ELi64ELi64ELi4ELi64ELi4ELi4ELi64ELc78ELc78EKPKaKPKiKPiEEvlllT_PT11_llSB_llS9_PT12_llPT13_lli.uses_vcc, 1
	.set _ZN12_GLOBAL__N_127rocblas_gemm_batched_kernelIiLi16ELi16ELi64ELi64ELi4ELi64ELi4ELi4ELi64ELc78ELc78EKPKaKPKiKPiEEvlllT_PT11_llSB_llS9_PT12_llPT13_lli.uses_flat_scratch, 1
	.set _ZN12_GLOBAL__N_127rocblas_gemm_batched_kernelIiLi16ELi16ELi64ELi64ELi4ELi64ELi4ELi4ELi64ELc78ELc78EKPKaKPKiKPiEEvlllT_PT11_llSB_llS9_PT12_llPT13_lli.has_dyn_sized_stack, 0
	.set _ZN12_GLOBAL__N_127rocblas_gemm_batched_kernelIiLi16ELi16ELi64ELi64ELi4ELi64ELi4ELi4ELi64ELc78ELc78EKPKaKPKiKPiEEvlllT_PT11_llSB_llS9_PT12_llPT13_lli.has_recursion, 0
	.set _ZN12_GLOBAL__N_127rocblas_gemm_batched_kernelIiLi16ELi16ELi64ELi64ELi4ELi64ELi4ELi4ELi64ELc78ELc78EKPKaKPKiKPiEEvlllT_PT11_llSB_llS9_PT12_llPT13_lli.has_indirect_call, 0
	.section	.AMDGPU.csdata,"",@progbits
; Kernel info:
; codeLenInByte = 2600
; TotalNumSgprs: 40
; NumVgprs: 70
; ScratchSize: 0
; MemoryBound: 0
; FloatMode: 240
; IeeeMode: 1
; LDSByteSize: 2048 bytes/workgroup (compile time only)
; SGPRBlocks: 0
; VGPRBlocks: 4
; NumSGPRsForWavesPerEU: 40
; NumVGPRsForWavesPerEU: 70
; NamedBarCnt: 0
; Occupancy: 12
; WaveLimiterHint : 1
; COMPUTE_PGM_RSRC2:SCRATCH_EN: 0
; COMPUTE_PGM_RSRC2:USER_SGPR: 2
; COMPUTE_PGM_RSRC2:TRAP_HANDLER: 0
; COMPUTE_PGM_RSRC2:TGID_X_EN: 1
; COMPUTE_PGM_RSRC2:TGID_Y_EN: 1
; COMPUTE_PGM_RSRC2:TGID_Z_EN: 1
; COMPUTE_PGM_RSRC2:TIDIG_COMP_CNT: 1
	.section	.text._ZN12_GLOBAL__N_127rocblas_gemm_batched_kernelIiLi16ELi16ELi64ELi64ELi4ELi64ELi4ELi4ELi64ELc84ELc78EKPKaKPKiKPiEEvlllT_PT11_llSB_llS9_PT12_llPT13_lli,"axG",@progbits,_ZN12_GLOBAL__N_127rocblas_gemm_batched_kernelIiLi16ELi16ELi64ELi64ELi4ELi64ELi4ELi4ELi64ELc84ELc78EKPKaKPKiKPiEEvlllT_PT11_llSB_llS9_PT12_llPT13_lli,comdat
	.globl	_ZN12_GLOBAL__N_127rocblas_gemm_batched_kernelIiLi16ELi16ELi64ELi64ELi4ELi64ELi4ELi4ELi64ELc84ELc78EKPKaKPKiKPiEEvlllT_PT11_llSB_llS9_PT12_llPT13_lli ; -- Begin function _ZN12_GLOBAL__N_127rocblas_gemm_batched_kernelIiLi16ELi16ELi64ELi64ELi4ELi64ELi4ELi4ELi64ELc84ELc78EKPKaKPKiKPiEEvlllT_PT11_llSB_llS9_PT12_llPT13_lli
	.p2align	8
	.type	_ZN12_GLOBAL__N_127rocblas_gemm_batched_kernelIiLi16ELi16ELi64ELi64ELi4ELi64ELi4ELi4ELi64ELc84ELc78EKPKaKPKiKPiEEvlllT_PT11_llSB_llS9_PT12_llPT13_lli,@function
_ZN12_GLOBAL__N_127rocblas_gemm_batched_kernelIiLi16ELi16ELi64ELi64ELi4ELi64ELi4ELi4ELi64ELc84ELc78EKPKaKPKiKPiEEvlllT_PT11_llSB_llS9_PT12_llPT13_lli: ; @_ZN12_GLOBAL__N_127rocblas_gemm_batched_kernelIiLi16ELi16ELi64ELi64ELi4ELi64ELi4ELi4ELi64ELc84ELc78EKPKaKPKiKPiEEvlllT_PT11_llSB_llS9_PT12_llPT13_lli
; %bb.0:
	s_load_b32 s31, s[0:1], 0x88
	s_bfe_u32 s2, ttmp6, 0x40014
	s_lshr_b32 s3, ttmp7, 16
	s_add_co_i32 s2, s2, 1
	s_bfe_u32 s4, ttmp6, 0x40008
	s_mul_i32 s2, s3, s2
	s_getreg_b32 s28, hwreg(HW_REG_IB_STS2, 6, 4)
	s_add_co_i32 s4, s4, s2
	s_cmp_eq_u32 s28, 0
	s_cselect_b32 s2, s3, s4
	s_mov_b32 s3, 0
	s_wait_kmcnt 0x0
	s_cmp_ge_i32 s2, s31
	s_cbranch_scc1 .LBB196_10
; %bb.1:
	v_bfe_u32 v6, v0, 10, 10
	v_and_b32_e32 v8, 0x3ff, v0
	s_bfe_u32 s30, ttmp6, 0x4000c
	s_bfe_u32 s35, ttmp6, 0x40010
	s_clause 0x2
	s_load_b256 s[4:11], s[0:1], 0x20
	s_load_b128 s[24:27], s[0:1], 0x40
	s_load_b32 s33, s[0:1], 0x50
	v_dual_lshlrev_b32 v21, 4, v6 :: v_dual_mov_b32 v7, 0
	s_and_b32 s34, ttmp7, 0xffff
	s_add_co_i32 s30, s30, 1
	s_add_co_i32 s35, s35, 1
	s_delay_alu instid0(VALU_DEP_1)
	v_dual_add_nc_u32 v1, v21, v8 :: v_dual_mov_b32 v11, v7
	s_and_b32 s29, ttmp6, 15
	s_mul_i32 s30, ttmp9, s30
	s_mul_i32 s35, s34, s35
	s_bfe_u32 s36, ttmp6, 0x40004
	s_add_co_i32 s29, s29, s30
	s_add_co_i32 s36, s36, s35
	s_cmp_eq_u32 s28, 0
	v_dual_lshrrev_b32 v10, 2, v1 :: v_dual_lshrrev_b32 v12, 6, v1
	s_cselect_b32 s30, s34, s36
	s_cselect_b32 s28, ttmp9, s29
	s_lshl_b32 s34, s30, 6
	s_mov_b32 s35, s3
	s_clause 0x1
	s_load_b128 s[20:23], s[0:1], 0x78
	s_load_b256 s[12:19], s[0:1], 0x58
	v_add_nc_u64_e32 v[14:15], s[34:35], v[10:11]
	v_dual_mov_b32 v13, v7 :: v_dual_bitop2_b32 v9, 63, v1 bitop3:0x40
	s_ashr_i32 s29, s28, 31
	v_add_nc_u64_e32 v[4:5], s[34:35], v[6:7]
	s_lshl_b64 s[36:37], s[28:29], 6
	s_wait_kmcnt 0x0
	v_add_nc_u64_e32 v[2:3], s[8:9], v[12:13]
	v_mad_nc_u64_u32 v[16:17], s24, v14, s[26:27]
	v_and_b32_e32 v6, 3, v0
	s_load_b96 s[28:30], s[0:1], 0x10
	s_cmp_lg_u32 s33, 0
	v_add_nc_u32_e32 v21, 0x400, v21
	v_lshlrev_b32_e32 v20, 2, v8
	s_wait_xcnt 0x0
	s_cselect_b32 s1, -1, 0
	s_delay_alu instid0(VALU_DEP_4) | instskip(SKIP_3) | instid1(VALU_DEP_2)
	v_mad_u32 v14, s25, v14, v17
	v_dual_lshlrev_b32 v17, 2, v9 :: v_dual_bitop2_b32 v11, s36, v9 bitop3:0x54
	v_dual_lshlrev_b32 v13, 2, v6 :: v_dual_mov_b32 v9, v7
	s_lshl_b64 s[8:9], s[16:17], 2
	v_lshl_or_b32 v18, v12, 8, v17
	s_delay_alu instid0(VALU_DEP_3)
	v_mad_nc_u64_u32 v[0:1], s6, v11, v[2:3]
	v_mul_u64_e32 v[2:3], s[14:15], v[4:5]
	v_mul_u64_e32 v[4:5], s[20:21], v[4:5]
	v_lshl_or_b32 v10, v10, 4, v13
	v_mad_u32 v17, s24, v15, v14
	s_wait_kmcnt 0x0
	v_cmp_gt_i64_e64 s0, s[28:29], 0
	v_add_nc_u64_e32 v[8:9], s[36:37], v[8:9]
	s_lshl_b64 s[14:15], s[14:15], 4
	v_add_nc_u32_e32 v19, 0x400, v10
	s_lshl_b64 s[20:21], s[20:21], 4
	s_lshl_b64 s[14:15], s[14:15], 2
	v_mad_u32 v1, s7, v11, v1
	v_cndmask_b32_e64 v10, 0, 1, s0
	v_lshlrev_b64_e32 v[8:9], 2, v[8:9]
	s_lshl_b64 s[16:17], s[20:21], 2
	v_add_nc_u64_e32 v[6:7], v[16:17], v[6:7]
	s_delay_alu instid0(VALU_DEP_3)
	v_cmp_ne_u32_e64 s0, 1, v10
	v_mad_u32 v1, s6, s37, v1
	s_lshl_b64 s[6:7], s[22:23], 2
	s_branch .LBB196_3
.LBB196_2:                              ;   in Loop: Header=BB196_3 Depth=1
	s_add_co_i32 s2, s2, 0x10000
	s_delay_alu instid0(SALU_CYCLE_1)
	s_cmp_lt_i32 s2, s31
	s_cbranch_scc0 .LBB196_10
.LBB196_3:                              ; =>This Loop Header: Depth=1
                                        ;     Child Loop BB196_5 Depth 2
	s_wait_xcnt 0x6
	v_dual_mov_b32 v14, s2 :: v_dual_mov_b32 v30, 0
	v_dual_mov_b32 v24, 0 :: v_dual_mov_b32 v25, 0
	s_wait_xcnt 0x0
	v_dual_mov_b32 v23, 0 :: v_dual_mov_b32 v36, 0
	s_clause 0x1
	global_load_b64 v[10:11], v14, s[12:13] scale_offset
	global_load_b64 v[12:13], v14, s[18:19] scale_offset
	v_dual_mov_b32 v34, 0 :: v_dual_mov_b32 v28, 0
	v_dual_mov_b32 v27, 0 :: v_dual_mov_b32 v26, 0
	;; [unrolled: 1-line block ×5, first 2 shown]
	v_mov_b32_e32 v22, 0
	s_and_b32 vcc_lo, exec_lo, s0
	s_cbranch_vccnz .LBB196_6
; %bb.4:                                ;   in Loop: Header=BB196_3 Depth=1
	v_dual_mov_b32 v22, 0 :: v_dual_mov_b32 v32, 0
	s_lshl_b64 s[20:21], s[2:3], 3
	v_dual_mov_b32 v33, 0 :: v_dual_mov_b32 v35, 0
	s_add_nc_u64 s[22:23], s[10:11], s[20:21]
	s_add_nc_u64 s[20:21], s[4:5], s[20:21]
	s_clause 0x1
	global_load_b64 v[14:15], v22, s[22:23]
	global_load_b64 v[16:17], v22, s[20:21]
	v_dual_mov_b32 v37, 0 :: v_dual_mov_b32 v29, 0
	v_dual_mov_b32 v31, 0 :: v_dual_mov_b32 v26, 0
	;; [unrolled: 1-line block ×6, first 2 shown]
	s_wait_xcnt 0x0
	s_mov_b64 s[20:21], 0
	s_wait_loadcnt 0x1
	v_add_nc_u64_e32 v[14:15], v[14:15], v[6:7]
	s_wait_loadcnt 0x0
	v_add_nc_u64_e32 v[16:17], v[16:17], v[0:1]
.LBB196_5:                              ;   Parent Loop BB196_3 Depth=1
                                        ; =>  This Inner Loop Header: Depth=2
	s_delay_alu instid0(VALU_DEP_1) | instskip(SKIP_4) | instid1(SALU_CYCLE_1)
	v_add_nc_u64_e32 v[38:39], s[20:21], v[16:17]
	flat_load_i8 v40, v[38:39]
	s_wait_xcnt 0x0
	v_add_nc_u64_e32 v[38:39], s[20:21], v[14:15]
	s_add_nc_u64 s[20:21], s[20:21], 4
	v_cmp_lt_i64_e64 s22, s[20:21], s[28:29]
	s_and_b32 vcc_lo, exec_lo, s22
	s_wait_loadcnt_dscnt 0x0
	ds_store_b32 v18, v40
	flat_load_i8 v38, v[38:39]
	s_wait_loadcnt_dscnt 0x0
	ds_store_b32 v19, v38
	s_wait_dscnt 0x0
	s_barrier_signal -1
	s_barrier_wait -1
	ds_load_2addr_b32 v[54:55], v20 offset1:16
	s_wait_xcnt 0x0
	ds_load_b128 v[38:41], v21 offset:512
	ds_load_2addr_b32 v[56:57], v20 offset0:32 offset1:48
	ds_load_b128 v[42:45], v21 offset:768
	ds_load_b128 v[46:49], v21 offset:256
	ds_load_b128 v[50:53], v21
	ds_load_2addr_b32 v[58:59], v20 offset0:64 offset1:80
	ds_load_2addr_b32 v[60:61], v20 offset0:96 offset1:112
	;; [unrolled: 1-line block ×6, first 2 shown]
	s_wait_dscnt 0x0
	s_barrier_signal -1
	s_barrier_wait -1
	v_mad_u32 v37, v38, v55, v37
	v_mad_u32 v35, v38, v56, v35
	;; [unrolled: 1-line block ×64, first 2 shown]
	s_cbranch_vccnz .LBB196_5
.LBB196_6:                              ;   in Loop: Header=BB196_3 Depth=1
	s_wait_loadcnt 0x0
	v_add_nc_u64_e32 v[12:13], s[6:7], v[12:13]
	v_mul_lo_u32 v17, v28, s30
	v_mul_lo_u32 v27, v27, s30
	;; [unrolled: 1-line block ×6, first 2 shown]
	s_wait_xcnt 0x0
	v_lshl_add_u64 v[14:15], v[4:5], 2, v[12:13]
	v_mul_lo_u32 v29, v29, s30
	v_mul_lo_u32 v25, v25, s30
	v_mul_lo_u32 v23, v23, s30
	v_mul_lo_u32 v30, v37, s30
	v_mul_lo_u32 v31, v35, s30
	v_mul_lo_u32 v35, v36, s30
	v_mul_lo_u32 v34, v34, s30
	v_mul_lo_u32 v33, v33, s30
	v_mul_lo_u32 v32, v32, s30
	v_mul_lo_u32 v22, v22, s30
	v_add_nc_u64_e32 v[12:13], v[14:15], v[8:9]
	v_add_nc_u64_e32 v[14:15], s[16:17], v[14:15]
	s_and_not1_b32 vcc_lo, exec_lo, s1
	s_cbranch_vccnz .LBB196_8
; %bb.7:                                ;   in Loop: Header=BB196_3 Depth=1
	v_add_nc_u64_e32 v[10:11], s[8:9], v[10:11]
	s_delay_alu instid0(VALU_DEP_1) | instskip(NEXT) | instid1(VALU_DEP_1)
	v_lshl_add_u64 v[10:11], v[2:3], 2, v[10:11]
	v_add_nc_u64_e32 v[36:37], v[10:11], v[8:9]
	v_add_nc_u64_e32 v[10:11], s[14:15], v[10:11]
	flat_load_b32 v38, v[36:37]
	s_wait_loadcnt_dscnt 0x0
	v_mad_u32 v38, v38, s33, v17
	flat_store_b32 v[12:13], v38
	flat_load_b32 v38, v[36:37] offset:64
	s_wait_loadcnt_dscnt 0x0
	v_mad_u32 v38, v38, s33, v27
	flat_store_b32 v[12:13], v38 offset:64
	flat_load_b32 v38, v[36:37] offset:128
	s_wait_loadcnt_dscnt 0x0
	v_mad_u32 v38, v38, s33, v26
	flat_store_b32 v[12:13], v38 offset:128
	flat_load_b32 v36, v[36:37] offset:192
	s_wait_loadcnt_dscnt 0x0
	s_wait_xcnt 0x1
	v_mad_u32 v38, v36, s33, v28
	s_wait_xcnt 0x0
	v_add_nc_u64_e32 v[36:37], v[10:11], v[8:9]
	v_add_nc_u64_e32 v[10:11], s[14:15], v[10:11]
	flat_store_b32 v[12:13], v38 offset:192
	flat_load_b32 v38, v[36:37]
	s_wait_loadcnt_dscnt 0x0
	v_mad_u32 v40, v38, s33, v16
	v_add_nc_u64_e32 v[38:39], v[14:15], v[8:9]
	flat_store_b32 v[38:39], v40
	flat_load_b32 v40, v[36:37] offset:64
	s_wait_loadcnt_dscnt 0x0
	v_mad_u32 v40, v40, s33, v24
	flat_store_b32 v[38:39], v40 offset:64
	flat_load_b32 v40, v[36:37] offset:128
	s_wait_loadcnt_dscnt 0x0
	v_mad_u32 v40, v40, s33, v29
	flat_store_b32 v[38:39], v40 offset:128
	flat_load_b32 v36, v[36:37] offset:192
	s_wait_loadcnt_dscnt 0x0
	s_wait_xcnt 0x1
	v_mad_u32 v40, v36, s33, v25
	s_wait_xcnt 0x0
	v_add_nc_u64_e32 v[36:37], v[10:11], v[8:9]
	v_add_nc_u64_e32 v[10:11], s[14:15], v[10:11]
	s_delay_alu instid0(VALU_DEP_1)
	v_add_nc_u64_e32 v[10:11], v[10:11], v[8:9]
	flat_store_b32 v[38:39], v40 offset:192
	flat_load_b32 v40, v[36:37]
	v_add_nc_u64_e32 v[38:39], s[16:17], v[14:15]
	s_wait_loadcnt_dscnt 0x0
	v_mad_u32 v42, v40, s33, v23
	s_delay_alu instid0(VALU_DEP_2)
	v_add_nc_u64_e32 v[40:41], v[38:39], v[8:9]
	flat_store_b32 v[40:41], v42
	flat_load_b32 v42, v[36:37] offset:64
	s_wait_loadcnt_dscnt 0x0
	v_mad_u32 v42, v42, s33, v30
	flat_store_b32 v[40:41], v42 offset:64
	flat_load_b32 v42, v[36:37] offset:128
	s_wait_loadcnt_dscnt 0x0
	v_mad_u32 v42, v42, s33, v31
	flat_store_b32 v[40:41], v42 offset:128
	flat_load_b32 v36, v[36:37] offset:192
	s_wait_loadcnt_dscnt 0x0
	s_wait_xcnt 0x0
	v_mad_u32 v36, v36, s33, v35
	flat_store_b32 v[40:41], v36 offset:192
	flat_load_b32 v40, v[10:11]
	v_add_nc_u64_e32 v[36:37], s[16:17], v[38:39]
	s_delay_alu instid0(VALU_DEP_1)
	v_add_nc_u64_e32 v[36:37], v[36:37], v[8:9]
	s_wait_loadcnt_dscnt 0x0
	v_mad_u32 v38, v40, s33, v34
	flat_store_b32 v[36:37], v38
	flat_load_b32 v38, v[10:11] offset:64
	s_wait_loadcnt_dscnt 0x0
	v_mad_u32 v38, v38, s33, v33
	flat_store_b32 v[36:37], v38 offset:64
	flat_load_b32 v38, v[10:11] offset:128
	s_wait_loadcnt_dscnt 0x0
	v_mad_u32 v38, v38, s33, v32
	flat_store_b32 v[36:37], v38 offset:128
	flat_load_b32 v10, v[10:11] offset:192
	s_wait_loadcnt_dscnt 0x0
	s_wait_xcnt 0x0
	v_mad_u32 v10, v10, s33, v22
	flat_store_b32 v[36:37], v10 offset:192
	s_cbranch_execnz .LBB196_2
	s_branch .LBB196_9
.LBB196_8:                              ;   in Loop: Header=BB196_3 Depth=1
.LBB196_9:                              ;   in Loop: Header=BB196_3 Depth=1
	s_wait_xcnt 0x0
	s_delay_alu instid0(VALU_DEP_1)
	v_add_nc_u64_e32 v[10:11], s[16:17], v[14:15]
	v_add_nc_u64_e32 v[14:15], v[14:15], v[8:9]
	s_clause 0x3
	flat_store_b32 v[12:13], v17
	flat_store_b32 v[12:13], v27 offset:64
	flat_store_b32 v[12:13], v26 offset:128
	;; [unrolled: 1-line block ×3, first 2 shown]
	v_add_nc_u64_e32 v[36:37], s[16:17], v[10:11]
	v_add_nc_u64_e32 v[10:11], v[10:11], v[8:9]
	s_wait_xcnt 0x0
	s_delay_alu instid0(VALU_DEP_2)
	v_add_nc_u64_e32 v[12:13], v[36:37], v[8:9]
	s_clause 0xb
	flat_store_b32 v[14:15], v16
	flat_store_b32 v[14:15], v24 offset:64
	flat_store_b32 v[14:15], v29 offset:128
	flat_store_b32 v[14:15], v25 offset:192
	flat_store_b32 v[10:11], v23
	flat_store_b32 v[10:11], v30 offset:64
	flat_store_b32 v[10:11], v31 offset:128
	flat_store_b32 v[10:11], v35 offset:192
	;; [unrolled: 4-line block ×3, first 2 shown]
	s_branch .LBB196_2
.LBB196_10:
	s_sendmsg sendmsg(MSG_DEALLOC_VGPRS)
	s_endpgm
	.section	.rodata,"a",@progbits
	.p2align	6, 0x0
	.amdhsa_kernel _ZN12_GLOBAL__N_127rocblas_gemm_batched_kernelIiLi16ELi16ELi64ELi64ELi4ELi64ELi4ELi4ELi64ELc84ELc78EKPKaKPKiKPiEEvlllT_PT11_llSB_llS9_PT12_llPT13_lli
		.amdhsa_group_segment_fixed_size 2048
		.amdhsa_private_segment_fixed_size 0
		.amdhsa_kernarg_size 140
		.amdhsa_user_sgpr_count 2
		.amdhsa_user_sgpr_dispatch_ptr 0
		.amdhsa_user_sgpr_queue_ptr 0
		.amdhsa_user_sgpr_kernarg_segment_ptr 1
		.amdhsa_user_sgpr_dispatch_id 0
		.amdhsa_user_sgpr_kernarg_preload_length 0
		.amdhsa_user_sgpr_kernarg_preload_offset 0
		.amdhsa_user_sgpr_private_segment_size 0
		.amdhsa_wavefront_size32 1
		.amdhsa_uses_dynamic_stack 0
		.amdhsa_enable_private_segment 0
		.amdhsa_system_sgpr_workgroup_id_x 1
		.amdhsa_system_sgpr_workgroup_id_y 1
		.amdhsa_system_sgpr_workgroup_id_z 1
		.amdhsa_system_sgpr_workgroup_info 0
		.amdhsa_system_vgpr_workitem_id 1
		.amdhsa_next_free_vgpr 70
		.amdhsa_next_free_sgpr 38
		.amdhsa_named_barrier_count 0
		.amdhsa_reserve_vcc 1
		.amdhsa_float_round_mode_32 0
		.amdhsa_float_round_mode_16_64 0
		.amdhsa_float_denorm_mode_32 3
		.amdhsa_float_denorm_mode_16_64 3
		.amdhsa_fp16_overflow 0
		.amdhsa_memory_ordered 1
		.amdhsa_forward_progress 1
		.amdhsa_inst_pref_size 21
		.amdhsa_round_robin_scheduling 0
		.amdhsa_exception_fp_ieee_invalid_op 0
		.amdhsa_exception_fp_denorm_src 0
		.amdhsa_exception_fp_ieee_div_zero 0
		.amdhsa_exception_fp_ieee_overflow 0
		.amdhsa_exception_fp_ieee_underflow 0
		.amdhsa_exception_fp_ieee_inexact 0
		.amdhsa_exception_int_div_zero 0
	.end_amdhsa_kernel
	.section	.text._ZN12_GLOBAL__N_127rocblas_gemm_batched_kernelIiLi16ELi16ELi64ELi64ELi4ELi64ELi4ELi4ELi64ELc84ELc78EKPKaKPKiKPiEEvlllT_PT11_llSB_llS9_PT12_llPT13_lli,"axG",@progbits,_ZN12_GLOBAL__N_127rocblas_gemm_batched_kernelIiLi16ELi16ELi64ELi64ELi4ELi64ELi4ELi4ELi64ELc84ELc78EKPKaKPKiKPiEEvlllT_PT11_llSB_llS9_PT12_llPT13_lli,comdat
.Lfunc_end196:
	.size	_ZN12_GLOBAL__N_127rocblas_gemm_batched_kernelIiLi16ELi16ELi64ELi64ELi4ELi64ELi4ELi4ELi64ELc84ELc78EKPKaKPKiKPiEEvlllT_PT11_llSB_llS9_PT12_llPT13_lli, .Lfunc_end196-_ZN12_GLOBAL__N_127rocblas_gemm_batched_kernelIiLi16ELi16ELi64ELi64ELi4ELi64ELi4ELi4ELi64ELc84ELc78EKPKaKPKiKPiEEvlllT_PT11_llSB_llS9_PT12_llPT13_lli
                                        ; -- End function
	.set _ZN12_GLOBAL__N_127rocblas_gemm_batched_kernelIiLi16ELi16ELi64ELi64ELi4ELi64ELi4ELi4ELi64ELc84ELc78EKPKaKPKiKPiEEvlllT_PT11_llSB_llS9_PT12_llPT13_lli.num_vgpr, 70
	.set _ZN12_GLOBAL__N_127rocblas_gemm_batched_kernelIiLi16ELi16ELi64ELi64ELi4ELi64ELi4ELi4ELi64ELc84ELc78EKPKaKPKiKPiEEvlllT_PT11_llSB_llS9_PT12_llPT13_lli.num_agpr, 0
	.set _ZN12_GLOBAL__N_127rocblas_gemm_batched_kernelIiLi16ELi16ELi64ELi64ELi4ELi64ELi4ELi4ELi64ELc84ELc78EKPKaKPKiKPiEEvlllT_PT11_llSB_llS9_PT12_llPT13_lli.numbered_sgpr, 38
	.set _ZN12_GLOBAL__N_127rocblas_gemm_batched_kernelIiLi16ELi16ELi64ELi64ELi4ELi64ELi4ELi4ELi64ELc84ELc78EKPKaKPKiKPiEEvlllT_PT11_llSB_llS9_PT12_llPT13_lli.num_named_barrier, 0
	.set _ZN12_GLOBAL__N_127rocblas_gemm_batched_kernelIiLi16ELi16ELi64ELi64ELi4ELi64ELi4ELi4ELi64ELc84ELc78EKPKaKPKiKPiEEvlllT_PT11_llSB_llS9_PT12_llPT13_lli.private_seg_size, 0
	.set _ZN12_GLOBAL__N_127rocblas_gemm_batched_kernelIiLi16ELi16ELi64ELi64ELi4ELi64ELi4ELi4ELi64ELc84ELc78EKPKaKPKiKPiEEvlllT_PT11_llSB_llS9_PT12_llPT13_lli.uses_vcc, 1
	.set _ZN12_GLOBAL__N_127rocblas_gemm_batched_kernelIiLi16ELi16ELi64ELi64ELi4ELi64ELi4ELi4ELi64ELc84ELc78EKPKaKPKiKPiEEvlllT_PT11_llSB_llS9_PT12_llPT13_lli.uses_flat_scratch, 1
	.set _ZN12_GLOBAL__N_127rocblas_gemm_batched_kernelIiLi16ELi16ELi64ELi64ELi4ELi64ELi4ELi4ELi64ELc84ELc78EKPKaKPKiKPiEEvlllT_PT11_llSB_llS9_PT12_llPT13_lli.has_dyn_sized_stack, 0
	.set _ZN12_GLOBAL__N_127rocblas_gemm_batched_kernelIiLi16ELi16ELi64ELi64ELi4ELi64ELi4ELi4ELi64ELc84ELc78EKPKaKPKiKPiEEvlllT_PT11_llSB_llS9_PT12_llPT13_lli.has_recursion, 0
	.set _ZN12_GLOBAL__N_127rocblas_gemm_batched_kernelIiLi16ELi16ELi64ELi64ELi4ELi64ELi4ELi4ELi64ELc84ELc78EKPKaKPKiKPiEEvlllT_PT11_llSB_llS9_PT12_llPT13_lli.has_indirect_call, 0
	.section	.AMDGPU.csdata,"",@progbits
; Kernel info:
; codeLenInByte = 2624
; TotalNumSgprs: 40
; NumVgprs: 70
; ScratchSize: 0
; MemoryBound: 0
; FloatMode: 240
; IeeeMode: 1
; LDSByteSize: 2048 bytes/workgroup (compile time only)
; SGPRBlocks: 0
; VGPRBlocks: 4
; NumSGPRsForWavesPerEU: 40
; NumVGPRsForWavesPerEU: 70
; NamedBarCnt: 0
; Occupancy: 12
; WaveLimiterHint : 1
; COMPUTE_PGM_RSRC2:SCRATCH_EN: 0
; COMPUTE_PGM_RSRC2:USER_SGPR: 2
; COMPUTE_PGM_RSRC2:TRAP_HANDLER: 0
; COMPUTE_PGM_RSRC2:TGID_X_EN: 1
; COMPUTE_PGM_RSRC2:TGID_Y_EN: 1
; COMPUTE_PGM_RSRC2:TGID_Z_EN: 1
; COMPUTE_PGM_RSRC2:TIDIG_COMP_CNT: 1
	.section	.text._ZN12_GLOBAL__N_127rocblas_gemm_batched_kernelIiLi16ELi16ELi64ELi64ELi4ELi64ELi4ELi4ELi64ELc78ELc84EKPKaKPKiKPiEEvlllT_PT11_llSB_llS9_PT12_llPT13_lli,"axG",@progbits,_ZN12_GLOBAL__N_127rocblas_gemm_batched_kernelIiLi16ELi16ELi64ELi64ELi4ELi64ELi4ELi4ELi64ELc78ELc84EKPKaKPKiKPiEEvlllT_PT11_llSB_llS9_PT12_llPT13_lli,comdat
	.globl	_ZN12_GLOBAL__N_127rocblas_gemm_batched_kernelIiLi16ELi16ELi64ELi64ELi4ELi64ELi4ELi4ELi64ELc78ELc84EKPKaKPKiKPiEEvlllT_PT11_llSB_llS9_PT12_llPT13_lli ; -- Begin function _ZN12_GLOBAL__N_127rocblas_gemm_batched_kernelIiLi16ELi16ELi64ELi64ELi4ELi64ELi4ELi4ELi64ELc78ELc84EKPKaKPKiKPiEEvlllT_PT11_llSB_llS9_PT12_llPT13_lli
	.p2align	8
	.type	_ZN12_GLOBAL__N_127rocblas_gemm_batched_kernelIiLi16ELi16ELi64ELi64ELi4ELi64ELi4ELi4ELi64ELc78ELc84EKPKaKPKiKPiEEvlllT_PT11_llSB_llS9_PT12_llPT13_lli,@function
_ZN12_GLOBAL__N_127rocblas_gemm_batched_kernelIiLi16ELi16ELi64ELi64ELi4ELi64ELi4ELi4ELi64ELc78ELc84EKPKaKPKiKPiEEvlllT_PT11_llSB_llS9_PT12_llPT13_lli: ; @_ZN12_GLOBAL__N_127rocblas_gemm_batched_kernelIiLi16ELi16ELi64ELi64ELi4ELi64ELi4ELi4ELi64ELc78ELc84EKPKaKPKiKPiEEvlllT_PT11_llSB_llS9_PT12_llPT13_lli
; %bb.0:
	s_load_b32 s31, s[0:1], 0x88
	s_bfe_u32 s2, ttmp6, 0x40014
	s_lshr_b32 s3, ttmp7, 16
	s_add_co_i32 s2, s2, 1
	s_bfe_u32 s4, ttmp6, 0x40008
	s_mul_i32 s2, s3, s2
	s_getreg_b32 s34, hwreg(HW_REG_IB_STS2, 6, 4)
	s_add_co_i32 s4, s4, s2
	s_cmp_eq_u32 s34, 0
	s_cselect_b32 s2, s3, s4
	s_mov_b32 s3, 0
	s_wait_kmcnt 0x0
	s_cmp_ge_i32 s2, s31
	s_cbranch_scc1 .LBB197_10
; %bb.1:
	v_bfe_u32 v4, v0, 10, 10
	s_clause 0x5
	s_load_b96 s[28:30], s[0:1], 0x10
	s_load_b256 s[4:11], s[0:1], 0x20
	s_load_b128 s[24:27], s[0:1], 0x40
	s_load_b32 s33, s[0:1], 0x50
	s_load_b128 s[20:23], s[0:1], 0x78
	s_load_b256 s[12:19], s[0:1], 0x58
	s_wait_xcnt 0x0
	s_bfe_u32 s1, ttmp6, 0x4000c
	s_bfe_u32 s35, ttmp6, 0x40010
	v_and_b32_e32 v6, 0x3ff, v0
	v_dual_mov_b32 v5, 0 :: v_dual_lshlrev_b32 v16, 4, v4
	s_add_co_i32 s1, s1, 1
	s_and_b32 s36, ttmp7, 0xffff
	s_add_co_i32 s35, s35, 1
	s_and_b32 s0, ttmp6, 15
	s_mul_i32 s1, ttmp9, s1
	s_mul_i32 s35, s36, s35
	s_bfe_u32 s37, ttmp6, 0x40004
	v_dual_add_nc_u32 v1, v16, v6 :: v_dual_mov_b32 v9, v5
	s_add_co_i32 s0, s0, s1
	s_add_co_i32 s37, s37, s35
	s_cmp_eq_u32 s34, 0
	s_delay_alu instid0(VALU_DEP_1)
	v_dual_lshrrev_b32 v8, 2, v1 :: v_dual_bitop2_b32 v10, 63, v1 bitop3:0x40
	s_cselect_b32 s1, s36, s37
	s_cselect_b32 s0, ttmp9, s0
	s_lshl_b32 s34, s1, 6
	s_mov_b32 s35, s3
	s_wait_kmcnt 0x0
	v_add_nc_u64_e32 v[12:13], s[26:27], v[8:9]
	v_add_nc_u64_e32 v[2:3], s[34:35], v[4:5]
	s_ashr_i32 s1, s0, 31
	v_dual_lshrrev_b32 v9, 6, v1 :: v_dual_bitop2_b32 v4, 3, v0 bitop3:0x40
	s_lshl_b64 s[26:27], s[0:1], 6
	v_lshlrev_b32_e32 v17, 2, v10
	s_add_nc_u64 s[0:1], s[26:27], s[8:9]
	s_delay_alu instid0(VALU_DEP_3)
	v_mul_u64_e32 v[0:1], s[14:15], v[2:3]
	v_mul_u64_e32 v[2:3], s[20:21], v[2:3]
	v_mad_nc_u64_u32 v[12:13], s24, v4, v[12:13]
	v_mad_nc_u64_u32 v[14:15], s6, v9, s[0:1]
	v_lshlrev_b32_e32 v7, 2, v4
	v_cmp_gt_i64_e64 s0, s[28:29], 0
	v_mov_b32_e32 v11, v5
	v_lshl_or_b32 v18, v9, 8, v17
	v_add_nc_u32_e32 v21, 0x400, v16
	v_lshl_or_b32 v8, v8, 4, v7
	v_dual_mov_b32 v7, v5 :: v_dual_lshlrev_b32 v20, 2, v6
	v_cndmask_b32_e64 v16, 0, 1, s0
	v_mad_u32 v13, s25, v4, v13
	v_mad_u32 v15, s7, v9, v15
	v_add_nc_u32_e32 v19, 0x400, v8
	v_add_nc_u64_e32 v[8:9], s[26:27], v[6:7]
	s_lshl_b64 s[8:9], s[6:7], 2
	s_lshl_b64 s[6:7], s[24:25], 2
	s_cmp_lg_u32 s33, 0
	v_cmp_ne_u32_e64 s0, 1, v16
	s_cselect_b32 s1, -1, 0
	s_lshl_b64 s[24:25], s[14:15], 4
	v_lshlrev_b64_e32 v[8:9], 2, v[8:9]
	v_add_nc_u64_e32 v[4:5], s[34:35], v[12:13]
	v_add_nc_u64_e32 v[6:7], v[14:15], v[10:11]
	s_lshl_b64 s[26:27], s[20:21], 4
	s_lshl_b64 s[14:15], s[22:23], 2
	;; [unrolled: 1-line block ×5, first 2 shown]
	s_branch .LBB197_3
.LBB197_2:                              ;   in Loop: Header=BB197_3 Depth=1
	s_add_co_i32 s2, s2, 0x10000
	s_delay_alu instid0(SALU_CYCLE_1)
	s_cmp_lt_i32 s2, s31
	s_cbranch_scc0 .LBB197_10
.LBB197_3:                              ; =>This Loop Header: Depth=1
                                        ;     Child Loop BB197_5 Depth 2
	s_wait_xcnt 0x6
	v_dual_mov_b32 v14, s2 :: v_dual_mov_b32 v30, 0
	v_dual_mov_b32 v24, 0 :: v_dual_mov_b32 v25, 0
	s_wait_xcnt 0x0
	v_dual_mov_b32 v23, 0 :: v_dual_mov_b32 v36, 0
	s_clause 0x1
	global_load_b64 v[10:11], v14, s[12:13] scale_offset
	global_load_b64 v[12:13], v14, s[18:19] scale_offset
	v_dual_mov_b32 v34, 0 :: v_dual_mov_b32 v28, 0
	v_dual_mov_b32 v27, 0 :: v_dual_mov_b32 v26, 0
	;; [unrolled: 1-line block ×5, first 2 shown]
	v_mov_b32_e32 v22, 0
	s_and_b32 vcc_lo, exec_lo, s0
	s_cbranch_vccnz .LBB197_6
; %bb.4:                                ;   in Loop: Header=BB197_3 Depth=1
	v_dual_mov_b32 v22, 0 :: v_dual_mov_b32 v32, 0
	s_lshl_b64 s[24:25], s[2:3], 3
	v_dual_mov_b32 v33, 0 :: v_dual_mov_b32 v35, 0
	s_add_nc_u64 s[26:27], s[10:11], s[24:25]
	s_add_nc_u64 s[24:25], s[4:5], s[24:25]
	s_clause 0x1
	global_load_b64 v[14:15], v22, s[26:27]
	global_load_b64 v[16:17], v22, s[24:25]
	v_dual_mov_b32 v37, 0 :: v_dual_mov_b32 v29, 0
	v_dual_mov_b32 v31, 0 :: v_dual_mov_b32 v26, 0
	;; [unrolled: 1-line block ×6, first 2 shown]
	s_wait_xcnt 0x0
	s_mov_b64 s[24:25], 0
	s_wait_loadcnt 0x1
	v_add_nc_u64_e32 v[14:15], v[14:15], v[4:5]
	s_wait_loadcnt 0x0
	v_add_nc_u64_e32 v[16:17], v[16:17], v[6:7]
.LBB197_5:                              ;   Parent Loop BB197_3 Depth=1
                                        ; =>  This Inner Loop Header: Depth=2
	flat_load_i8 v38, v[16:17]
	s_add_nc_u64 s[24:25], s[24:25], 4
	s_wait_xcnt 0x0
	v_add_nc_u64_e32 v[16:17], s[8:9], v[16:17]
	v_cmp_lt_i64_e64 s26, s[24:25], s[28:29]
	s_and_b32 vcc_lo, exec_lo, s26
	s_wait_loadcnt_dscnt 0x0
	ds_store_b32 v18, v38
	flat_load_i8 v38, v[14:15]
	s_wait_xcnt 0x0
	v_add_nc_u64_e32 v[14:15], s[6:7], v[14:15]
	s_wait_loadcnt_dscnt 0x0
	ds_store_b32 v19, v38
	s_wait_dscnt 0x0
	s_barrier_signal -1
	s_barrier_wait -1
	ds_load_2addr_b32 v[54:55], v20 offset1:16
	ds_load_b128 v[38:41], v21 offset:512
	ds_load_2addr_b32 v[56:57], v20 offset0:32 offset1:48
	ds_load_b128 v[42:45], v21 offset:768
	ds_load_b128 v[46:49], v21 offset:256
	ds_load_b128 v[50:53], v21
	ds_load_2addr_b32 v[58:59], v20 offset0:64 offset1:80
	ds_load_2addr_b32 v[60:61], v20 offset0:96 offset1:112
	;; [unrolled: 1-line block ×6, first 2 shown]
	s_wait_dscnt 0x0
	s_barrier_signal -1
	s_barrier_wait -1
	v_mad_u32 v37, v38, v55, v37
	v_mad_u32 v35, v38, v56, v35
	;; [unrolled: 1-line block ×64, first 2 shown]
	s_cbranch_vccnz .LBB197_5
.LBB197_6:                              ;   in Loop: Header=BB197_3 Depth=1
	s_wait_loadcnt 0x0
	v_add_nc_u64_e32 v[12:13], s[14:15], v[12:13]
	v_mul_lo_u32 v17, v28, s30
	v_mul_lo_u32 v27, v27, s30
	v_mul_lo_u32 v26, v26, s30
	v_mul_lo_u32 v28, v30, s30
	v_mul_lo_u32 v16, v24, s30
	v_mul_lo_u32 v24, v31, s30
	s_wait_xcnt 0x0
	v_lshl_add_u64 v[14:15], v[2:3], 2, v[12:13]
	v_mul_lo_u32 v29, v29, s30
	v_mul_lo_u32 v25, v25, s30
	;; [unrolled: 1-line block ×10, first 2 shown]
	v_add_nc_u64_e32 v[12:13], v[14:15], v[8:9]
	v_add_nc_u64_e32 v[14:15], s[22:23], v[14:15]
	s_and_not1_b32 vcc_lo, exec_lo, s1
	s_cbranch_vccnz .LBB197_8
; %bb.7:                                ;   in Loop: Header=BB197_3 Depth=1
	v_add_nc_u64_e32 v[10:11], s[16:17], v[10:11]
	s_delay_alu instid0(VALU_DEP_1) | instskip(NEXT) | instid1(VALU_DEP_1)
	v_lshl_add_u64 v[10:11], v[0:1], 2, v[10:11]
	v_add_nc_u64_e32 v[36:37], v[10:11], v[8:9]
	v_add_nc_u64_e32 v[10:11], s[20:21], v[10:11]
	flat_load_b32 v38, v[36:37]
	s_wait_loadcnt_dscnt 0x0
	v_mad_u32 v38, v38, s33, v17
	flat_store_b32 v[12:13], v38
	flat_load_b32 v38, v[36:37] offset:64
	s_wait_loadcnt_dscnt 0x0
	v_mad_u32 v38, v38, s33, v27
	flat_store_b32 v[12:13], v38 offset:64
	flat_load_b32 v38, v[36:37] offset:128
	s_wait_loadcnt_dscnt 0x0
	v_mad_u32 v38, v38, s33, v26
	flat_store_b32 v[12:13], v38 offset:128
	flat_load_b32 v36, v[36:37] offset:192
	s_wait_loadcnt_dscnt 0x0
	s_wait_xcnt 0x1
	v_mad_u32 v38, v36, s33, v28
	s_wait_xcnt 0x0
	v_add_nc_u64_e32 v[36:37], v[10:11], v[8:9]
	v_add_nc_u64_e32 v[10:11], s[20:21], v[10:11]
	flat_store_b32 v[12:13], v38 offset:192
	flat_load_b32 v38, v[36:37]
	s_wait_loadcnt_dscnt 0x0
	v_mad_u32 v40, v38, s33, v16
	v_add_nc_u64_e32 v[38:39], v[14:15], v[8:9]
	flat_store_b32 v[38:39], v40
	flat_load_b32 v40, v[36:37] offset:64
	s_wait_loadcnt_dscnt 0x0
	v_mad_u32 v40, v40, s33, v24
	flat_store_b32 v[38:39], v40 offset:64
	flat_load_b32 v40, v[36:37] offset:128
	s_wait_loadcnt_dscnt 0x0
	v_mad_u32 v40, v40, s33, v29
	flat_store_b32 v[38:39], v40 offset:128
	flat_load_b32 v36, v[36:37] offset:192
	s_wait_loadcnt_dscnt 0x0
	s_wait_xcnt 0x1
	v_mad_u32 v40, v36, s33, v25
	s_wait_xcnt 0x0
	v_add_nc_u64_e32 v[36:37], v[10:11], v[8:9]
	v_add_nc_u64_e32 v[10:11], s[20:21], v[10:11]
	s_delay_alu instid0(VALU_DEP_1)
	v_add_nc_u64_e32 v[10:11], v[10:11], v[8:9]
	flat_store_b32 v[38:39], v40 offset:192
	flat_load_b32 v40, v[36:37]
	v_add_nc_u64_e32 v[38:39], s[22:23], v[14:15]
	s_wait_loadcnt_dscnt 0x0
	v_mad_u32 v42, v40, s33, v23
	s_delay_alu instid0(VALU_DEP_2)
	v_add_nc_u64_e32 v[40:41], v[38:39], v[8:9]
	flat_store_b32 v[40:41], v42
	flat_load_b32 v42, v[36:37] offset:64
	s_wait_loadcnt_dscnt 0x0
	v_mad_u32 v42, v42, s33, v30
	flat_store_b32 v[40:41], v42 offset:64
	flat_load_b32 v42, v[36:37] offset:128
	s_wait_loadcnt_dscnt 0x0
	v_mad_u32 v42, v42, s33, v31
	flat_store_b32 v[40:41], v42 offset:128
	flat_load_b32 v36, v[36:37] offset:192
	s_wait_loadcnt_dscnt 0x0
	s_wait_xcnt 0x0
	v_mad_u32 v36, v36, s33, v35
	flat_store_b32 v[40:41], v36 offset:192
	flat_load_b32 v40, v[10:11]
	v_add_nc_u64_e32 v[36:37], s[22:23], v[38:39]
	s_delay_alu instid0(VALU_DEP_1)
	v_add_nc_u64_e32 v[36:37], v[36:37], v[8:9]
	s_wait_loadcnt_dscnt 0x0
	v_mad_u32 v38, v40, s33, v34
	flat_store_b32 v[36:37], v38
	flat_load_b32 v38, v[10:11] offset:64
	s_wait_loadcnt_dscnt 0x0
	v_mad_u32 v38, v38, s33, v33
	flat_store_b32 v[36:37], v38 offset:64
	flat_load_b32 v38, v[10:11] offset:128
	s_wait_loadcnt_dscnt 0x0
	v_mad_u32 v38, v38, s33, v32
	flat_store_b32 v[36:37], v38 offset:128
	flat_load_b32 v10, v[10:11] offset:192
	s_wait_loadcnt_dscnt 0x0
	s_wait_xcnt 0x0
	v_mad_u32 v10, v10, s33, v22
	flat_store_b32 v[36:37], v10 offset:192
	s_cbranch_execnz .LBB197_2
	s_branch .LBB197_9
.LBB197_8:                              ;   in Loop: Header=BB197_3 Depth=1
.LBB197_9:                              ;   in Loop: Header=BB197_3 Depth=1
	s_wait_xcnt 0x0
	s_delay_alu instid0(VALU_DEP_1)
	v_add_nc_u64_e32 v[10:11], s[22:23], v[14:15]
	v_add_nc_u64_e32 v[14:15], v[14:15], v[8:9]
	s_clause 0x3
	flat_store_b32 v[12:13], v17
	flat_store_b32 v[12:13], v27 offset:64
	flat_store_b32 v[12:13], v26 offset:128
	;; [unrolled: 1-line block ×3, first 2 shown]
	v_add_nc_u64_e32 v[36:37], s[22:23], v[10:11]
	v_add_nc_u64_e32 v[10:11], v[10:11], v[8:9]
	s_wait_xcnt 0x0
	s_delay_alu instid0(VALU_DEP_2)
	v_add_nc_u64_e32 v[12:13], v[36:37], v[8:9]
	s_clause 0xb
	flat_store_b32 v[14:15], v16
	flat_store_b32 v[14:15], v24 offset:64
	flat_store_b32 v[14:15], v29 offset:128
	flat_store_b32 v[14:15], v25 offset:192
	flat_store_b32 v[10:11], v23
	flat_store_b32 v[10:11], v30 offset:64
	flat_store_b32 v[10:11], v31 offset:128
	flat_store_b32 v[10:11], v35 offset:192
	flat_store_b32 v[12:13], v34
	flat_store_b32 v[12:13], v33 offset:64
	flat_store_b32 v[12:13], v32 offset:128
	flat_store_b32 v[12:13], v22 offset:192
	s_branch .LBB197_2
.LBB197_10:
	s_sendmsg sendmsg(MSG_DEALLOC_VGPRS)
	s_endpgm
	.section	.rodata,"a",@progbits
	.p2align	6, 0x0
	.amdhsa_kernel _ZN12_GLOBAL__N_127rocblas_gemm_batched_kernelIiLi16ELi16ELi64ELi64ELi4ELi64ELi4ELi4ELi64ELc78ELc84EKPKaKPKiKPiEEvlllT_PT11_llSB_llS9_PT12_llPT13_lli
		.amdhsa_group_segment_fixed_size 2048
		.amdhsa_private_segment_fixed_size 0
		.amdhsa_kernarg_size 140
		.amdhsa_user_sgpr_count 2
		.amdhsa_user_sgpr_dispatch_ptr 0
		.amdhsa_user_sgpr_queue_ptr 0
		.amdhsa_user_sgpr_kernarg_segment_ptr 1
		.amdhsa_user_sgpr_dispatch_id 0
		.amdhsa_user_sgpr_kernarg_preload_length 0
		.amdhsa_user_sgpr_kernarg_preload_offset 0
		.amdhsa_user_sgpr_private_segment_size 0
		.amdhsa_wavefront_size32 1
		.amdhsa_uses_dynamic_stack 0
		.amdhsa_enable_private_segment 0
		.amdhsa_system_sgpr_workgroup_id_x 1
		.amdhsa_system_sgpr_workgroup_id_y 1
		.amdhsa_system_sgpr_workgroup_id_z 1
		.amdhsa_system_sgpr_workgroup_info 0
		.amdhsa_system_vgpr_workitem_id 1
		.amdhsa_next_free_vgpr 70
		.amdhsa_next_free_sgpr 38
		.amdhsa_named_barrier_count 0
		.amdhsa_reserve_vcc 1
		.amdhsa_float_round_mode_32 0
		.amdhsa_float_round_mode_16_64 0
		.amdhsa_float_denorm_mode_32 3
		.amdhsa_float_denorm_mode_16_64 3
		.amdhsa_fp16_overflow 0
		.amdhsa_memory_ordered 1
		.amdhsa_forward_progress 1
		.amdhsa_inst_pref_size 21
		.amdhsa_round_robin_scheduling 0
		.amdhsa_exception_fp_ieee_invalid_op 0
		.amdhsa_exception_fp_denorm_src 0
		.amdhsa_exception_fp_ieee_div_zero 0
		.amdhsa_exception_fp_ieee_overflow 0
		.amdhsa_exception_fp_ieee_underflow 0
		.amdhsa_exception_fp_ieee_inexact 0
		.amdhsa_exception_int_div_zero 0
	.end_amdhsa_kernel
	.section	.text._ZN12_GLOBAL__N_127rocblas_gemm_batched_kernelIiLi16ELi16ELi64ELi64ELi4ELi64ELi4ELi4ELi64ELc78ELc84EKPKaKPKiKPiEEvlllT_PT11_llSB_llS9_PT12_llPT13_lli,"axG",@progbits,_ZN12_GLOBAL__N_127rocblas_gemm_batched_kernelIiLi16ELi16ELi64ELi64ELi4ELi64ELi4ELi4ELi64ELc78ELc84EKPKaKPKiKPiEEvlllT_PT11_llSB_llS9_PT12_llPT13_lli,comdat
.Lfunc_end197:
	.size	_ZN12_GLOBAL__N_127rocblas_gemm_batched_kernelIiLi16ELi16ELi64ELi64ELi4ELi64ELi4ELi4ELi64ELc78ELc84EKPKaKPKiKPiEEvlllT_PT11_llSB_llS9_PT12_llPT13_lli, .Lfunc_end197-_ZN12_GLOBAL__N_127rocblas_gemm_batched_kernelIiLi16ELi16ELi64ELi64ELi4ELi64ELi4ELi4ELi64ELc78ELc84EKPKaKPKiKPiEEvlllT_PT11_llSB_llS9_PT12_llPT13_lli
                                        ; -- End function
	.set _ZN12_GLOBAL__N_127rocblas_gemm_batched_kernelIiLi16ELi16ELi64ELi64ELi4ELi64ELi4ELi4ELi64ELc78ELc84EKPKaKPKiKPiEEvlllT_PT11_llSB_llS9_PT12_llPT13_lli.num_vgpr, 70
	.set _ZN12_GLOBAL__N_127rocblas_gemm_batched_kernelIiLi16ELi16ELi64ELi64ELi4ELi64ELi4ELi4ELi64ELc78ELc84EKPKaKPKiKPiEEvlllT_PT11_llSB_llS9_PT12_llPT13_lli.num_agpr, 0
	.set _ZN12_GLOBAL__N_127rocblas_gemm_batched_kernelIiLi16ELi16ELi64ELi64ELi4ELi64ELi4ELi4ELi64ELc78ELc84EKPKaKPKiKPiEEvlllT_PT11_llSB_llS9_PT12_llPT13_lli.numbered_sgpr, 38
	.set _ZN12_GLOBAL__N_127rocblas_gemm_batched_kernelIiLi16ELi16ELi64ELi64ELi4ELi64ELi4ELi4ELi64ELc78ELc84EKPKaKPKiKPiEEvlllT_PT11_llSB_llS9_PT12_llPT13_lli.num_named_barrier, 0
	.set _ZN12_GLOBAL__N_127rocblas_gemm_batched_kernelIiLi16ELi16ELi64ELi64ELi4ELi64ELi4ELi4ELi64ELc78ELc84EKPKaKPKiKPiEEvlllT_PT11_llSB_llS9_PT12_llPT13_lli.private_seg_size, 0
	.set _ZN12_GLOBAL__N_127rocblas_gemm_batched_kernelIiLi16ELi16ELi64ELi64ELi4ELi64ELi4ELi4ELi64ELc78ELc84EKPKaKPKiKPiEEvlllT_PT11_llSB_llS9_PT12_llPT13_lli.uses_vcc, 1
	.set _ZN12_GLOBAL__N_127rocblas_gemm_batched_kernelIiLi16ELi16ELi64ELi64ELi4ELi64ELi4ELi4ELi64ELc78ELc84EKPKaKPKiKPiEEvlllT_PT11_llSB_llS9_PT12_llPT13_lli.uses_flat_scratch, 1
	.set _ZN12_GLOBAL__N_127rocblas_gemm_batched_kernelIiLi16ELi16ELi64ELi64ELi4ELi64ELi4ELi4ELi64ELc78ELc84EKPKaKPKiKPiEEvlllT_PT11_llSB_llS9_PT12_llPT13_lli.has_dyn_sized_stack, 0
	.set _ZN12_GLOBAL__N_127rocblas_gemm_batched_kernelIiLi16ELi16ELi64ELi64ELi4ELi64ELi4ELi4ELi64ELc78ELc84EKPKaKPKiKPiEEvlllT_PT11_llSB_llS9_PT12_llPT13_lli.has_recursion, 0
	.set _ZN12_GLOBAL__N_127rocblas_gemm_batched_kernelIiLi16ELi16ELi64ELi64ELi4ELi64ELi4ELi4ELi64ELc78ELc84EKPKaKPKiKPiEEvlllT_PT11_llSB_llS9_PT12_llPT13_lli.has_indirect_call, 0
	.section	.AMDGPU.csdata,"",@progbits
; Kernel info:
; codeLenInByte = 2584
; TotalNumSgprs: 40
; NumVgprs: 70
; ScratchSize: 0
; MemoryBound: 0
; FloatMode: 240
; IeeeMode: 1
; LDSByteSize: 2048 bytes/workgroup (compile time only)
; SGPRBlocks: 0
; VGPRBlocks: 4
; NumSGPRsForWavesPerEU: 40
; NumVGPRsForWavesPerEU: 70
; NamedBarCnt: 0
; Occupancy: 12
; WaveLimiterHint : 1
; COMPUTE_PGM_RSRC2:SCRATCH_EN: 0
; COMPUTE_PGM_RSRC2:USER_SGPR: 2
; COMPUTE_PGM_RSRC2:TRAP_HANDLER: 0
; COMPUTE_PGM_RSRC2:TGID_X_EN: 1
; COMPUTE_PGM_RSRC2:TGID_Y_EN: 1
; COMPUTE_PGM_RSRC2:TGID_Z_EN: 1
; COMPUTE_PGM_RSRC2:TIDIG_COMP_CNT: 1
	.section	.text._ZN12_GLOBAL__N_127rocblas_gemm_batched_kernelIiLi16ELi16ELi64ELi64ELi4ELi64ELi4ELi4ELi64ELc84ELc84EKPKaKPKiKPiEEvlllT_PT11_llSB_llS9_PT12_llPT13_lli,"axG",@progbits,_ZN12_GLOBAL__N_127rocblas_gemm_batched_kernelIiLi16ELi16ELi64ELi64ELi4ELi64ELi4ELi4ELi64ELc84ELc84EKPKaKPKiKPiEEvlllT_PT11_llSB_llS9_PT12_llPT13_lli,comdat
	.globl	_ZN12_GLOBAL__N_127rocblas_gemm_batched_kernelIiLi16ELi16ELi64ELi64ELi4ELi64ELi4ELi4ELi64ELc84ELc84EKPKaKPKiKPiEEvlllT_PT11_llSB_llS9_PT12_llPT13_lli ; -- Begin function _ZN12_GLOBAL__N_127rocblas_gemm_batched_kernelIiLi16ELi16ELi64ELi64ELi4ELi64ELi4ELi4ELi64ELc84ELc84EKPKaKPKiKPiEEvlllT_PT11_llSB_llS9_PT12_llPT13_lli
	.p2align	8
	.type	_ZN12_GLOBAL__N_127rocblas_gemm_batched_kernelIiLi16ELi16ELi64ELi64ELi4ELi64ELi4ELi4ELi64ELc84ELc84EKPKaKPKiKPiEEvlllT_PT11_llSB_llS9_PT12_llPT13_lli,@function
_ZN12_GLOBAL__N_127rocblas_gemm_batched_kernelIiLi16ELi16ELi64ELi64ELi4ELi64ELi4ELi4ELi64ELc84ELc84EKPKaKPKiKPiEEvlllT_PT11_llSB_llS9_PT12_llPT13_lli: ; @_ZN12_GLOBAL__N_127rocblas_gemm_batched_kernelIiLi16ELi16ELi64ELi64ELi4ELi64ELi4ELi4ELi64ELc84ELc84EKPKaKPKiKPiEEvlllT_PT11_llSB_llS9_PT12_llPT13_lli
; %bb.0:
	s_load_b32 s31, s[0:1], 0x88
	s_bfe_u32 s2, ttmp6, 0x40014
	s_lshr_b32 s3, ttmp7, 16
	s_add_co_i32 s2, s2, 1
	s_bfe_u32 s4, ttmp6, 0x40008
	s_mul_i32 s2, s3, s2
	s_getreg_b32 s28, hwreg(HW_REG_IB_STS2, 6, 4)
	s_add_co_i32 s4, s4, s2
	s_cmp_eq_u32 s28, 0
	s_cselect_b32 s2, s3, s4
	s_mov_b32 s3, 0
	s_wait_kmcnt 0x0
	s_cmp_ge_i32 s2, s31
	s_cbranch_scc1 .LBB198_10
; %bb.1:
	v_bfe_u32 v6, v0, 10, 10
	s_clause 0x1
	s_load_b256 s[4:11], s[0:1], 0x20
	s_load_b128 s[24:27], s[0:1], 0x40
	v_and_b32_e32 v8, 0x3ff, v0
	s_bfe_u32 s30, ttmp6, 0x4000c
	s_bfe_u32 s33, ttmp6, 0x40010
	v_dual_mov_b32 v7, 0 :: v_dual_lshlrev_b32 v16, 4, v6
	s_clause 0x1
	s_load_b128 s[20:23], s[0:1], 0x78
	s_load_b256 s[12:19], s[0:1], 0x58
	s_add_co_i32 s30, s30, 1
	s_and_b32 s34, ttmp7, 0xffff
	s_add_co_i32 s33, s33, 1
	v_dual_add_nc_u32 v1, v16, v8 :: v_dual_mov_b32 v11, v7
	s_and_b32 s29, ttmp6, 15
	s_mul_i32 s30, ttmp9, s30
	s_mul_i32 s33, s34, s33
	s_bfe_u32 s35, ttmp6, 0x40004
	s_add_co_i32 s29, s29, s30
	s_add_co_i32 s35, s35, s33
	s_cmp_eq_u32 s28, 0
	v_dual_lshrrev_b32 v10, 6, v1 :: v_dual_bitop2_b32 v9, 63, v1 bitop3:0x40
	s_cselect_b32 s28, ttmp9, s29
	s_cselect_b32 s30, s34, s35
	s_ashr_i32 s29, s28, 31
	v_dual_mov_b32 v13, v7 :: v_dual_lshrrev_b32 v12, 2, v1
	s_lshl_b32 s36, s30, 6
	s_mov_b32 s37, s3
	s_lshl_b64 s[34:35], s[28:29], 6
	s_wait_kmcnt 0x0
	v_add_nc_u64_e32 v[2:3], s[8:9], v[10:11]
	v_add_nc_u64_e32 v[4:5], s[36:37], v[6:7]
	v_dual_lshlrev_b32 v17, 2, v9 :: v_dual_bitop2_b32 v11, 3, v0 bitop3:0x40
	v_or_b32_e32 v6, s34, v9
	s_clause 0x1
	s_load_b32 s33, s[0:1], 0x50
	s_load_b96 s[28:30], s[0:1], 0x10
	v_add_nc_u64_e32 v[14:15], s[26:27], v[12:13]
	v_lshlrev_b32_e32 v13, 2, v11
	v_mad_nc_u64_u32 v[0:1], s6, v6, v[2:3]
	v_mul_u64_e32 v[2:3], s[14:15], v[4:5]
	v_mul_u64_e32 v[4:5], s[20:21], v[4:5]
	v_dual_mov_b32 v9, v7 :: v_dual_lshlrev_b32 v20, 2, v8
	v_mad_nc_u64_u32 v[14:15], s24, v11, v[14:15]
	v_lshl_or_b32 v12, v12, 4, v13
	v_lshl_or_b32 v18, v10, 8, v17
	s_delay_alu instid0(VALU_DEP_4) | instskip(SKIP_4) | instid1(VALU_DEP_4)
	v_add_nc_u64_e32 v[8:9], s[34:35], v[8:9]
	s_lshl_b64 s[8:9], s[24:25], 2
	v_add_nc_u32_e32 v21, 0x400, v16
	v_mad_u32 v1, s7, v6, v1
	v_add_nc_u32_e32 v19, 0x400, v12
	v_lshlrev_b64_e32 v[8:9], 2, v[8:9]
	v_mad_u32 v15, s25, v11, v15
	s_wait_kmcnt 0x0
	v_cmp_gt_i64_e64 s0, s[28:29], 0
	s_cmp_lg_u32 s33, 0
	s_cselect_b32 s1, -1, 0
	s_lshl_b64 s[24:25], s[14:15], 4
	v_mad_u32 v1, s6, s35, v1
	s_lshl_b64 s[20:21], s[20:21], 4
	v_cndmask_b32_e64 v10, 0, 1, s0
	s_lshl_b64 s[6:7], s[22:23], 2
	s_lshl_b64 s[14:15], s[16:17], 2
	v_add_nc_u64_e32 v[6:7], s[36:37], v[14:15]
	s_lshl_b64 s[16:17], s[24:25], 2
	v_cmp_ne_u32_e64 s0, 1, v10
	s_lshl_b64 s[20:21], s[20:21], 2
	s_branch .LBB198_3
.LBB198_2:                              ;   in Loop: Header=BB198_3 Depth=1
	s_add_co_i32 s2, s2, 0x10000
	s_delay_alu instid0(SALU_CYCLE_1)
	s_cmp_lt_i32 s2, s31
	s_cbranch_scc0 .LBB198_10
.LBB198_3:                              ; =>This Loop Header: Depth=1
                                        ;     Child Loop BB198_5 Depth 2
	s_wait_xcnt 0x6
	v_dual_mov_b32 v14, s2 :: v_dual_mov_b32 v30, 0
	v_dual_mov_b32 v24, 0 :: v_dual_mov_b32 v25, 0
	s_wait_xcnt 0x0
	v_dual_mov_b32 v23, 0 :: v_dual_mov_b32 v36, 0
	s_clause 0x1
	global_load_b64 v[10:11], v14, s[12:13] scale_offset
	global_load_b64 v[12:13], v14, s[18:19] scale_offset
	v_dual_mov_b32 v34, 0 :: v_dual_mov_b32 v28, 0
	v_dual_mov_b32 v27, 0 :: v_dual_mov_b32 v26, 0
	;; [unrolled: 1-line block ×5, first 2 shown]
	v_mov_b32_e32 v22, 0
	s_and_b32 vcc_lo, exec_lo, s0
	s_cbranch_vccnz .LBB198_6
; %bb.4:                                ;   in Loop: Header=BB198_3 Depth=1
	v_dual_mov_b32 v22, 0 :: v_dual_mov_b32 v32, 0
	s_lshl_b64 s[22:23], s[2:3], 3
	v_dual_mov_b32 v33, 0 :: v_dual_mov_b32 v35, 0
	s_add_nc_u64 s[24:25], s[10:11], s[22:23]
	s_add_nc_u64 s[22:23], s[4:5], s[22:23]
	s_clause 0x1
	global_load_b64 v[14:15], v22, s[24:25]
	global_load_b64 v[16:17], v22, s[22:23]
	v_dual_mov_b32 v37, 0 :: v_dual_mov_b32 v29, 0
	v_dual_mov_b32 v31, 0 :: v_dual_mov_b32 v26, 0
	;; [unrolled: 1-line block ×6, first 2 shown]
	s_wait_xcnt 0x0
	s_mov_b64 s[22:23], 0
	s_wait_loadcnt 0x1
	v_add_nc_u64_e32 v[14:15], v[14:15], v[6:7]
	s_wait_loadcnt 0x0
	v_add_nc_u64_e32 v[16:17], v[16:17], v[0:1]
.LBB198_5:                              ;   Parent Loop BB198_3 Depth=1
                                        ; =>  This Inner Loop Header: Depth=2
	s_delay_alu instid0(VALU_DEP_1) | instskip(SKIP_1) | instid1(SALU_CYCLE_1)
	v_add_nc_u64_e32 v[38:39], s[22:23], v[16:17]
	s_add_nc_u64 s[22:23], s[22:23], 4
	v_cmp_lt_i64_e64 s24, s[22:23], s[28:29]
	flat_load_i8 v38, v[38:39]
	s_and_b32 vcc_lo, exec_lo, s24
	s_wait_loadcnt_dscnt 0x0
	ds_store_b32 v18, v38
	flat_load_i8 v38, v[14:15]
	s_wait_xcnt 0x0
	v_add_nc_u64_e32 v[14:15], s[8:9], v[14:15]
	s_wait_loadcnt_dscnt 0x0
	ds_store_b32 v19, v38
	s_wait_dscnt 0x0
	s_barrier_signal -1
	s_barrier_wait -1
	ds_load_2addr_b32 v[54:55], v20 offset1:16
	ds_load_b128 v[38:41], v21 offset:512
	ds_load_2addr_b32 v[56:57], v20 offset0:32 offset1:48
	ds_load_b128 v[42:45], v21 offset:768
	ds_load_b128 v[46:49], v21 offset:256
	ds_load_b128 v[50:53], v21
	ds_load_2addr_b32 v[58:59], v20 offset0:64 offset1:80
	ds_load_2addr_b32 v[60:61], v20 offset0:96 offset1:112
	;; [unrolled: 1-line block ×6, first 2 shown]
	s_wait_dscnt 0x0
	s_barrier_signal -1
	s_barrier_wait -1
	v_mad_u32 v37, v38, v55, v37
	v_mad_u32 v35, v38, v56, v35
	;; [unrolled: 1-line block ×64, first 2 shown]
	s_cbranch_vccnz .LBB198_5
.LBB198_6:                              ;   in Loop: Header=BB198_3 Depth=1
	s_wait_loadcnt 0x0
	v_add_nc_u64_e32 v[12:13], s[6:7], v[12:13]
	v_mul_lo_u32 v17, v28, s30
	v_mul_lo_u32 v27, v27, s30
	;; [unrolled: 1-line block ×6, first 2 shown]
	s_wait_xcnt 0x0
	v_lshl_add_u64 v[14:15], v[4:5], 2, v[12:13]
	v_mul_lo_u32 v29, v29, s30
	v_mul_lo_u32 v25, v25, s30
	;; [unrolled: 1-line block ×10, first 2 shown]
	v_add_nc_u64_e32 v[12:13], v[14:15], v[8:9]
	v_add_nc_u64_e32 v[14:15], s[20:21], v[14:15]
	s_and_not1_b32 vcc_lo, exec_lo, s1
	s_cbranch_vccnz .LBB198_8
; %bb.7:                                ;   in Loop: Header=BB198_3 Depth=1
	v_add_nc_u64_e32 v[10:11], s[14:15], v[10:11]
	s_delay_alu instid0(VALU_DEP_1) | instskip(NEXT) | instid1(VALU_DEP_1)
	v_lshl_add_u64 v[10:11], v[2:3], 2, v[10:11]
	v_add_nc_u64_e32 v[36:37], v[10:11], v[8:9]
	v_add_nc_u64_e32 v[10:11], s[16:17], v[10:11]
	flat_load_b32 v38, v[36:37]
	s_wait_loadcnt_dscnt 0x0
	v_mad_u32 v38, v38, s33, v17
	flat_store_b32 v[12:13], v38
	flat_load_b32 v38, v[36:37] offset:64
	s_wait_loadcnt_dscnt 0x0
	v_mad_u32 v38, v38, s33, v27
	flat_store_b32 v[12:13], v38 offset:64
	flat_load_b32 v38, v[36:37] offset:128
	s_wait_loadcnt_dscnt 0x0
	v_mad_u32 v38, v38, s33, v26
	flat_store_b32 v[12:13], v38 offset:128
	flat_load_b32 v36, v[36:37] offset:192
	s_wait_loadcnt_dscnt 0x0
	s_wait_xcnt 0x1
	v_mad_u32 v38, v36, s33, v28
	s_wait_xcnt 0x0
	v_add_nc_u64_e32 v[36:37], v[10:11], v[8:9]
	v_add_nc_u64_e32 v[10:11], s[16:17], v[10:11]
	flat_store_b32 v[12:13], v38 offset:192
	flat_load_b32 v38, v[36:37]
	s_wait_loadcnt_dscnt 0x0
	v_mad_u32 v40, v38, s33, v16
	v_add_nc_u64_e32 v[38:39], v[14:15], v[8:9]
	flat_store_b32 v[38:39], v40
	flat_load_b32 v40, v[36:37] offset:64
	s_wait_loadcnt_dscnt 0x0
	v_mad_u32 v40, v40, s33, v24
	flat_store_b32 v[38:39], v40 offset:64
	flat_load_b32 v40, v[36:37] offset:128
	s_wait_loadcnt_dscnt 0x0
	v_mad_u32 v40, v40, s33, v29
	flat_store_b32 v[38:39], v40 offset:128
	flat_load_b32 v36, v[36:37] offset:192
	s_wait_loadcnt_dscnt 0x0
	s_wait_xcnt 0x1
	v_mad_u32 v40, v36, s33, v25
	s_wait_xcnt 0x0
	v_add_nc_u64_e32 v[36:37], v[10:11], v[8:9]
	v_add_nc_u64_e32 v[10:11], s[16:17], v[10:11]
	s_delay_alu instid0(VALU_DEP_1)
	v_add_nc_u64_e32 v[10:11], v[10:11], v[8:9]
	flat_store_b32 v[38:39], v40 offset:192
	flat_load_b32 v40, v[36:37]
	v_add_nc_u64_e32 v[38:39], s[20:21], v[14:15]
	s_wait_loadcnt_dscnt 0x0
	v_mad_u32 v42, v40, s33, v23
	s_delay_alu instid0(VALU_DEP_2)
	v_add_nc_u64_e32 v[40:41], v[38:39], v[8:9]
	flat_store_b32 v[40:41], v42
	flat_load_b32 v42, v[36:37] offset:64
	s_wait_loadcnt_dscnt 0x0
	v_mad_u32 v42, v42, s33, v30
	flat_store_b32 v[40:41], v42 offset:64
	flat_load_b32 v42, v[36:37] offset:128
	s_wait_loadcnt_dscnt 0x0
	v_mad_u32 v42, v42, s33, v31
	flat_store_b32 v[40:41], v42 offset:128
	flat_load_b32 v36, v[36:37] offset:192
	s_wait_loadcnt_dscnt 0x0
	s_wait_xcnt 0x0
	v_mad_u32 v36, v36, s33, v35
	flat_store_b32 v[40:41], v36 offset:192
	flat_load_b32 v40, v[10:11]
	v_add_nc_u64_e32 v[36:37], s[20:21], v[38:39]
	s_delay_alu instid0(VALU_DEP_1)
	v_add_nc_u64_e32 v[36:37], v[36:37], v[8:9]
	s_wait_loadcnt_dscnt 0x0
	v_mad_u32 v38, v40, s33, v34
	flat_store_b32 v[36:37], v38
	flat_load_b32 v38, v[10:11] offset:64
	s_wait_loadcnt_dscnt 0x0
	v_mad_u32 v38, v38, s33, v33
	flat_store_b32 v[36:37], v38 offset:64
	flat_load_b32 v38, v[10:11] offset:128
	s_wait_loadcnt_dscnt 0x0
	v_mad_u32 v38, v38, s33, v32
	flat_store_b32 v[36:37], v38 offset:128
	flat_load_b32 v10, v[10:11] offset:192
	s_wait_loadcnt_dscnt 0x0
	s_wait_xcnt 0x0
	v_mad_u32 v10, v10, s33, v22
	flat_store_b32 v[36:37], v10 offset:192
	s_cbranch_execnz .LBB198_2
	s_branch .LBB198_9
.LBB198_8:                              ;   in Loop: Header=BB198_3 Depth=1
.LBB198_9:                              ;   in Loop: Header=BB198_3 Depth=1
	s_wait_xcnt 0x0
	s_delay_alu instid0(VALU_DEP_1)
	v_add_nc_u64_e32 v[10:11], s[20:21], v[14:15]
	v_add_nc_u64_e32 v[14:15], v[14:15], v[8:9]
	s_clause 0x3
	flat_store_b32 v[12:13], v17
	flat_store_b32 v[12:13], v27 offset:64
	flat_store_b32 v[12:13], v26 offset:128
	;; [unrolled: 1-line block ×3, first 2 shown]
	v_add_nc_u64_e32 v[36:37], s[20:21], v[10:11]
	v_add_nc_u64_e32 v[10:11], v[10:11], v[8:9]
	s_wait_xcnt 0x0
	s_delay_alu instid0(VALU_DEP_2)
	v_add_nc_u64_e32 v[12:13], v[36:37], v[8:9]
	s_clause 0xb
	flat_store_b32 v[14:15], v16
	flat_store_b32 v[14:15], v24 offset:64
	flat_store_b32 v[14:15], v29 offset:128
	flat_store_b32 v[14:15], v25 offset:192
	flat_store_b32 v[10:11], v23
	flat_store_b32 v[10:11], v30 offset:64
	flat_store_b32 v[10:11], v31 offset:128
	flat_store_b32 v[10:11], v35 offset:192
	;; [unrolled: 4-line block ×3, first 2 shown]
	s_branch .LBB198_2
.LBB198_10:
	s_sendmsg sendmsg(MSG_DEALLOC_VGPRS)
	s_endpgm
	.section	.rodata,"a",@progbits
	.p2align	6, 0x0
	.amdhsa_kernel _ZN12_GLOBAL__N_127rocblas_gemm_batched_kernelIiLi16ELi16ELi64ELi64ELi4ELi64ELi4ELi4ELi64ELc84ELc84EKPKaKPKiKPiEEvlllT_PT11_llSB_llS9_PT12_llPT13_lli
		.amdhsa_group_segment_fixed_size 2048
		.amdhsa_private_segment_fixed_size 0
		.amdhsa_kernarg_size 140
		.amdhsa_user_sgpr_count 2
		.amdhsa_user_sgpr_dispatch_ptr 0
		.amdhsa_user_sgpr_queue_ptr 0
		.amdhsa_user_sgpr_kernarg_segment_ptr 1
		.amdhsa_user_sgpr_dispatch_id 0
		.amdhsa_user_sgpr_kernarg_preload_length 0
		.amdhsa_user_sgpr_kernarg_preload_offset 0
		.amdhsa_user_sgpr_private_segment_size 0
		.amdhsa_wavefront_size32 1
		.amdhsa_uses_dynamic_stack 0
		.amdhsa_enable_private_segment 0
		.amdhsa_system_sgpr_workgroup_id_x 1
		.amdhsa_system_sgpr_workgroup_id_y 1
		.amdhsa_system_sgpr_workgroup_id_z 1
		.amdhsa_system_sgpr_workgroup_info 0
		.amdhsa_system_vgpr_workitem_id 1
		.amdhsa_next_free_vgpr 70
		.amdhsa_next_free_sgpr 38
		.amdhsa_named_barrier_count 0
		.amdhsa_reserve_vcc 1
		.amdhsa_float_round_mode_32 0
		.amdhsa_float_round_mode_16_64 0
		.amdhsa_float_denorm_mode_32 3
		.amdhsa_float_denorm_mode_16_64 3
		.amdhsa_fp16_overflow 0
		.amdhsa_memory_ordered 1
		.amdhsa_forward_progress 1
		.amdhsa_inst_pref_size 21
		.amdhsa_round_robin_scheduling 0
		.amdhsa_exception_fp_ieee_invalid_op 0
		.amdhsa_exception_fp_denorm_src 0
		.amdhsa_exception_fp_ieee_div_zero 0
		.amdhsa_exception_fp_ieee_overflow 0
		.amdhsa_exception_fp_ieee_underflow 0
		.amdhsa_exception_fp_ieee_inexact 0
		.amdhsa_exception_int_div_zero 0
	.end_amdhsa_kernel
	.section	.text._ZN12_GLOBAL__N_127rocblas_gemm_batched_kernelIiLi16ELi16ELi64ELi64ELi4ELi64ELi4ELi4ELi64ELc84ELc84EKPKaKPKiKPiEEvlllT_PT11_llSB_llS9_PT12_llPT13_lli,"axG",@progbits,_ZN12_GLOBAL__N_127rocblas_gemm_batched_kernelIiLi16ELi16ELi64ELi64ELi4ELi64ELi4ELi4ELi64ELc84ELc84EKPKaKPKiKPiEEvlllT_PT11_llSB_llS9_PT12_llPT13_lli,comdat
.Lfunc_end198:
	.size	_ZN12_GLOBAL__N_127rocblas_gemm_batched_kernelIiLi16ELi16ELi64ELi64ELi4ELi64ELi4ELi4ELi64ELc84ELc84EKPKaKPKiKPiEEvlllT_PT11_llSB_llS9_PT12_llPT13_lli, .Lfunc_end198-_ZN12_GLOBAL__N_127rocblas_gemm_batched_kernelIiLi16ELi16ELi64ELi64ELi4ELi64ELi4ELi4ELi64ELc84ELc84EKPKaKPKiKPiEEvlllT_PT11_llSB_llS9_PT12_llPT13_lli
                                        ; -- End function
	.set _ZN12_GLOBAL__N_127rocblas_gemm_batched_kernelIiLi16ELi16ELi64ELi64ELi4ELi64ELi4ELi4ELi64ELc84ELc84EKPKaKPKiKPiEEvlllT_PT11_llSB_llS9_PT12_llPT13_lli.num_vgpr, 70
	.set _ZN12_GLOBAL__N_127rocblas_gemm_batched_kernelIiLi16ELi16ELi64ELi64ELi4ELi64ELi4ELi4ELi64ELc84ELc84EKPKaKPKiKPiEEvlllT_PT11_llSB_llS9_PT12_llPT13_lli.num_agpr, 0
	.set _ZN12_GLOBAL__N_127rocblas_gemm_batched_kernelIiLi16ELi16ELi64ELi64ELi4ELi64ELi4ELi4ELi64ELc84ELc84EKPKaKPKiKPiEEvlllT_PT11_llSB_llS9_PT12_llPT13_lli.numbered_sgpr, 38
	.set _ZN12_GLOBAL__N_127rocblas_gemm_batched_kernelIiLi16ELi16ELi64ELi64ELi4ELi64ELi4ELi4ELi64ELc84ELc84EKPKaKPKiKPiEEvlllT_PT11_llSB_llS9_PT12_llPT13_lli.num_named_barrier, 0
	.set _ZN12_GLOBAL__N_127rocblas_gemm_batched_kernelIiLi16ELi16ELi64ELi64ELi4ELi64ELi4ELi4ELi64ELc84ELc84EKPKaKPKiKPiEEvlllT_PT11_llSB_llS9_PT12_llPT13_lli.private_seg_size, 0
	.set _ZN12_GLOBAL__N_127rocblas_gemm_batched_kernelIiLi16ELi16ELi64ELi64ELi4ELi64ELi4ELi4ELi64ELc84ELc84EKPKaKPKiKPiEEvlllT_PT11_llSB_llS9_PT12_llPT13_lli.uses_vcc, 1
	.set _ZN12_GLOBAL__N_127rocblas_gemm_batched_kernelIiLi16ELi16ELi64ELi64ELi4ELi64ELi4ELi4ELi64ELc84ELc84EKPKaKPKiKPiEEvlllT_PT11_llSB_llS9_PT12_llPT13_lli.uses_flat_scratch, 1
	.set _ZN12_GLOBAL__N_127rocblas_gemm_batched_kernelIiLi16ELi16ELi64ELi64ELi4ELi64ELi4ELi4ELi64ELc84ELc84EKPKaKPKiKPiEEvlllT_PT11_llSB_llS9_PT12_llPT13_lli.has_dyn_sized_stack, 0
	.set _ZN12_GLOBAL__N_127rocblas_gemm_batched_kernelIiLi16ELi16ELi64ELi64ELi4ELi64ELi4ELi4ELi64ELc84ELc84EKPKaKPKiKPiEEvlllT_PT11_llSB_llS9_PT12_llPT13_lli.has_recursion, 0
	.set _ZN12_GLOBAL__N_127rocblas_gemm_batched_kernelIiLi16ELi16ELi64ELi64ELi4ELi64ELi4ELi4ELi64ELc84ELc84EKPKaKPKiKPiEEvlllT_PT11_llSB_llS9_PT12_llPT13_lli.has_indirect_call, 0
	.section	.AMDGPU.csdata,"",@progbits
; Kernel info:
; codeLenInByte = 2592
; TotalNumSgprs: 40
; NumVgprs: 70
; ScratchSize: 0
; MemoryBound: 0
; FloatMode: 240
; IeeeMode: 1
; LDSByteSize: 2048 bytes/workgroup (compile time only)
; SGPRBlocks: 0
; VGPRBlocks: 4
; NumSGPRsForWavesPerEU: 40
; NumVGPRsForWavesPerEU: 70
; NamedBarCnt: 0
; Occupancy: 12
; WaveLimiterHint : 1
; COMPUTE_PGM_RSRC2:SCRATCH_EN: 0
; COMPUTE_PGM_RSRC2:USER_SGPR: 2
; COMPUTE_PGM_RSRC2:TRAP_HANDLER: 0
; COMPUTE_PGM_RSRC2:TGID_X_EN: 1
; COMPUTE_PGM_RSRC2:TGID_Y_EN: 1
; COMPUTE_PGM_RSRC2:TGID_Z_EN: 1
; COMPUTE_PGM_RSRC2:TIDIG_COMP_CNT: 1
	.section	.text._ZN12_GLOBAL__N_127rocblas_gemm_batched_kernelIiLi16ELi16ELi64ELi64ELi4ELi64ELi4ELi4ELi64ELc67ELc67EKPKaKPKiKPiEEvlllT_PT11_llSB_llS9_PT12_llPT13_lli,"axG",@progbits,_ZN12_GLOBAL__N_127rocblas_gemm_batched_kernelIiLi16ELi16ELi64ELi64ELi4ELi64ELi4ELi4ELi64ELc67ELc67EKPKaKPKiKPiEEvlllT_PT11_llSB_llS9_PT12_llPT13_lli,comdat
	.globl	_ZN12_GLOBAL__N_127rocblas_gemm_batched_kernelIiLi16ELi16ELi64ELi64ELi4ELi64ELi4ELi4ELi64ELc67ELc67EKPKaKPKiKPiEEvlllT_PT11_llSB_llS9_PT12_llPT13_lli ; -- Begin function _ZN12_GLOBAL__N_127rocblas_gemm_batched_kernelIiLi16ELi16ELi64ELi64ELi4ELi64ELi4ELi4ELi64ELc67ELc67EKPKaKPKiKPiEEvlllT_PT11_llSB_llS9_PT12_llPT13_lli
	.p2align	8
	.type	_ZN12_GLOBAL__N_127rocblas_gemm_batched_kernelIiLi16ELi16ELi64ELi64ELi4ELi64ELi4ELi4ELi64ELc67ELc67EKPKaKPKiKPiEEvlllT_PT11_llSB_llS9_PT12_llPT13_lli,@function
_ZN12_GLOBAL__N_127rocblas_gemm_batched_kernelIiLi16ELi16ELi64ELi64ELi4ELi64ELi4ELi4ELi64ELc67ELc67EKPKaKPKiKPiEEvlllT_PT11_llSB_llS9_PT12_llPT13_lli: ; @_ZN12_GLOBAL__N_127rocblas_gemm_batched_kernelIiLi16ELi16ELi64ELi64ELi4ELi64ELi4ELi4ELi64ELc67ELc67EKPKaKPKiKPiEEvlllT_PT11_llSB_llS9_PT12_llPT13_lli
; %bb.0:
	s_load_b32 s31, s[0:1], 0x88
	s_bfe_u32 s2, ttmp6, 0x40014
	s_lshr_b32 s3, ttmp7, 16
	s_add_co_i32 s2, s2, 1
	s_bfe_u32 s4, ttmp6, 0x40008
	s_mul_i32 s2, s3, s2
	s_getreg_b32 s28, hwreg(HW_REG_IB_STS2, 6, 4)
	s_add_co_i32 s4, s4, s2
	s_cmp_eq_u32 s28, 0
	s_cselect_b32 s2, s3, s4
	s_mov_b32 s3, 0
	s_wait_kmcnt 0x0
	s_cmp_ge_i32 s2, s31
	s_cbranch_scc1 .LBB199_10
; %bb.1:
	v_bfe_u32 v6, v0, 10, 10
	s_clause 0x1
	s_load_b256 s[4:11], s[0:1], 0x20
	s_load_b128 s[24:27], s[0:1], 0x40
	v_and_b32_e32 v8, 0x3ff, v0
	s_bfe_u32 s30, ttmp6, 0x4000c
	s_bfe_u32 s33, ttmp6, 0x40010
	v_dual_mov_b32 v7, 0 :: v_dual_lshlrev_b32 v16, 4, v6
	s_clause 0x1
	s_load_b128 s[20:23], s[0:1], 0x78
	s_load_b256 s[12:19], s[0:1], 0x58
	s_add_co_i32 s30, s30, 1
	s_and_b32 s34, ttmp7, 0xffff
	s_add_co_i32 s33, s33, 1
	v_dual_add_nc_u32 v1, v16, v8 :: v_dual_mov_b32 v11, v7
	s_and_b32 s29, ttmp6, 15
	s_mul_i32 s30, ttmp9, s30
	s_mul_i32 s33, s34, s33
	s_bfe_u32 s35, ttmp6, 0x40004
	s_add_co_i32 s29, s29, s30
	s_add_co_i32 s35, s35, s33
	s_cmp_eq_u32 s28, 0
	v_dual_lshrrev_b32 v10, 6, v1 :: v_dual_bitop2_b32 v9, 63, v1 bitop3:0x40
	s_cselect_b32 s28, ttmp9, s29
	s_cselect_b32 s30, s34, s35
	s_ashr_i32 s29, s28, 31
	v_dual_mov_b32 v13, v7 :: v_dual_lshrrev_b32 v12, 2, v1
	s_lshl_b32 s36, s30, 6
	s_mov_b32 s37, s3
	s_lshl_b64 s[34:35], s[28:29], 6
	s_wait_kmcnt 0x0
	v_add_nc_u64_e32 v[2:3], s[8:9], v[10:11]
	v_add_nc_u64_e32 v[4:5], s[36:37], v[6:7]
	v_dual_lshlrev_b32 v17, 2, v9 :: v_dual_bitop2_b32 v11, 3, v0 bitop3:0x40
	v_or_b32_e32 v6, s34, v9
	s_clause 0x1
	s_load_b32 s33, s[0:1], 0x50
	s_load_b96 s[28:30], s[0:1], 0x10
	v_add_nc_u64_e32 v[14:15], s[26:27], v[12:13]
	v_lshlrev_b32_e32 v13, 2, v11
	v_mad_nc_u64_u32 v[0:1], s6, v6, v[2:3]
	v_mul_u64_e32 v[2:3], s[14:15], v[4:5]
	v_mul_u64_e32 v[4:5], s[20:21], v[4:5]
	v_dual_mov_b32 v9, v7 :: v_dual_lshlrev_b32 v20, 2, v8
	v_mad_nc_u64_u32 v[14:15], s24, v11, v[14:15]
	v_lshl_or_b32 v12, v12, 4, v13
	v_lshl_or_b32 v18, v10, 8, v17
	s_delay_alu instid0(VALU_DEP_4) | instskip(SKIP_4) | instid1(VALU_DEP_4)
	v_add_nc_u64_e32 v[8:9], s[34:35], v[8:9]
	s_lshl_b64 s[8:9], s[24:25], 2
	v_add_nc_u32_e32 v21, 0x400, v16
	v_mad_u32 v1, s7, v6, v1
	v_add_nc_u32_e32 v19, 0x400, v12
	v_lshlrev_b64_e32 v[8:9], 2, v[8:9]
	v_mad_u32 v15, s25, v11, v15
	s_wait_kmcnt 0x0
	v_cmp_gt_i64_e64 s0, s[28:29], 0
	s_cmp_lg_u32 s33, 0
	s_cselect_b32 s1, -1, 0
	s_lshl_b64 s[24:25], s[14:15], 4
	v_mad_u32 v1, s6, s35, v1
	s_lshl_b64 s[20:21], s[20:21], 4
	v_cndmask_b32_e64 v10, 0, 1, s0
	s_lshl_b64 s[6:7], s[22:23], 2
	s_lshl_b64 s[14:15], s[16:17], 2
	v_add_nc_u64_e32 v[6:7], s[36:37], v[14:15]
	s_lshl_b64 s[16:17], s[24:25], 2
	v_cmp_ne_u32_e64 s0, 1, v10
	s_lshl_b64 s[20:21], s[20:21], 2
	s_branch .LBB199_3
.LBB199_2:                              ;   in Loop: Header=BB199_3 Depth=1
	s_add_co_i32 s2, s2, 0x10000
	s_delay_alu instid0(SALU_CYCLE_1)
	s_cmp_lt_i32 s2, s31
	s_cbranch_scc0 .LBB199_10
.LBB199_3:                              ; =>This Loop Header: Depth=1
                                        ;     Child Loop BB199_5 Depth 2
	s_wait_xcnt 0x6
	v_dual_mov_b32 v14, s2 :: v_dual_mov_b32 v30, 0
	v_dual_mov_b32 v24, 0 :: v_dual_mov_b32 v25, 0
	s_wait_xcnt 0x0
	v_dual_mov_b32 v23, 0 :: v_dual_mov_b32 v36, 0
	s_clause 0x1
	global_load_b64 v[10:11], v14, s[12:13] scale_offset
	global_load_b64 v[12:13], v14, s[18:19] scale_offset
	v_dual_mov_b32 v34, 0 :: v_dual_mov_b32 v28, 0
	v_dual_mov_b32 v27, 0 :: v_dual_mov_b32 v26, 0
	;; [unrolled: 1-line block ×5, first 2 shown]
	v_mov_b32_e32 v22, 0
	s_and_b32 vcc_lo, exec_lo, s0
	s_cbranch_vccnz .LBB199_6
; %bb.4:                                ;   in Loop: Header=BB199_3 Depth=1
	v_dual_mov_b32 v22, 0 :: v_dual_mov_b32 v32, 0
	s_lshl_b64 s[22:23], s[2:3], 3
	v_dual_mov_b32 v33, 0 :: v_dual_mov_b32 v35, 0
	s_add_nc_u64 s[24:25], s[10:11], s[22:23]
	s_add_nc_u64 s[22:23], s[4:5], s[22:23]
	s_clause 0x1
	global_load_b64 v[14:15], v22, s[24:25]
	global_load_b64 v[16:17], v22, s[22:23]
	v_dual_mov_b32 v37, 0 :: v_dual_mov_b32 v29, 0
	v_dual_mov_b32 v31, 0 :: v_dual_mov_b32 v26, 0
	;; [unrolled: 1-line block ×6, first 2 shown]
	s_wait_xcnt 0x0
	s_mov_b64 s[22:23], 0
	s_wait_loadcnt 0x1
	v_add_nc_u64_e32 v[14:15], v[14:15], v[6:7]
	s_wait_loadcnt 0x0
	v_add_nc_u64_e32 v[16:17], v[16:17], v[0:1]
.LBB199_5:                              ;   Parent Loop BB199_3 Depth=1
                                        ; =>  This Inner Loop Header: Depth=2
	s_delay_alu instid0(VALU_DEP_1) | instskip(SKIP_1) | instid1(SALU_CYCLE_1)
	v_add_nc_u64_e32 v[38:39], s[22:23], v[16:17]
	s_add_nc_u64 s[22:23], s[22:23], 4
	v_cmp_lt_i64_e64 s24, s[22:23], s[28:29]
	flat_load_i8 v38, v[38:39]
	s_and_b32 vcc_lo, exec_lo, s24
	s_wait_loadcnt_dscnt 0x0
	ds_store_b32 v18, v38
	flat_load_i8 v38, v[14:15]
	s_wait_xcnt 0x0
	v_add_nc_u64_e32 v[14:15], s[8:9], v[14:15]
	s_wait_loadcnt_dscnt 0x0
	ds_store_b32 v19, v38
	s_wait_dscnt 0x0
	s_barrier_signal -1
	s_barrier_wait -1
	ds_load_2addr_b32 v[54:55], v20 offset1:16
	ds_load_b128 v[38:41], v21 offset:512
	ds_load_2addr_b32 v[56:57], v20 offset0:32 offset1:48
	ds_load_b128 v[42:45], v21 offset:768
	ds_load_b128 v[46:49], v21 offset:256
	ds_load_b128 v[50:53], v21
	ds_load_2addr_b32 v[58:59], v20 offset0:64 offset1:80
	ds_load_2addr_b32 v[60:61], v20 offset0:96 offset1:112
	;; [unrolled: 1-line block ×6, first 2 shown]
	s_wait_dscnt 0x0
	s_barrier_signal -1
	s_barrier_wait -1
	v_mad_u32 v37, v38, v55, v37
	v_mad_u32 v35, v38, v56, v35
	;; [unrolled: 1-line block ×64, first 2 shown]
	s_cbranch_vccnz .LBB199_5
.LBB199_6:                              ;   in Loop: Header=BB199_3 Depth=1
	s_wait_loadcnt 0x0
	v_add_nc_u64_e32 v[12:13], s[6:7], v[12:13]
	v_mul_lo_u32 v17, v28, s30
	v_mul_lo_u32 v27, v27, s30
	;; [unrolled: 1-line block ×6, first 2 shown]
	s_wait_xcnt 0x0
	v_lshl_add_u64 v[14:15], v[4:5], 2, v[12:13]
	v_mul_lo_u32 v29, v29, s30
	v_mul_lo_u32 v25, v25, s30
	v_mul_lo_u32 v23, v23, s30
	v_mul_lo_u32 v30, v37, s30
	v_mul_lo_u32 v31, v35, s30
	v_mul_lo_u32 v35, v36, s30
	v_mul_lo_u32 v34, v34, s30
	v_mul_lo_u32 v33, v33, s30
	v_mul_lo_u32 v32, v32, s30
	v_mul_lo_u32 v22, v22, s30
	v_add_nc_u64_e32 v[12:13], v[14:15], v[8:9]
	v_add_nc_u64_e32 v[14:15], s[20:21], v[14:15]
	s_and_not1_b32 vcc_lo, exec_lo, s1
	s_cbranch_vccnz .LBB199_8
; %bb.7:                                ;   in Loop: Header=BB199_3 Depth=1
	v_add_nc_u64_e32 v[10:11], s[14:15], v[10:11]
	s_delay_alu instid0(VALU_DEP_1) | instskip(NEXT) | instid1(VALU_DEP_1)
	v_lshl_add_u64 v[10:11], v[2:3], 2, v[10:11]
	v_add_nc_u64_e32 v[36:37], v[10:11], v[8:9]
	v_add_nc_u64_e32 v[10:11], s[16:17], v[10:11]
	flat_load_b32 v38, v[36:37]
	s_wait_loadcnt_dscnt 0x0
	v_mad_u32 v38, v38, s33, v17
	flat_store_b32 v[12:13], v38
	flat_load_b32 v38, v[36:37] offset:64
	s_wait_loadcnt_dscnt 0x0
	v_mad_u32 v38, v38, s33, v27
	flat_store_b32 v[12:13], v38 offset:64
	flat_load_b32 v38, v[36:37] offset:128
	s_wait_loadcnt_dscnt 0x0
	v_mad_u32 v38, v38, s33, v26
	flat_store_b32 v[12:13], v38 offset:128
	flat_load_b32 v36, v[36:37] offset:192
	s_wait_loadcnt_dscnt 0x0
	s_wait_xcnt 0x1
	v_mad_u32 v38, v36, s33, v28
	s_wait_xcnt 0x0
	v_add_nc_u64_e32 v[36:37], v[10:11], v[8:9]
	v_add_nc_u64_e32 v[10:11], s[16:17], v[10:11]
	flat_store_b32 v[12:13], v38 offset:192
	flat_load_b32 v38, v[36:37]
	s_wait_loadcnt_dscnt 0x0
	v_mad_u32 v40, v38, s33, v16
	v_add_nc_u64_e32 v[38:39], v[14:15], v[8:9]
	flat_store_b32 v[38:39], v40
	flat_load_b32 v40, v[36:37] offset:64
	s_wait_loadcnt_dscnt 0x0
	v_mad_u32 v40, v40, s33, v24
	flat_store_b32 v[38:39], v40 offset:64
	flat_load_b32 v40, v[36:37] offset:128
	s_wait_loadcnt_dscnt 0x0
	v_mad_u32 v40, v40, s33, v29
	flat_store_b32 v[38:39], v40 offset:128
	flat_load_b32 v36, v[36:37] offset:192
	s_wait_loadcnt_dscnt 0x0
	s_wait_xcnt 0x1
	v_mad_u32 v40, v36, s33, v25
	s_wait_xcnt 0x0
	v_add_nc_u64_e32 v[36:37], v[10:11], v[8:9]
	v_add_nc_u64_e32 v[10:11], s[16:17], v[10:11]
	s_delay_alu instid0(VALU_DEP_1)
	v_add_nc_u64_e32 v[10:11], v[10:11], v[8:9]
	flat_store_b32 v[38:39], v40 offset:192
	flat_load_b32 v40, v[36:37]
	v_add_nc_u64_e32 v[38:39], s[20:21], v[14:15]
	s_wait_loadcnt_dscnt 0x0
	v_mad_u32 v42, v40, s33, v23
	s_delay_alu instid0(VALU_DEP_2)
	v_add_nc_u64_e32 v[40:41], v[38:39], v[8:9]
	flat_store_b32 v[40:41], v42
	flat_load_b32 v42, v[36:37] offset:64
	s_wait_loadcnt_dscnt 0x0
	v_mad_u32 v42, v42, s33, v30
	flat_store_b32 v[40:41], v42 offset:64
	flat_load_b32 v42, v[36:37] offset:128
	s_wait_loadcnt_dscnt 0x0
	v_mad_u32 v42, v42, s33, v31
	flat_store_b32 v[40:41], v42 offset:128
	flat_load_b32 v36, v[36:37] offset:192
	s_wait_loadcnt_dscnt 0x0
	s_wait_xcnt 0x0
	v_mad_u32 v36, v36, s33, v35
	flat_store_b32 v[40:41], v36 offset:192
	flat_load_b32 v40, v[10:11]
	v_add_nc_u64_e32 v[36:37], s[20:21], v[38:39]
	s_delay_alu instid0(VALU_DEP_1)
	v_add_nc_u64_e32 v[36:37], v[36:37], v[8:9]
	s_wait_loadcnt_dscnt 0x0
	v_mad_u32 v38, v40, s33, v34
	flat_store_b32 v[36:37], v38
	flat_load_b32 v38, v[10:11] offset:64
	s_wait_loadcnt_dscnt 0x0
	v_mad_u32 v38, v38, s33, v33
	flat_store_b32 v[36:37], v38 offset:64
	flat_load_b32 v38, v[10:11] offset:128
	s_wait_loadcnt_dscnt 0x0
	v_mad_u32 v38, v38, s33, v32
	flat_store_b32 v[36:37], v38 offset:128
	flat_load_b32 v10, v[10:11] offset:192
	s_wait_loadcnt_dscnt 0x0
	s_wait_xcnt 0x0
	v_mad_u32 v10, v10, s33, v22
	flat_store_b32 v[36:37], v10 offset:192
	s_cbranch_execnz .LBB199_2
	s_branch .LBB199_9
.LBB199_8:                              ;   in Loop: Header=BB199_3 Depth=1
.LBB199_9:                              ;   in Loop: Header=BB199_3 Depth=1
	s_wait_xcnt 0x0
	s_delay_alu instid0(VALU_DEP_1)
	v_add_nc_u64_e32 v[10:11], s[20:21], v[14:15]
	v_add_nc_u64_e32 v[14:15], v[14:15], v[8:9]
	s_clause 0x3
	flat_store_b32 v[12:13], v17
	flat_store_b32 v[12:13], v27 offset:64
	flat_store_b32 v[12:13], v26 offset:128
	;; [unrolled: 1-line block ×3, first 2 shown]
	v_add_nc_u64_e32 v[36:37], s[20:21], v[10:11]
	v_add_nc_u64_e32 v[10:11], v[10:11], v[8:9]
	s_wait_xcnt 0x0
	s_delay_alu instid0(VALU_DEP_2)
	v_add_nc_u64_e32 v[12:13], v[36:37], v[8:9]
	s_clause 0xb
	flat_store_b32 v[14:15], v16
	flat_store_b32 v[14:15], v24 offset:64
	flat_store_b32 v[14:15], v29 offset:128
	flat_store_b32 v[14:15], v25 offset:192
	flat_store_b32 v[10:11], v23
	flat_store_b32 v[10:11], v30 offset:64
	flat_store_b32 v[10:11], v31 offset:128
	flat_store_b32 v[10:11], v35 offset:192
	;; [unrolled: 4-line block ×3, first 2 shown]
	s_branch .LBB199_2
.LBB199_10:
	s_sendmsg sendmsg(MSG_DEALLOC_VGPRS)
	s_endpgm
	.section	.rodata,"a",@progbits
	.p2align	6, 0x0
	.amdhsa_kernel _ZN12_GLOBAL__N_127rocblas_gemm_batched_kernelIiLi16ELi16ELi64ELi64ELi4ELi64ELi4ELi4ELi64ELc67ELc67EKPKaKPKiKPiEEvlllT_PT11_llSB_llS9_PT12_llPT13_lli
		.amdhsa_group_segment_fixed_size 2048
		.amdhsa_private_segment_fixed_size 0
		.amdhsa_kernarg_size 140
		.amdhsa_user_sgpr_count 2
		.amdhsa_user_sgpr_dispatch_ptr 0
		.amdhsa_user_sgpr_queue_ptr 0
		.amdhsa_user_sgpr_kernarg_segment_ptr 1
		.amdhsa_user_sgpr_dispatch_id 0
		.amdhsa_user_sgpr_kernarg_preload_length 0
		.amdhsa_user_sgpr_kernarg_preload_offset 0
		.amdhsa_user_sgpr_private_segment_size 0
		.amdhsa_wavefront_size32 1
		.amdhsa_uses_dynamic_stack 0
		.amdhsa_enable_private_segment 0
		.amdhsa_system_sgpr_workgroup_id_x 1
		.amdhsa_system_sgpr_workgroup_id_y 1
		.amdhsa_system_sgpr_workgroup_id_z 1
		.amdhsa_system_sgpr_workgroup_info 0
		.amdhsa_system_vgpr_workitem_id 1
		.amdhsa_next_free_vgpr 70
		.amdhsa_next_free_sgpr 38
		.amdhsa_named_barrier_count 0
		.amdhsa_reserve_vcc 1
		.amdhsa_float_round_mode_32 0
		.amdhsa_float_round_mode_16_64 0
		.amdhsa_float_denorm_mode_32 3
		.amdhsa_float_denorm_mode_16_64 3
		.amdhsa_fp16_overflow 0
		.amdhsa_memory_ordered 1
		.amdhsa_forward_progress 1
		.amdhsa_inst_pref_size 21
		.amdhsa_round_robin_scheduling 0
		.amdhsa_exception_fp_ieee_invalid_op 0
		.amdhsa_exception_fp_denorm_src 0
		.amdhsa_exception_fp_ieee_div_zero 0
		.amdhsa_exception_fp_ieee_overflow 0
		.amdhsa_exception_fp_ieee_underflow 0
		.amdhsa_exception_fp_ieee_inexact 0
		.amdhsa_exception_int_div_zero 0
	.end_amdhsa_kernel
	.section	.text._ZN12_GLOBAL__N_127rocblas_gemm_batched_kernelIiLi16ELi16ELi64ELi64ELi4ELi64ELi4ELi4ELi64ELc67ELc67EKPKaKPKiKPiEEvlllT_PT11_llSB_llS9_PT12_llPT13_lli,"axG",@progbits,_ZN12_GLOBAL__N_127rocblas_gemm_batched_kernelIiLi16ELi16ELi64ELi64ELi4ELi64ELi4ELi4ELi64ELc67ELc67EKPKaKPKiKPiEEvlllT_PT11_llSB_llS9_PT12_llPT13_lli,comdat
.Lfunc_end199:
	.size	_ZN12_GLOBAL__N_127rocblas_gemm_batched_kernelIiLi16ELi16ELi64ELi64ELi4ELi64ELi4ELi4ELi64ELc67ELc67EKPKaKPKiKPiEEvlllT_PT11_llSB_llS9_PT12_llPT13_lli, .Lfunc_end199-_ZN12_GLOBAL__N_127rocblas_gemm_batched_kernelIiLi16ELi16ELi64ELi64ELi4ELi64ELi4ELi4ELi64ELc67ELc67EKPKaKPKiKPiEEvlllT_PT11_llSB_llS9_PT12_llPT13_lli
                                        ; -- End function
	.set _ZN12_GLOBAL__N_127rocblas_gemm_batched_kernelIiLi16ELi16ELi64ELi64ELi4ELi64ELi4ELi4ELi64ELc67ELc67EKPKaKPKiKPiEEvlllT_PT11_llSB_llS9_PT12_llPT13_lli.num_vgpr, 70
	.set _ZN12_GLOBAL__N_127rocblas_gemm_batched_kernelIiLi16ELi16ELi64ELi64ELi4ELi64ELi4ELi4ELi64ELc67ELc67EKPKaKPKiKPiEEvlllT_PT11_llSB_llS9_PT12_llPT13_lli.num_agpr, 0
	.set _ZN12_GLOBAL__N_127rocblas_gemm_batched_kernelIiLi16ELi16ELi64ELi64ELi4ELi64ELi4ELi4ELi64ELc67ELc67EKPKaKPKiKPiEEvlllT_PT11_llSB_llS9_PT12_llPT13_lli.numbered_sgpr, 38
	.set _ZN12_GLOBAL__N_127rocblas_gemm_batched_kernelIiLi16ELi16ELi64ELi64ELi4ELi64ELi4ELi4ELi64ELc67ELc67EKPKaKPKiKPiEEvlllT_PT11_llSB_llS9_PT12_llPT13_lli.num_named_barrier, 0
	.set _ZN12_GLOBAL__N_127rocblas_gemm_batched_kernelIiLi16ELi16ELi64ELi64ELi4ELi64ELi4ELi4ELi64ELc67ELc67EKPKaKPKiKPiEEvlllT_PT11_llSB_llS9_PT12_llPT13_lli.private_seg_size, 0
	.set _ZN12_GLOBAL__N_127rocblas_gemm_batched_kernelIiLi16ELi16ELi64ELi64ELi4ELi64ELi4ELi4ELi64ELc67ELc67EKPKaKPKiKPiEEvlllT_PT11_llSB_llS9_PT12_llPT13_lli.uses_vcc, 1
	.set _ZN12_GLOBAL__N_127rocblas_gemm_batched_kernelIiLi16ELi16ELi64ELi64ELi4ELi64ELi4ELi4ELi64ELc67ELc67EKPKaKPKiKPiEEvlllT_PT11_llSB_llS9_PT12_llPT13_lli.uses_flat_scratch, 1
	.set _ZN12_GLOBAL__N_127rocblas_gemm_batched_kernelIiLi16ELi16ELi64ELi64ELi4ELi64ELi4ELi4ELi64ELc67ELc67EKPKaKPKiKPiEEvlllT_PT11_llSB_llS9_PT12_llPT13_lli.has_dyn_sized_stack, 0
	.set _ZN12_GLOBAL__N_127rocblas_gemm_batched_kernelIiLi16ELi16ELi64ELi64ELi4ELi64ELi4ELi4ELi64ELc67ELc67EKPKaKPKiKPiEEvlllT_PT11_llSB_llS9_PT12_llPT13_lli.has_recursion, 0
	.set _ZN12_GLOBAL__N_127rocblas_gemm_batched_kernelIiLi16ELi16ELi64ELi64ELi4ELi64ELi4ELi4ELi64ELc67ELc67EKPKaKPKiKPiEEvlllT_PT11_llSB_llS9_PT12_llPT13_lli.has_indirect_call, 0
	.section	.AMDGPU.csdata,"",@progbits
; Kernel info:
; codeLenInByte = 2592
; TotalNumSgprs: 40
; NumVgprs: 70
; ScratchSize: 0
; MemoryBound: 0
; FloatMode: 240
; IeeeMode: 1
; LDSByteSize: 2048 bytes/workgroup (compile time only)
; SGPRBlocks: 0
; VGPRBlocks: 4
; NumSGPRsForWavesPerEU: 40
; NumVGPRsForWavesPerEU: 70
; NamedBarCnt: 0
; Occupancy: 12
; WaveLimiterHint : 1
; COMPUTE_PGM_RSRC2:SCRATCH_EN: 0
; COMPUTE_PGM_RSRC2:USER_SGPR: 2
; COMPUTE_PGM_RSRC2:TRAP_HANDLER: 0
; COMPUTE_PGM_RSRC2:TGID_X_EN: 1
; COMPUTE_PGM_RSRC2:TGID_Y_EN: 1
; COMPUTE_PGM_RSRC2:TGID_Z_EN: 1
; COMPUTE_PGM_RSRC2:TIDIG_COMP_CNT: 1
	.section	.text._ZN12_GLOBAL__N_127rocblas_gemm_batched_kernelIiLi16ELi16ELi64ELi64ELi4ELi64ELi4ELi4ELi64ELc67ELc78EKPKaKPKiKPiEEvlllT_PT11_llSB_llS9_PT12_llPT13_lli,"axG",@progbits,_ZN12_GLOBAL__N_127rocblas_gemm_batched_kernelIiLi16ELi16ELi64ELi64ELi4ELi64ELi4ELi4ELi64ELc67ELc78EKPKaKPKiKPiEEvlllT_PT11_llSB_llS9_PT12_llPT13_lli,comdat
	.globl	_ZN12_GLOBAL__N_127rocblas_gemm_batched_kernelIiLi16ELi16ELi64ELi64ELi4ELi64ELi4ELi4ELi64ELc67ELc78EKPKaKPKiKPiEEvlllT_PT11_llSB_llS9_PT12_llPT13_lli ; -- Begin function _ZN12_GLOBAL__N_127rocblas_gemm_batched_kernelIiLi16ELi16ELi64ELi64ELi4ELi64ELi4ELi4ELi64ELc67ELc78EKPKaKPKiKPiEEvlllT_PT11_llSB_llS9_PT12_llPT13_lli
	.p2align	8
	.type	_ZN12_GLOBAL__N_127rocblas_gemm_batched_kernelIiLi16ELi16ELi64ELi64ELi4ELi64ELi4ELi4ELi64ELc67ELc78EKPKaKPKiKPiEEvlllT_PT11_llSB_llS9_PT12_llPT13_lli,@function
_ZN12_GLOBAL__N_127rocblas_gemm_batched_kernelIiLi16ELi16ELi64ELi64ELi4ELi64ELi4ELi4ELi64ELc67ELc78EKPKaKPKiKPiEEvlllT_PT11_llSB_llS9_PT12_llPT13_lli: ; @_ZN12_GLOBAL__N_127rocblas_gemm_batched_kernelIiLi16ELi16ELi64ELi64ELi4ELi64ELi4ELi4ELi64ELc67ELc78EKPKaKPKiKPiEEvlllT_PT11_llSB_llS9_PT12_llPT13_lli
; %bb.0:
	s_load_b32 s31, s[0:1], 0x88
	s_bfe_u32 s2, ttmp6, 0x40014
	s_lshr_b32 s3, ttmp7, 16
	s_add_co_i32 s2, s2, 1
	s_bfe_u32 s4, ttmp6, 0x40008
	s_mul_i32 s2, s3, s2
	s_getreg_b32 s28, hwreg(HW_REG_IB_STS2, 6, 4)
	s_add_co_i32 s4, s4, s2
	s_cmp_eq_u32 s28, 0
	s_cselect_b32 s2, s3, s4
	s_mov_b32 s3, 0
	s_wait_kmcnt 0x0
	s_cmp_ge_i32 s2, s31
	s_cbranch_scc1 .LBB200_10
; %bb.1:
	v_bfe_u32 v6, v0, 10, 10
	v_and_b32_e32 v8, 0x3ff, v0
	s_bfe_u32 s30, ttmp6, 0x4000c
	s_bfe_u32 s35, ttmp6, 0x40010
	s_clause 0x2
	s_load_b256 s[4:11], s[0:1], 0x20
	s_load_b128 s[24:27], s[0:1], 0x40
	s_load_b32 s33, s[0:1], 0x50
	v_dual_lshlrev_b32 v21, 4, v6 :: v_dual_mov_b32 v7, 0
	s_and_b32 s34, ttmp7, 0xffff
	s_add_co_i32 s30, s30, 1
	s_add_co_i32 s35, s35, 1
	s_delay_alu instid0(VALU_DEP_1)
	v_dual_add_nc_u32 v1, v21, v8 :: v_dual_mov_b32 v11, v7
	s_and_b32 s29, ttmp6, 15
	s_mul_i32 s30, ttmp9, s30
	s_mul_i32 s35, s34, s35
	s_bfe_u32 s36, ttmp6, 0x40004
	s_add_co_i32 s29, s29, s30
	s_add_co_i32 s36, s36, s35
	s_cmp_eq_u32 s28, 0
	v_dual_lshrrev_b32 v10, 2, v1 :: v_dual_lshrrev_b32 v12, 6, v1
	s_cselect_b32 s30, s34, s36
	s_cselect_b32 s28, ttmp9, s29
	s_lshl_b32 s34, s30, 6
	s_mov_b32 s35, s3
	s_clause 0x1
	s_load_b128 s[20:23], s[0:1], 0x78
	s_load_b256 s[12:19], s[0:1], 0x58
	v_add_nc_u64_e32 v[14:15], s[34:35], v[10:11]
	v_dual_mov_b32 v13, v7 :: v_dual_bitop2_b32 v9, 63, v1 bitop3:0x40
	s_ashr_i32 s29, s28, 31
	v_add_nc_u64_e32 v[4:5], s[34:35], v[6:7]
	s_lshl_b64 s[36:37], s[28:29], 6
	s_wait_kmcnt 0x0
	v_add_nc_u64_e32 v[2:3], s[8:9], v[12:13]
	v_mad_nc_u64_u32 v[16:17], s24, v14, s[26:27]
	v_and_b32_e32 v6, 3, v0
	s_load_b96 s[28:30], s[0:1], 0x10
	s_cmp_lg_u32 s33, 0
	v_add_nc_u32_e32 v21, 0x400, v21
	v_lshlrev_b32_e32 v20, 2, v8
	s_wait_xcnt 0x0
	s_cselect_b32 s1, -1, 0
	s_delay_alu instid0(VALU_DEP_4) | instskip(SKIP_3) | instid1(VALU_DEP_2)
	v_mad_u32 v14, s25, v14, v17
	v_dual_lshlrev_b32 v17, 2, v9 :: v_dual_bitop2_b32 v11, s36, v9 bitop3:0x54
	v_dual_lshlrev_b32 v13, 2, v6 :: v_dual_mov_b32 v9, v7
	s_lshl_b64 s[8:9], s[16:17], 2
	v_lshl_or_b32 v18, v12, 8, v17
	s_delay_alu instid0(VALU_DEP_3)
	v_mad_nc_u64_u32 v[0:1], s6, v11, v[2:3]
	v_mul_u64_e32 v[2:3], s[14:15], v[4:5]
	v_mul_u64_e32 v[4:5], s[20:21], v[4:5]
	v_lshl_or_b32 v10, v10, 4, v13
	v_mad_u32 v17, s24, v15, v14
	s_wait_kmcnt 0x0
	v_cmp_gt_i64_e64 s0, s[28:29], 0
	v_add_nc_u64_e32 v[8:9], s[36:37], v[8:9]
	s_lshl_b64 s[14:15], s[14:15], 4
	v_add_nc_u32_e32 v19, 0x400, v10
	s_lshl_b64 s[20:21], s[20:21], 4
	s_lshl_b64 s[14:15], s[14:15], 2
	v_mad_u32 v1, s7, v11, v1
	v_cndmask_b32_e64 v10, 0, 1, s0
	v_lshlrev_b64_e32 v[8:9], 2, v[8:9]
	s_lshl_b64 s[16:17], s[20:21], 2
	v_add_nc_u64_e32 v[6:7], v[16:17], v[6:7]
	s_delay_alu instid0(VALU_DEP_3)
	v_cmp_ne_u32_e64 s0, 1, v10
	v_mad_u32 v1, s6, s37, v1
	s_lshl_b64 s[6:7], s[22:23], 2
	s_branch .LBB200_3
.LBB200_2:                              ;   in Loop: Header=BB200_3 Depth=1
	s_add_co_i32 s2, s2, 0x10000
	s_delay_alu instid0(SALU_CYCLE_1)
	s_cmp_lt_i32 s2, s31
	s_cbranch_scc0 .LBB200_10
.LBB200_3:                              ; =>This Loop Header: Depth=1
                                        ;     Child Loop BB200_5 Depth 2
	s_wait_xcnt 0x6
	v_dual_mov_b32 v14, s2 :: v_dual_mov_b32 v30, 0
	v_dual_mov_b32 v24, 0 :: v_dual_mov_b32 v25, 0
	s_wait_xcnt 0x0
	v_dual_mov_b32 v23, 0 :: v_dual_mov_b32 v36, 0
	s_clause 0x1
	global_load_b64 v[10:11], v14, s[12:13] scale_offset
	global_load_b64 v[12:13], v14, s[18:19] scale_offset
	v_dual_mov_b32 v34, 0 :: v_dual_mov_b32 v28, 0
	v_dual_mov_b32 v27, 0 :: v_dual_mov_b32 v26, 0
	;; [unrolled: 1-line block ×5, first 2 shown]
	v_mov_b32_e32 v22, 0
	s_and_b32 vcc_lo, exec_lo, s0
	s_cbranch_vccnz .LBB200_6
; %bb.4:                                ;   in Loop: Header=BB200_3 Depth=1
	v_dual_mov_b32 v22, 0 :: v_dual_mov_b32 v32, 0
	s_lshl_b64 s[20:21], s[2:3], 3
	v_dual_mov_b32 v33, 0 :: v_dual_mov_b32 v35, 0
	s_add_nc_u64 s[22:23], s[10:11], s[20:21]
	s_add_nc_u64 s[20:21], s[4:5], s[20:21]
	s_clause 0x1
	global_load_b64 v[14:15], v22, s[22:23]
	global_load_b64 v[16:17], v22, s[20:21]
	v_dual_mov_b32 v37, 0 :: v_dual_mov_b32 v29, 0
	v_dual_mov_b32 v31, 0 :: v_dual_mov_b32 v26, 0
	;; [unrolled: 1-line block ×6, first 2 shown]
	s_wait_xcnt 0x0
	s_mov_b64 s[20:21], 0
	s_wait_loadcnt 0x1
	v_add_nc_u64_e32 v[14:15], v[14:15], v[6:7]
	s_wait_loadcnt 0x0
	v_add_nc_u64_e32 v[16:17], v[16:17], v[0:1]
.LBB200_5:                              ;   Parent Loop BB200_3 Depth=1
                                        ; =>  This Inner Loop Header: Depth=2
	s_delay_alu instid0(VALU_DEP_1) | instskip(SKIP_4) | instid1(SALU_CYCLE_1)
	v_add_nc_u64_e32 v[38:39], s[20:21], v[16:17]
	flat_load_i8 v40, v[38:39]
	s_wait_xcnt 0x0
	v_add_nc_u64_e32 v[38:39], s[20:21], v[14:15]
	s_add_nc_u64 s[20:21], s[20:21], 4
	v_cmp_lt_i64_e64 s22, s[20:21], s[28:29]
	s_and_b32 vcc_lo, exec_lo, s22
	s_wait_loadcnt_dscnt 0x0
	ds_store_b32 v18, v40
	flat_load_i8 v38, v[38:39]
	s_wait_loadcnt_dscnt 0x0
	ds_store_b32 v19, v38
	s_wait_dscnt 0x0
	s_barrier_signal -1
	s_barrier_wait -1
	ds_load_2addr_b32 v[54:55], v20 offset1:16
	s_wait_xcnt 0x0
	ds_load_b128 v[38:41], v21 offset:512
	ds_load_2addr_b32 v[56:57], v20 offset0:32 offset1:48
	ds_load_b128 v[42:45], v21 offset:768
	ds_load_b128 v[46:49], v21 offset:256
	ds_load_b128 v[50:53], v21
	ds_load_2addr_b32 v[58:59], v20 offset0:64 offset1:80
	ds_load_2addr_b32 v[60:61], v20 offset0:96 offset1:112
	;; [unrolled: 1-line block ×6, first 2 shown]
	s_wait_dscnt 0x0
	s_barrier_signal -1
	s_barrier_wait -1
	v_mad_u32 v37, v38, v55, v37
	v_mad_u32 v35, v38, v56, v35
	;; [unrolled: 1-line block ×64, first 2 shown]
	s_cbranch_vccnz .LBB200_5
.LBB200_6:                              ;   in Loop: Header=BB200_3 Depth=1
	s_wait_loadcnt 0x0
	v_add_nc_u64_e32 v[12:13], s[6:7], v[12:13]
	v_mul_lo_u32 v17, v28, s30
	v_mul_lo_u32 v27, v27, s30
	;; [unrolled: 1-line block ×6, first 2 shown]
	s_wait_xcnt 0x0
	v_lshl_add_u64 v[14:15], v[4:5], 2, v[12:13]
	v_mul_lo_u32 v29, v29, s30
	v_mul_lo_u32 v25, v25, s30
	;; [unrolled: 1-line block ×10, first 2 shown]
	v_add_nc_u64_e32 v[12:13], v[14:15], v[8:9]
	v_add_nc_u64_e32 v[14:15], s[16:17], v[14:15]
	s_and_not1_b32 vcc_lo, exec_lo, s1
	s_cbranch_vccnz .LBB200_8
; %bb.7:                                ;   in Loop: Header=BB200_3 Depth=1
	v_add_nc_u64_e32 v[10:11], s[8:9], v[10:11]
	s_delay_alu instid0(VALU_DEP_1) | instskip(NEXT) | instid1(VALU_DEP_1)
	v_lshl_add_u64 v[10:11], v[2:3], 2, v[10:11]
	v_add_nc_u64_e32 v[36:37], v[10:11], v[8:9]
	v_add_nc_u64_e32 v[10:11], s[14:15], v[10:11]
	flat_load_b32 v38, v[36:37]
	s_wait_loadcnt_dscnt 0x0
	v_mad_u32 v38, v38, s33, v17
	flat_store_b32 v[12:13], v38
	flat_load_b32 v38, v[36:37] offset:64
	s_wait_loadcnt_dscnt 0x0
	v_mad_u32 v38, v38, s33, v27
	flat_store_b32 v[12:13], v38 offset:64
	flat_load_b32 v38, v[36:37] offset:128
	s_wait_loadcnt_dscnt 0x0
	v_mad_u32 v38, v38, s33, v26
	flat_store_b32 v[12:13], v38 offset:128
	flat_load_b32 v36, v[36:37] offset:192
	s_wait_loadcnt_dscnt 0x0
	s_wait_xcnt 0x1
	v_mad_u32 v38, v36, s33, v28
	s_wait_xcnt 0x0
	v_add_nc_u64_e32 v[36:37], v[10:11], v[8:9]
	v_add_nc_u64_e32 v[10:11], s[14:15], v[10:11]
	flat_store_b32 v[12:13], v38 offset:192
	flat_load_b32 v38, v[36:37]
	s_wait_loadcnt_dscnt 0x0
	v_mad_u32 v40, v38, s33, v16
	v_add_nc_u64_e32 v[38:39], v[14:15], v[8:9]
	flat_store_b32 v[38:39], v40
	flat_load_b32 v40, v[36:37] offset:64
	s_wait_loadcnt_dscnt 0x0
	v_mad_u32 v40, v40, s33, v24
	flat_store_b32 v[38:39], v40 offset:64
	flat_load_b32 v40, v[36:37] offset:128
	s_wait_loadcnt_dscnt 0x0
	v_mad_u32 v40, v40, s33, v29
	flat_store_b32 v[38:39], v40 offset:128
	flat_load_b32 v36, v[36:37] offset:192
	s_wait_loadcnt_dscnt 0x0
	s_wait_xcnt 0x1
	v_mad_u32 v40, v36, s33, v25
	s_wait_xcnt 0x0
	v_add_nc_u64_e32 v[36:37], v[10:11], v[8:9]
	v_add_nc_u64_e32 v[10:11], s[14:15], v[10:11]
	s_delay_alu instid0(VALU_DEP_1)
	v_add_nc_u64_e32 v[10:11], v[10:11], v[8:9]
	flat_store_b32 v[38:39], v40 offset:192
	flat_load_b32 v40, v[36:37]
	v_add_nc_u64_e32 v[38:39], s[16:17], v[14:15]
	s_wait_loadcnt_dscnt 0x0
	v_mad_u32 v42, v40, s33, v23
	s_delay_alu instid0(VALU_DEP_2)
	v_add_nc_u64_e32 v[40:41], v[38:39], v[8:9]
	flat_store_b32 v[40:41], v42
	flat_load_b32 v42, v[36:37] offset:64
	s_wait_loadcnt_dscnt 0x0
	v_mad_u32 v42, v42, s33, v30
	flat_store_b32 v[40:41], v42 offset:64
	flat_load_b32 v42, v[36:37] offset:128
	s_wait_loadcnt_dscnt 0x0
	v_mad_u32 v42, v42, s33, v31
	flat_store_b32 v[40:41], v42 offset:128
	flat_load_b32 v36, v[36:37] offset:192
	s_wait_loadcnt_dscnt 0x0
	s_wait_xcnt 0x0
	v_mad_u32 v36, v36, s33, v35
	flat_store_b32 v[40:41], v36 offset:192
	flat_load_b32 v40, v[10:11]
	v_add_nc_u64_e32 v[36:37], s[16:17], v[38:39]
	s_delay_alu instid0(VALU_DEP_1)
	v_add_nc_u64_e32 v[36:37], v[36:37], v[8:9]
	s_wait_loadcnt_dscnt 0x0
	v_mad_u32 v38, v40, s33, v34
	flat_store_b32 v[36:37], v38
	flat_load_b32 v38, v[10:11] offset:64
	s_wait_loadcnt_dscnt 0x0
	v_mad_u32 v38, v38, s33, v33
	flat_store_b32 v[36:37], v38 offset:64
	flat_load_b32 v38, v[10:11] offset:128
	s_wait_loadcnt_dscnt 0x0
	v_mad_u32 v38, v38, s33, v32
	flat_store_b32 v[36:37], v38 offset:128
	flat_load_b32 v10, v[10:11] offset:192
	s_wait_loadcnt_dscnt 0x0
	s_wait_xcnt 0x0
	v_mad_u32 v10, v10, s33, v22
	flat_store_b32 v[36:37], v10 offset:192
	s_cbranch_execnz .LBB200_2
	s_branch .LBB200_9
.LBB200_8:                              ;   in Loop: Header=BB200_3 Depth=1
.LBB200_9:                              ;   in Loop: Header=BB200_3 Depth=1
	s_wait_xcnt 0x0
	s_delay_alu instid0(VALU_DEP_1)
	v_add_nc_u64_e32 v[10:11], s[16:17], v[14:15]
	v_add_nc_u64_e32 v[14:15], v[14:15], v[8:9]
	s_clause 0x3
	flat_store_b32 v[12:13], v17
	flat_store_b32 v[12:13], v27 offset:64
	flat_store_b32 v[12:13], v26 offset:128
	;; [unrolled: 1-line block ×3, first 2 shown]
	v_add_nc_u64_e32 v[36:37], s[16:17], v[10:11]
	v_add_nc_u64_e32 v[10:11], v[10:11], v[8:9]
	s_wait_xcnt 0x0
	s_delay_alu instid0(VALU_DEP_2)
	v_add_nc_u64_e32 v[12:13], v[36:37], v[8:9]
	s_clause 0xb
	flat_store_b32 v[14:15], v16
	flat_store_b32 v[14:15], v24 offset:64
	flat_store_b32 v[14:15], v29 offset:128
	flat_store_b32 v[14:15], v25 offset:192
	flat_store_b32 v[10:11], v23
	flat_store_b32 v[10:11], v30 offset:64
	flat_store_b32 v[10:11], v31 offset:128
	flat_store_b32 v[10:11], v35 offset:192
	;; [unrolled: 4-line block ×3, first 2 shown]
	s_branch .LBB200_2
.LBB200_10:
	s_sendmsg sendmsg(MSG_DEALLOC_VGPRS)
	s_endpgm
	.section	.rodata,"a",@progbits
	.p2align	6, 0x0
	.amdhsa_kernel _ZN12_GLOBAL__N_127rocblas_gemm_batched_kernelIiLi16ELi16ELi64ELi64ELi4ELi64ELi4ELi4ELi64ELc67ELc78EKPKaKPKiKPiEEvlllT_PT11_llSB_llS9_PT12_llPT13_lli
		.amdhsa_group_segment_fixed_size 2048
		.amdhsa_private_segment_fixed_size 0
		.amdhsa_kernarg_size 140
		.amdhsa_user_sgpr_count 2
		.amdhsa_user_sgpr_dispatch_ptr 0
		.amdhsa_user_sgpr_queue_ptr 0
		.amdhsa_user_sgpr_kernarg_segment_ptr 1
		.amdhsa_user_sgpr_dispatch_id 0
		.amdhsa_user_sgpr_kernarg_preload_length 0
		.amdhsa_user_sgpr_kernarg_preload_offset 0
		.amdhsa_user_sgpr_private_segment_size 0
		.amdhsa_wavefront_size32 1
		.amdhsa_uses_dynamic_stack 0
		.amdhsa_enable_private_segment 0
		.amdhsa_system_sgpr_workgroup_id_x 1
		.amdhsa_system_sgpr_workgroup_id_y 1
		.amdhsa_system_sgpr_workgroup_id_z 1
		.amdhsa_system_sgpr_workgroup_info 0
		.amdhsa_system_vgpr_workitem_id 1
		.amdhsa_next_free_vgpr 70
		.amdhsa_next_free_sgpr 38
		.amdhsa_named_barrier_count 0
		.amdhsa_reserve_vcc 1
		.amdhsa_float_round_mode_32 0
		.amdhsa_float_round_mode_16_64 0
		.amdhsa_float_denorm_mode_32 3
		.amdhsa_float_denorm_mode_16_64 3
		.amdhsa_fp16_overflow 0
		.amdhsa_memory_ordered 1
		.amdhsa_forward_progress 1
		.amdhsa_inst_pref_size 21
		.amdhsa_round_robin_scheduling 0
		.amdhsa_exception_fp_ieee_invalid_op 0
		.amdhsa_exception_fp_denorm_src 0
		.amdhsa_exception_fp_ieee_div_zero 0
		.amdhsa_exception_fp_ieee_overflow 0
		.amdhsa_exception_fp_ieee_underflow 0
		.amdhsa_exception_fp_ieee_inexact 0
		.amdhsa_exception_int_div_zero 0
	.end_amdhsa_kernel
	.section	.text._ZN12_GLOBAL__N_127rocblas_gemm_batched_kernelIiLi16ELi16ELi64ELi64ELi4ELi64ELi4ELi4ELi64ELc67ELc78EKPKaKPKiKPiEEvlllT_PT11_llSB_llS9_PT12_llPT13_lli,"axG",@progbits,_ZN12_GLOBAL__N_127rocblas_gemm_batched_kernelIiLi16ELi16ELi64ELi64ELi4ELi64ELi4ELi4ELi64ELc67ELc78EKPKaKPKiKPiEEvlllT_PT11_llSB_llS9_PT12_llPT13_lli,comdat
.Lfunc_end200:
	.size	_ZN12_GLOBAL__N_127rocblas_gemm_batched_kernelIiLi16ELi16ELi64ELi64ELi4ELi64ELi4ELi4ELi64ELc67ELc78EKPKaKPKiKPiEEvlllT_PT11_llSB_llS9_PT12_llPT13_lli, .Lfunc_end200-_ZN12_GLOBAL__N_127rocblas_gemm_batched_kernelIiLi16ELi16ELi64ELi64ELi4ELi64ELi4ELi4ELi64ELc67ELc78EKPKaKPKiKPiEEvlllT_PT11_llSB_llS9_PT12_llPT13_lli
                                        ; -- End function
	.set _ZN12_GLOBAL__N_127rocblas_gemm_batched_kernelIiLi16ELi16ELi64ELi64ELi4ELi64ELi4ELi4ELi64ELc67ELc78EKPKaKPKiKPiEEvlllT_PT11_llSB_llS9_PT12_llPT13_lli.num_vgpr, 70
	.set _ZN12_GLOBAL__N_127rocblas_gemm_batched_kernelIiLi16ELi16ELi64ELi64ELi4ELi64ELi4ELi4ELi64ELc67ELc78EKPKaKPKiKPiEEvlllT_PT11_llSB_llS9_PT12_llPT13_lli.num_agpr, 0
	.set _ZN12_GLOBAL__N_127rocblas_gemm_batched_kernelIiLi16ELi16ELi64ELi64ELi4ELi64ELi4ELi4ELi64ELc67ELc78EKPKaKPKiKPiEEvlllT_PT11_llSB_llS9_PT12_llPT13_lli.numbered_sgpr, 38
	.set _ZN12_GLOBAL__N_127rocblas_gemm_batched_kernelIiLi16ELi16ELi64ELi64ELi4ELi64ELi4ELi4ELi64ELc67ELc78EKPKaKPKiKPiEEvlllT_PT11_llSB_llS9_PT12_llPT13_lli.num_named_barrier, 0
	.set _ZN12_GLOBAL__N_127rocblas_gemm_batched_kernelIiLi16ELi16ELi64ELi64ELi4ELi64ELi4ELi4ELi64ELc67ELc78EKPKaKPKiKPiEEvlllT_PT11_llSB_llS9_PT12_llPT13_lli.private_seg_size, 0
	.set _ZN12_GLOBAL__N_127rocblas_gemm_batched_kernelIiLi16ELi16ELi64ELi64ELi4ELi64ELi4ELi4ELi64ELc67ELc78EKPKaKPKiKPiEEvlllT_PT11_llSB_llS9_PT12_llPT13_lli.uses_vcc, 1
	.set _ZN12_GLOBAL__N_127rocblas_gemm_batched_kernelIiLi16ELi16ELi64ELi64ELi4ELi64ELi4ELi4ELi64ELc67ELc78EKPKaKPKiKPiEEvlllT_PT11_llSB_llS9_PT12_llPT13_lli.uses_flat_scratch, 1
	.set _ZN12_GLOBAL__N_127rocblas_gemm_batched_kernelIiLi16ELi16ELi64ELi64ELi4ELi64ELi4ELi4ELi64ELc67ELc78EKPKaKPKiKPiEEvlllT_PT11_llSB_llS9_PT12_llPT13_lli.has_dyn_sized_stack, 0
	.set _ZN12_GLOBAL__N_127rocblas_gemm_batched_kernelIiLi16ELi16ELi64ELi64ELi4ELi64ELi4ELi4ELi64ELc67ELc78EKPKaKPKiKPiEEvlllT_PT11_llSB_llS9_PT12_llPT13_lli.has_recursion, 0
	.set _ZN12_GLOBAL__N_127rocblas_gemm_batched_kernelIiLi16ELi16ELi64ELi64ELi4ELi64ELi4ELi4ELi64ELc67ELc78EKPKaKPKiKPiEEvlllT_PT11_llSB_llS9_PT12_llPT13_lli.has_indirect_call, 0
	.section	.AMDGPU.csdata,"",@progbits
; Kernel info:
; codeLenInByte = 2624
; TotalNumSgprs: 40
; NumVgprs: 70
; ScratchSize: 0
; MemoryBound: 0
; FloatMode: 240
; IeeeMode: 1
; LDSByteSize: 2048 bytes/workgroup (compile time only)
; SGPRBlocks: 0
; VGPRBlocks: 4
; NumSGPRsForWavesPerEU: 40
; NumVGPRsForWavesPerEU: 70
; NamedBarCnt: 0
; Occupancy: 12
; WaveLimiterHint : 1
; COMPUTE_PGM_RSRC2:SCRATCH_EN: 0
; COMPUTE_PGM_RSRC2:USER_SGPR: 2
; COMPUTE_PGM_RSRC2:TRAP_HANDLER: 0
; COMPUTE_PGM_RSRC2:TGID_X_EN: 1
; COMPUTE_PGM_RSRC2:TGID_Y_EN: 1
; COMPUTE_PGM_RSRC2:TGID_Z_EN: 1
; COMPUTE_PGM_RSRC2:TIDIG_COMP_CNT: 1
	.section	.text._ZN12_GLOBAL__N_127rocblas_gemm_batched_kernelIiLi16ELi16ELi64ELi64ELi4ELi64ELi4ELi4ELi64ELc67ELc84EKPKaKPKiKPiEEvlllT_PT11_llSB_llS9_PT12_llPT13_lli,"axG",@progbits,_ZN12_GLOBAL__N_127rocblas_gemm_batched_kernelIiLi16ELi16ELi64ELi64ELi4ELi64ELi4ELi4ELi64ELc67ELc84EKPKaKPKiKPiEEvlllT_PT11_llSB_llS9_PT12_llPT13_lli,comdat
	.globl	_ZN12_GLOBAL__N_127rocblas_gemm_batched_kernelIiLi16ELi16ELi64ELi64ELi4ELi64ELi4ELi4ELi64ELc67ELc84EKPKaKPKiKPiEEvlllT_PT11_llSB_llS9_PT12_llPT13_lli ; -- Begin function _ZN12_GLOBAL__N_127rocblas_gemm_batched_kernelIiLi16ELi16ELi64ELi64ELi4ELi64ELi4ELi4ELi64ELc67ELc84EKPKaKPKiKPiEEvlllT_PT11_llSB_llS9_PT12_llPT13_lli
	.p2align	8
	.type	_ZN12_GLOBAL__N_127rocblas_gemm_batched_kernelIiLi16ELi16ELi64ELi64ELi4ELi64ELi4ELi4ELi64ELc67ELc84EKPKaKPKiKPiEEvlllT_PT11_llSB_llS9_PT12_llPT13_lli,@function
_ZN12_GLOBAL__N_127rocblas_gemm_batched_kernelIiLi16ELi16ELi64ELi64ELi4ELi64ELi4ELi4ELi64ELc67ELc84EKPKaKPKiKPiEEvlllT_PT11_llSB_llS9_PT12_llPT13_lli: ; @_ZN12_GLOBAL__N_127rocblas_gemm_batched_kernelIiLi16ELi16ELi64ELi64ELi4ELi64ELi4ELi4ELi64ELc67ELc84EKPKaKPKiKPiEEvlllT_PT11_llSB_llS9_PT12_llPT13_lli
; %bb.0:
	s_load_b32 s31, s[0:1], 0x88
	s_bfe_u32 s2, ttmp6, 0x40014
	s_lshr_b32 s3, ttmp7, 16
	s_add_co_i32 s2, s2, 1
	s_bfe_u32 s4, ttmp6, 0x40008
	s_mul_i32 s2, s3, s2
	s_getreg_b32 s28, hwreg(HW_REG_IB_STS2, 6, 4)
	s_add_co_i32 s4, s4, s2
	s_cmp_eq_u32 s28, 0
	s_cselect_b32 s2, s3, s4
	s_mov_b32 s3, 0
	s_wait_kmcnt 0x0
	s_cmp_ge_i32 s2, s31
	s_cbranch_scc1 .LBB201_10
; %bb.1:
	v_bfe_u32 v6, v0, 10, 10
	s_clause 0x1
	s_load_b256 s[4:11], s[0:1], 0x20
	s_load_b128 s[24:27], s[0:1], 0x40
	v_and_b32_e32 v8, 0x3ff, v0
	s_bfe_u32 s30, ttmp6, 0x4000c
	s_bfe_u32 s33, ttmp6, 0x40010
	v_dual_mov_b32 v7, 0 :: v_dual_lshlrev_b32 v16, 4, v6
	s_clause 0x1
	s_load_b128 s[20:23], s[0:1], 0x78
	s_load_b256 s[12:19], s[0:1], 0x58
	s_add_co_i32 s30, s30, 1
	s_and_b32 s34, ttmp7, 0xffff
	s_add_co_i32 s33, s33, 1
	v_dual_add_nc_u32 v1, v16, v8 :: v_dual_mov_b32 v11, v7
	s_and_b32 s29, ttmp6, 15
	s_mul_i32 s30, ttmp9, s30
	s_mul_i32 s33, s34, s33
	s_bfe_u32 s35, ttmp6, 0x40004
	s_add_co_i32 s29, s29, s30
	s_add_co_i32 s35, s35, s33
	s_cmp_eq_u32 s28, 0
	v_dual_lshrrev_b32 v10, 6, v1 :: v_dual_bitop2_b32 v9, 63, v1 bitop3:0x40
	s_cselect_b32 s28, ttmp9, s29
	s_cselect_b32 s30, s34, s35
	s_ashr_i32 s29, s28, 31
	v_dual_mov_b32 v13, v7 :: v_dual_lshrrev_b32 v12, 2, v1
	s_lshl_b32 s36, s30, 6
	s_mov_b32 s37, s3
	s_lshl_b64 s[34:35], s[28:29], 6
	s_wait_kmcnt 0x0
	v_add_nc_u64_e32 v[2:3], s[8:9], v[10:11]
	v_add_nc_u64_e32 v[4:5], s[36:37], v[6:7]
	v_dual_lshlrev_b32 v17, 2, v9 :: v_dual_bitop2_b32 v11, 3, v0 bitop3:0x40
	v_or_b32_e32 v6, s34, v9
	s_clause 0x1
	s_load_b32 s33, s[0:1], 0x50
	s_load_b96 s[28:30], s[0:1], 0x10
	v_add_nc_u64_e32 v[14:15], s[26:27], v[12:13]
	v_lshlrev_b32_e32 v13, 2, v11
	v_mad_nc_u64_u32 v[0:1], s6, v6, v[2:3]
	v_mul_u64_e32 v[2:3], s[14:15], v[4:5]
	v_mul_u64_e32 v[4:5], s[20:21], v[4:5]
	v_dual_mov_b32 v9, v7 :: v_dual_lshlrev_b32 v20, 2, v8
	v_mad_nc_u64_u32 v[14:15], s24, v11, v[14:15]
	v_lshl_or_b32 v12, v12, 4, v13
	v_lshl_or_b32 v18, v10, 8, v17
	s_delay_alu instid0(VALU_DEP_4) | instskip(SKIP_4) | instid1(VALU_DEP_4)
	v_add_nc_u64_e32 v[8:9], s[34:35], v[8:9]
	s_lshl_b64 s[8:9], s[24:25], 2
	v_add_nc_u32_e32 v21, 0x400, v16
	v_mad_u32 v1, s7, v6, v1
	v_add_nc_u32_e32 v19, 0x400, v12
	v_lshlrev_b64_e32 v[8:9], 2, v[8:9]
	v_mad_u32 v15, s25, v11, v15
	s_wait_kmcnt 0x0
	v_cmp_gt_i64_e64 s0, s[28:29], 0
	s_cmp_lg_u32 s33, 0
	s_cselect_b32 s1, -1, 0
	s_lshl_b64 s[24:25], s[14:15], 4
	v_mad_u32 v1, s6, s35, v1
	s_lshl_b64 s[20:21], s[20:21], 4
	v_cndmask_b32_e64 v10, 0, 1, s0
	s_lshl_b64 s[6:7], s[22:23], 2
	s_lshl_b64 s[14:15], s[16:17], 2
	v_add_nc_u64_e32 v[6:7], s[36:37], v[14:15]
	s_lshl_b64 s[16:17], s[24:25], 2
	v_cmp_ne_u32_e64 s0, 1, v10
	s_lshl_b64 s[20:21], s[20:21], 2
	s_branch .LBB201_3
.LBB201_2:                              ;   in Loop: Header=BB201_3 Depth=1
	s_add_co_i32 s2, s2, 0x10000
	s_delay_alu instid0(SALU_CYCLE_1)
	s_cmp_lt_i32 s2, s31
	s_cbranch_scc0 .LBB201_10
.LBB201_3:                              ; =>This Loop Header: Depth=1
                                        ;     Child Loop BB201_5 Depth 2
	s_wait_xcnt 0x6
	v_dual_mov_b32 v14, s2 :: v_dual_mov_b32 v30, 0
	v_dual_mov_b32 v24, 0 :: v_dual_mov_b32 v25, 0
	s_wait_xcnt 0x0
	v_dual_mov_b32 v23, 0 :: v_dual_mov_b32 v36, 0
	s_clause 0x1
	global_load_b64 v[10:11], v14, s[12:13] scale_offset
	global_load_b64 v[12:13], v14, s[18:19] scale_offset
	v_dual_mov_b32 v34, 0 :: v_dual_mov_b32 v28, 0
	v_dual_mov_b32 v27, 0 :: v_dual_mov_b32 v26, 0
	;; [unrolled: 1-line block ×5, first 2 shown]
	v_mov_b32_e32 v22, 0
	s_and_b32 vcc_lo, exec_lo, s0
	s_cbranch_vccnz .LBB201_6
; %bb.4:                                ;   in Loop: Header=BB201_3 Depth=1
	v_dual_mov_b32 v22, 0 :: v_dual_mov_b32 v32, 0
	s_lshl_b64 s[22:23], s[2:3], 3
	v_dual_mov_b32 v33, 0 :: v_dual_mov_b32 v35, 0
	s_add_nc_u64 s[24:25], s[10:11], s[22:23]
	s_add_nc_u64 s[22:23], s[4:5], s[22:23]
	s_clause 0x1
	global_load_b64 v[14:15], v22, s[24:25]
	global_load_b64 v[16:17], v22, s[22:23]
	v_dual_mov_b32 v37, 0 :: v_dual_mov_b32 v29, 0
	v_dual_mov_b32 v31, 0 :: v_dual_mov_b32 v26, 0
	;; [unrolled: 1-line block ×6, first 2 shown]
	s_wait_xcnt 0x0
	s_mov_b64 s[22:23], 0
	s_wait_loadcnt 0x1
	v_add_nc_u64_e32 v[14:15], v[14:15], v[6:7]
	s_wait_loadcnt 0x0
	v_add_nc_u64_e32 v[16:17], v[16:17], v[0:1]
.LBB201_5:                              ;   Parent Loop BB201_3 Depth=1
                                        ; =>  This Inner Loop Header: Depth=2
	s_delay_alu instid0(VALU_DEP_1) | instskip(SKIP_1) | instid1(SALU_CYCLE_1)
	v_add_nc_u64_e32 v[38:39], s[22:23], v[16:17]
	s_add_nc_u64 s[22:23], s[22:23], 4
	v_cmp_lt_i64_e64 s24, s[22:23], s[28:29]
	flat_load_i8 v38, v[38:39]
	s_and_b32 vcc_lo, exec_lo, s24
	s_wait_loadcnt_dscnt 0x0
	ds_store_b32 v18, v38
	flat_load_i8 v38, v[14:15]
	s_wait_xcnt 0x0
	v_add_nc_u64_e32 v[14:15], s[8:9], v[14:15]
	s_wait_loadcnt_dscnt 0x0
	ds_store_b32 v19, v38
	s_wait_dscnt 0x0
	s_barrier_signal -1
	s_barrier_wait -1
	ds_load_2addr_b32 v[54:55], v20 offset1:16
	ds_load_b128 v[38:41], v21 offset:512
	ds_load_2addr_b32 v[56:57], v20 offset0:32 offset1:48
	ds_load_b128 v[42:45], v21 offset:768
	ds_load_b128 v[46:49], v21 offset:256
	ds_load_b128 v[50:53], v21
	ds_load_2addr_b32 v[58:59], v20 offset0:64 offset1:80
	ds_load_2addr_b32 v[60:61], v20 offset0:96 offset1:112
	;; [unrolled: 1-line block ×6, first 2 shown]
	s_wait_dscnt 0x0
	s_barrier_signal -1
	s_barrier_wait -1
	v_mad_u32 v37, v38, v55, v37
	v_mad_u32 v35, v38, v56, v35
	;; [unrolled: 1-line block ×64, first 2 shown]
	s_cbranch_vccnz .LBB201_5
.LBB201_6:                              ;   in Loop: Header=BB201_3 Depth=1
	s_wait_loadcnt 0x0
	v_add_nc_u64_e32 v[12:13], s[6:7], v[12:13]
	v_mul_lo_u32 v17, v28, s30
	v_mul_lo_u32 v27, v27, s30
	;; [unrolled: 1-line block ×6, first 2 shown]
	s_wait_xcnt 0x0
	v_lshl_add_u64 v[14:15], v[4:5], 2, v[12:13]
	v_mul_lo_u32 v29, v29, s30
	v_mul_lo_u32 v25, v25, s30
	;; [unrolled: 1-line block ×10, first 2 shown]
	v_add_nc_u64_e32 v[12:13], v[14:15], v[8:9]
	v_add_nc_u64_e32 v[14:15], s[20:21], v[14:15]
	s_and_not1_b32 vcc_lo, exec_lo, s1
	s_cbranch_vccnz .LBB201_8
; %bb.7:                                ;   in Loop: Header=BB201_3 Depth=1
	v_add_nc_u64_e32 v[10:11], s[14:15], v[10:11]
	s_delay_alu instid0(VALU_DEP_1) | instskip(NEXT) | instid1(VALU_DEP_1)
	v_lshl_add_u64 v[10:11], v[2:3], 2, v[10:11]
	v_add_nc_u64_e32 v[36:37], v[10:11], v[8:9]
	v_add_nc_u64_e32 v[10:11], s[16:17], v[10:11]
	flat_load_b32 v38, v[36:37]
	s_wait_loadcnt_dscnt 0x0
	v_mad_u32 v38, v38, s33, v17
	flat_store_b32 v[12:13], v38
	flat_load_b32 v38, v[36:37] offset:64
	s_wait_loadcnt_dscnt 0x0
	v_mad_u32 v38, v38, s33, v27
	flat_store_b32 v[12:13], v38 offset:64
	flat_load_b32 v38, v[36:37] offset:128
	s_wait_loadcnt_dscnt 0x0
	v_mad_u32 v38, v38, s33, v26
	flat_store_b32 v[12:13], v38 offset:128
	flat_load_b32 v36, v[36:37] offset:192
	s_wait_loadcnt_dscnt 0x0
	s_wait_xcnt 0x1
	v_mad_u32 v38, v36, s33, v28
	s_wait_xcnt 0x0
	v_add_nc_u64_e32 v[36:37], v[10:11], v[8:9]
	v_add_nc_u64_e32 v[10:11], s[16:17], v[10:11]
	flat_store_b32 v[12:13], v38 offset:192
	flat_load_b32 v38, v[36:37]
	s_wait_loadcnt_dscnt 0x0
	v_mad_u32 v40, v38, s33, v16
	v_add_nc_u64_e32 v[38:39], v[14:15], v[8:9]
	flat_store_b32 v[38:39], v40
	flat_load_b32 v40, v[36:37] offset:64
	s_wait_loadcnt_dscnt 0x0
	v_mad_u32 v40, v40, s33, v24
	flat_store_b32 v[38:39], v40 offset:64
	flat_load_b32 v40, v[36:37] offset:128
	s_wait_loadcnt_dscnt 0x0
	v_mad_u32 v40, v40, s33, v29
	flat_store_b32 v[38:39], v40 offset:128
	flat_load_b32 v36, v[36:37] offset:192
	s_wait_loadcnt_dscnt 0x0
	s_wait_xcnt 0x1
	v_mad_u32 v40, v36, s33, v25
	s_wait_xcnt 0x0
	v_add_nc_u64_e32 v[36:37], v[10:11], v[8:9]
	v_add_nc_u64_e32 v[10:11], s[16:17], v[10:11]
	s_delay_alu instid0(VALU_DEP_1)
	v_add_nc_u64_e32 v[10:11], v[10:11], v[8:9]
	flat_store_b32 v[38:39], v40 offset:192
	flat_load_b32 v40, v[36:37]
	v_add_nc_u64_e32 v[38:39], s[20:21], v[14:15]
	s_wait_loadcnt_dscnt 0x0
	v_mad_u32 v42, v40, s33, v23
	s_delay_alu instid0(VALU_DEP_2)
	v_add_nc_u64_e32 v[40:41], v[38:39], v[8:9]
	flat_store_b32 v[40:41], v42
	flat_load_b32 v42, v[36:37] offset:64
	s_wait_loadcnt_dscnt 0x0
	v_mad_u32 v42, v42, s33, v30
	flat_store_b32 v[40:41], v42 offset:64
	flat_load_b32 v42, v[36:37] offset:128
	s_wait_loadcnt_dscnt 0x0
	v_mad_u32 v42, v42, s33, v31
	flat_store_b32 v[40:41], v42 offset:128
	flat_load_b32 v36, v[36:37] offset:192
	s_wait_loadcnt_dscnt 0x0
	s_wait_xcnt 0x0
	v_mad_u32 v36, v36, s33, v35
	flat_store_b32 v[40:41], v36 offset:192
	flat_load_b32 v40, v[10:11]
	v_add_nc_u64_e32 v[36:37], s[20:21], v[38:39]
	s_delay_alu instid0(VALU_DEP_1)
	v_add_nc_u64_e32 v[36:37], v[36:37], v[8:9]
	s_wait_loadcnt_dscnt 0x0
	v_mad_u32 v38, v40, s33, v34
	flat_store_b32 v[36:37], v38
	flat_load_b32 v38, v[10:11] offset:64
	s_wait_loadcnt_dscnt 0x0
	v_mad_u32 v38, v38, s33, v33
	flat_store_b32 v[36:37], v38 offset:64
	flat_load_b32 v38, v[10:11] offset:128
	s_wait_loadcnt_dscnt 0x0
	v_mad_u32 v38, v38, s33, v32
	flat_store_b32 v[36:37], v38 offset:128
	flat_load_b32 v10, v[10:11] offset:192
	s_wait_loadcnt_dscnt 0x0
	s_wait_xcnt 0x0
	v_mad_u32 v10, v10, s33, v22
	flat_store_b32 v[36:37], v10 offset:192
	s_cbranch_execnz .LBB201_2
	s_branch .LBB201_9
.LBB201_8:                              ;   in Loop: Header=BB201_3 Depth=1
.LBB201_9:                              ;   in Loop: Header=BB201_3 Depth=1
	s_wait_xcnt 0x0
	s_delay_alu instid0(VALU_DEP_1)
	v_add_nc_u64_e32 v[10:11], s[20:21], v[14:15]
	v_add_nc_u64_e32 v[14:15], v[14:15], v[8:9]
	s_clause 0x3
	flat_store_b32 v[12:13], v17
	flat_store_b32 v[12:13], v27 offset:64
	flat_store_b32 v[12:13], v26 offset:128
	;; [unrolled: 1-line block ×3, first 2 shown]
	v_add_nc_u64_e32 v[36:37], s[20:21], v[10:11]
	v_add_nc_u64_e32 v[10:11], v[10:11], v[8:9]
	s_wait_xcnt 0x0
	s_delay_alu instid0(VALU_DEP_2)
	v_add_nc_u64_e32 v[12:13], v[36:37], v[8:9]
	s_clause 0xb
	flat_store_b32 v[14:15], v16
	flat_store_b32 v[14:15], v24 offset:64
	flat_store_b32 v[14:15], v29 offset:128
	flat_store_b32 v[14:15], v25 offset:192
	flat_store_b32 v[10:11], v23
	flat_store_b32 v[10:11], v30 offset:64
	flat_store_b32 v[10:11], v31 offset:128
	flat_store_b32 v[10:11], v35 offset:192
	;; [unrolled: 4-line block ×3, first 2 shown]
	s_branch .LBB201_2
.LBB201_10:
	s_sendmsg sendmsg(MSG_DEALLOC_VGPRS)
	s_endpgm
	.section	.rodata,"a",@progbits
	.p2align	6, 0x0
	.amdhsa_kernel _ZN12_GLOBAL__N_127rocblas_gemm_batched_kernelIiLi16ELi16ELi64ELi64ELi4ELi64ELi4ELi4ELi64ELc67ELc84EKPKaKPKiKPiEEvlllT_PT11_llSB_llS9_PT12_llPT13_lli
		.amdhsa_group_segment_fixed_size 2048
		.amdhsa_private_segment_fixed_size 0
		.amdhsa_kernarg_size 140
		.amdhsa_user_sgpr_count 2
		.amdhsa_user_sgpr_dispatch_ptr 0
		.amdhsa_user_sgpr_queue_ptr 0
		.amdhsa_user_sgpr_kernarg_segment_ptr 1
		.amdhsa_user_sgpr_dispatch_id 0
		.amdhsa_user_sgpr_kernarg_preload_length 0
		.amdhsa_user_sgpr_kernarg_preload_offset 0
		.amdhsa_user_sgpr_private_segment_size 0
		.amdhsa_wavefront_size32 1
		.amdhsa_uses_dynamic_stack 0
		.amdhsa_enable_private_segment 0
		.amdhsa_system_sgpr_workgroup_id_x 1
		.amdhsa_system_sgpr_workgroup_id_y 1
		.amdhsa_system_sgpr_workgroup_id_z 1
		.amdhsa_system_sgpr_workgroup_info 0
		.amdhsa_system_vgpr_workitem_id 1
		.amdhsa_next_free_vgpr 70
		.amdhsa_next_free_sgpr 38
		.amdhsa_named_barrier_count 0
		.amdhsa_reserve_vcc 1
		.amdhsa_float_round_mode_32 0
		.amdhsa_float_round_mode_16_64 0
		.amdhsa_float_denorm_mode_32 3
		.amdhsa_float_denorm_mode_16_64 3
		.amdhsa_fp16_overflow 0
		.amdhsa_memory_ordered 1
		.amdhsa_forward_progress 1
		.amdhsa_inst_pref_size 21
		.amdhsa_round_robin_scheduling 0
		.amdhsa_exception_fp_ieee_invalid_op 0
		.amdhsa_exception_fp_denorm_src 0
		.amdhsa_exception_fp_ieee_div_zero 0
		.amdhsa_exception_fp_ieee_overflow 0
		.amdhsa_exception_fp_ieee_underflow 0
		.amdhsa_exception_fp_ieee_inexact 0
		.amdhsa_exception_int_div_zero 0
	.end_amdhsa_kernel
	.section	.text._ZN12_GLOBAL__N_127rocblas_gemm_batched_kernelIiLi16ELi16ELi64ELi64ELi4ELi64ELi4ELi4ELi64ELc67ELc84EKPKaKPKiKPiEEvlllT_PT11_llSB_llS9_PT12_llPT13_lli,"axG",@progbits,_ZN12_GLOBAL__N_127rocblas_gemm_batched_kernelIiLi16ELi16ELi64ELi64ELi4ELi64ELi4ELi4ELi64ELc67ELc84EKPKaKPKiKPiEEvlllT_PT11_llSB_llS9_PT12_llPT13_lli,comdat
.Lfunc_end201:
	.size	_ZN12_GLOBAL__N_127rocblas_gemm_batched_kernelIiLi16ELi16ELi64ELi64ELi4ELi64ELi4ELi4ELi64ELc67ELc84EKPKaKPKiKPiEEvlllT_PT11_llSB_llS9_PT12_llPT13_lli, .Lfunc_end201-_ZN12_GLOBAL__N_127rocblas_gemm_batched_kernelIiLi16ELi16ELi64ELi64ELi4ELi64ELi4ELi4ELi64ELc67ELc84EKPKaKPKiKPiEEvlllT_PT11_llSB_llS9_PT12_llPT13_lli
                                        ; -- End function
	.set _ZN12_GLOBAL__N_127rocblas_gemm_batched_kernelIiLi16ELi16ELi64ELi64ELi4ELi64ELi4ELi4ELi64ELc67ELc84EKPKaKPKiKPiEEvlllT_PT11_llSB_llS9_PT12_llPT13_lli.num_vgpr, 70
	.set _ZN12_GLOBAL__N_127rocblas_gemm_batched_kernelIiLi16ELi16ELi64ELi64ELi4ELi64ELi4ELi4ELi64ELc67ELc84EKPKaKPKiKPiEEvlllT_PT11_llSB_llS9_PT12_llPT13_lli.num_agpr, 0
	.set _ZN12_GLOBAL__N_127rocblas_gemm_batched_kernelIiLi16ELi16ELi64ELi64ELi4ELi64ELi4ELi4ELi64ELc67ELc84EKPKaKPKiKPiEEvlllT_PT11_llSB_llS9_PT12_llPT13_lli.numbered_sgpr, 38
	.set _ZN12_GLOBAL__N_127rocblas_gemm_batched_kernelIiLi16ELi16ELi64ELi64ELi4ELi64ELi4ELi4ELi64ELc67ELc84EKPKaKPKiKPiEEvlllT_PT11_llSB_llS9_PT12_llPT13_lli.num_named_barrier, 0
	.set _ZN12_GLOBAL__N_127rocblas_gemm_batched_kernelIiLi16ELi16ELi64ELi64ELi4ELi64ELi4ELi4ELi64ELc67ELc84EKPKaKPKiKPiEEvlllT_PT11_llSB_llS9_PT12_llPT13_lli.private_seg_size, 0
	.set _ZN12_GLOBAL__N_127rocblas_gemm_batched_kernelIiLi16ELi16ELi64ELi64ELi4ELi64ELi4ELi4ELi64ELc67ELc84EKPKaKPKiKPiEEvlllT_PT11_llSB_llS9_PT12_llPT13_lli.uses_vcc, 1
	.set _ZN12_GLOBAL__N_127rocblas_gemm_batched_kernelIiLi16ELi16ELi64ELi64ELi4ELi64ELi4ELi4ELi64ELc67ELc84EKPKaKPKiKPiEEvlllT_PT11_llSB_llS9_PT12_llPT13_lli.uses_flat_scratch, 1
	.set _ZN12_GLOBAL__N_127rocblas_gemm_batched_kernelIiLi16ELi16ELi64ELi64ELi4ELi64ELi4ELi4ELi64ELc67ELc84EKPKaKPKiKPiEEvlllT_PT11_llSB_llS9_PT12_llPT13_lli.has_dyn_sized_stack, 0
	.set _ZN12_GLOBAL__N_127rocblas_gemm_batched_kernelIiLi16ELi16ELi64ELi64ELi4ELi64ELi4ELi4ELi64ELc67ELc84EKPKaKPKiKPiEEvlllT_PT11_llSB_llS9_PT12_llPT13_lli.has_recursion, 0
	.set _ZN12_GLOBAL__N_127rocblas_gemm_batched_kernelIiLi16ELi16ELi64ELi64ELi4ELi64ELi4ELi4ELi64ELc67ELc84EKPKaKPKiKPiEEvlllT_PT11_llSB_llS9_PT12_llPT13_lli.has_indirect_call, 0
	.section	.AMDGPU.csdata,"",@progbits
; Kernel info:
; codeLenInByte = 2592
; TotalNumSgprs: 40
; NumVgprs: 70
; ScratchSize: 0
; MemoryBound: 0
; FloatMode: 240
; IeeeMode: 1
; LDSByteSize: 2048 bytes/workgroup (compile time only)
; SGPRBlocks: 0
; VGPRBlocks: 4
; NumSGPRsForWavesPerEU: 40
; NumVGPRsForWavesPerEU: 70
; NamedBarCnt: 0
; Occupancy: 12
; WaveLimiterHint : 1
; COMPUTE_PGM_RSRC2:SCRATCH_EN: 0
; COMPUTE_PGM_RSRC2:USER_SGPR: 2
; COMPUTE_PGM_RSRC2:TRAP_HANDLER: 0
; COMPUTE_PGM_RSRC2:TGID_X_EN: 1
; COMPUTE_PGM_RSRC2:TGID_Y_EN: 1
; COMPUTE_PGM_RSRC2:TGID_Z_EN: 1
; COMPUTE_PGM_RSRC2:TIDIG_COMP_CNT: 1
	.section	.text._ZN12_GLOBAL__N_127rocblas_gemm_batched_kernelIiLi16ELi16ELi64ELi64ELi4ELi64ELi4ELi4ELi64ELc78ELc67EKPKaKPKiKPiEEvlllT_PT11_llSB_llS9_PT12_llPT13_lli,"axG",@progbits,_ZN12_GLOBAL__N_127rocblas_gemm_batched_kernelIiLi16ELi16ELi64ELi64ELi4ELi64ELi4ELi4ELi64ELc78ELc67EKPKaKPKiKPiEEvlllT_PT11_llSB_llS9_PT12_llPT13_lli,comdat
	.globl	_ZN12_GLOBAL__N_127rocblas_gemm_batched_kernelIiLi16ELi16ELi64ELi64ELi4ELi64ELi4ELi4ELi64ELc78ELc67EKPKaKPKiKPiEEvlllT_PT11_llSB_llS9_PT12_llPT13_lli ; -- Begin function _ZN12_GLOBAL__N_127rocblas_gemm_batched_kernelIiLi16ELi16ELi64ELi64ELi4ELi64ELi4ELi4ELi64ELc78ELc67EKPKaKPKiKPiEEvlllT_PT11_llSB_llS9_PT12_llPT13_lli
	.p2align	8
	.type	_ZN12_GLOBAL__N_127rocblas_gemm_batched_kernelIiLi16ELi16ELi64ELi64ELi4ELi64ELi4ELi4ELi64ELc78ELc67EKPKaKPKiKPiEEvlllT_PT11_llSB_llS9_PT12_llPT13_lli,@function
_ZN12_GLOBAL__N_127rocblas_gemm_batched_kernelIiLi16ELi16ELi64ELi64ELi4ELi64ELi4ELi4ELi64ELc78ELc67EKPKaKPKiKPiEEvlllT_PT11_llSB_llS9_PT12_llPT13_lli: ; @_ZN12_GLOBAL__N_127rocblas_gemm_batched_kernelIiLi16ELi16ELi64ELi64ELi4ELi64ELi4ELi4ELi64ELc78ELc67EKPKaKPKiKPiEEvlllT_PT11_llSB_llS9_PT12_llPT13_lli
; %bb.0:
	s_load_b32 s31, s[0:1], 0x88
	s_bfe_u32 s2, ttmp6, 0x40014
	s_lshr_b32 s3, ttmp7, 16
	s_add_co_i32 s2, s2, 1
	s_bfe_u32 s4, ttmp6, 0x40008
	s_mul_i32 s2, s3, s2
	s_getreg_b32 s34, hwreg(HW_REG_IB_STS2, 6, 4)
	s_add_co_i32 s4, s4, s2
	s_cmp_eq_u32 s34, 0
	s_cselect_b32 s2, s3, s4
	s_mov_b32 s3, 0
	s_wait_kmcnt 0x0
	s_cmp_ge_i32 s2, s31
	s_cbranch_scc1 .LBB202_10
; %bb.1:
	v_bfe_u32 v4, v0, 10, 10
	s_clause 0x5
	s_load_b96 s[28:30], s[0:1], 0x10
	s_load_b256 s[4:11], s[0:1], 0x20
	s_load_b128 s[24:27], s[0:1], 0x40
	s_load_b32 s33, s[0:1], 0x50
	s_load_b128 s[20:23], s[0:1], 0x78
	s_load_b256 s[12:19], s[0:1], 0x58
	s_wait_xcnt 0x0
	s_bfe_u32 s1, ttmp6, 0x4000c
	s_bfe_u32 s35, ttmp6, 0x40010
	v_and_b32_e32 v6, 0x3ff, v0
	v_dual_mov_b32 v5, 0 :: v_dual_lshlrev_b32 v16, 4, v4
	s_add_co_i32 s1, s1, 1
	s_and_b32 s36, ttmp7, 0xffff
	s_add_co_i32 s35, s35, 1
	s_and_b32 s0, ttmp6, 15
	s_mul_i32 s1, ttmp9, s1
	s_mul_i32 s35, s36, s35
	s_bfe_u32 s37, ttmp6, 0x40004
	v_dual_add_nc_u32 v1, v16, v6 :: v_dual_mov_b32 v9, v5
	s_add_co_i32 s0, s0, s1
	s_add_co_i32 s37, s37, s35
	s_cmp_eq_u32 s34, 0
	s_delay_alu instid0(VALU_DEP_1)
	v_dual_lshrrev_b32 v8, 2, v1 :: v_dual_bitop2_b32 v10, 63, v1 bitop3:0x40
	s_cselect_b32 s1, s36, s37
	s_cselect_b32 s0, ttmp9, s0
	s_lshl_b32 s34, s1, 6
	s_mov_b32 s35, s3
	s_wait_kmcnt 0x0
	v_add_nc_u64_e32 v[12:13], s[26:27], v[8:9]
	v_add_nc_u64_e32 v[2:3], s[34:35], v[4:5]
	s_ashr_i32 s1, s0, 31
	v_dual_lshrrev_b32 v9, 6, v1 :: v_dual_bitop2_b32 v4, 3, v0 bitop3:0x40
	s_lshl_b64 s[26:27], s[0:1], 6
	v_lshlrev_b32_e32 v17, 2, v10
	s_add_nc_u64 s[0:1], s[26:27], s[8:9]
	s_delay_alu instid0(VALU_DEP_3)
	v_mul_u64_e32 v[0:1], s[14:15], v[2:3]
	v_mul_u64_e32 v[2:3], s[20:21], v[2:3]
	v_mad_nc_u64_u32 v[12:13], s24, v4, v[12:13]
	v_mad_nc_u64_u32 v[14:15], s6, v9, s[0:1]
	v_lshlrev_b32_e32 v7, 2, v4
	v_cmp_gt_i64_e64 s0, s[28:29], 0
	v_mov_b32_e32 v11, v5
	v_lshl_or_b32 v18, v9, 8, v17
	v_add_nc_u32_e32 v21, 0x400, v16
	v_lshl_or_b32 v8, v8, 4, v7
	v_dual_mov_b32 v7, v5 :: v_dual_lshlrev_b32 v20, 2, v6
	v_cndmask_b32_e64 v16, 0, 1, s0
	v_mad_u32 v13, s25, v4, v13
	v_mad_u32 v15, s7, v9, v15
	v_add_nc_u32_e32 v19, 0x400, v8
	v_add_nc_u64_e32 v[8:9], s[26:27], v[6:7]
	s_lshl_b64 s[8:9], s[6:7], 2
	s_lshl_b64 s[6:7], s[24:25], 2
	s_cmp_lg_u32 s33, 0
	v_cmp_ne_u32_e64 s0, 1, v16
	s_cselect_b32 s1, -1, 0
	s_lshl_b64 s[24:25], s[14:15], 4
	v_lshlrev_b64_e32 v[8:9], 2, v[8:9]
	v_add_nc_u64_e32 v[4:5], s[34:35], v[12:13]
	v_add_nc_u64_e32 v[6:7], v[14:15], v[10:11]
	s_lshl_b64 s[26:27], s[20:21], 4
	s_lshl_b64 s[14:15], s[22:23], 2
	;; [unrolled: 1-line block ×5, first 2 shown]
	s_branch .LBB202_3
.LBB202_2:                              ;   in Loop: Header=BB202_3 Depth=1
	s_add_co_i32 s2, s2, 0x10000
	s_delay_alu instid0(SALU_CYCLE_1)
	s_cmp_lt_i32 s2, s31
	s_cbranch_scc0 .LBB202_10
.LBB202_3:                              ; =>This Loop Header: Depth=1
                                        ;     Child Loop BB202_5 Depth 2
	s_wait_xcnt 0x6
	v_dual_mov_b32 v14, s2 :: v_dual_mov_b32 v30, 0
	v_dual_mov_b32 v24, 0 :: v_dual_mov_b32 v25, 0
	s_wait_xcnt 0x0
	v_dual_mov_b32 v23, 0 :: v_dual_mov_b32 v36, 0
	s_clause 0x1
	global_load_b64 v[10:11], v14, s[12:13] scale_offset
	global_load_b64 v[12:13], v14, s[18:19] scale_offset
	v_dual_mov_b32 v34, 0 :: v_dual_mov_b32 v28, 0
	v_dual_mov_b32 v27, 0 :: v_dual_mov_b32 v26, 0
	;; [unrolled: 1-line block ×5, first 2 shown]
	v_mov_b32_e32 v22, 0
	s_and_b32 vcc_lo, exec_lo, s0
	s_cbranch_vccnz .LBB202_6
; %bb.4:                                ;   in Loop: Header=BB202_3 Depth=1
	v_dual_mov_b32 v22, 0 :: v_dual_mov_b32 v32, 0
	s_lshl_b64 s[24:25], s[2:3], 3
	v_dual_mov_b32 v33, 0 :: v_dual_mov_b32 v35, 0
	s_add_nc_u64 s[26:27], s[10:11], s[24:25]
	s_add_nc_u64 s[24:25], s[4:5], s[24:25]
	s_clause 0x1
	global_load_b64 v[14:15], v22, s[26:27]
	global_load_b64 v[16:17], v22, s[24:25]
	v_dual_mov_b32 v37, 0 :: v_dual_mov_b32 v29, 0
	v_dual_mov_b32 v31, 0 :: v_dual_mov_b32 v26, 0
	;; [unrolled: 1-line block ×6, first 2 shown]
	s_wait_xcnt 0x0
	s_mov_b64 s[24:25], 0
	s_wait_loadcnt 0x1
	v_add_nc_u64_e32 v[14:15], v[14:15], v[4:5]
	s_wait_loadcnt 0x0
	v_add_nc_u64_e32 v[16:17], v[16:17], v[6:7]
.LBB202_5:                              ;   Parent Loop BB202_3 Depth=1
                                        ; =>  This Inner Loop Header: Depth=2
	flat_load_i8 v38, v[16:17]
	s_add_nc_u64 s[24:25], s[24:25], 4
	s_wait_xcnt 0x0
	v_add_nc_u64_e32 v[16:17], s[8:9], v[16:17]
	v_cmp_lt_i64_e64 s26, s[24:25], s[28:29]
	s_and_b32 vcc_lo, exec_lo, s26
	s_wait_loadcnt_dscnt 0x0
	ds_store_b32 v18, v38
	flat_load_i8 v38, v[14:15]
	s_wait_xcnt 0x0
	v_add_nc_u64_e32 v[14:15], s[6:7], v[14:15]
	s_wait_loadcnt_dscnt 0x0
	ds_store_b32 v19, v38
	s_wait_dscnt 0x0
	s_barrier_signal -1
	s_barrier_wait -1
	ds_load_2addr_b32 v[54:55], v20 offset1:16
	ds_load_b128 v[38:41], v21 offset:512
	ds_load_2addr_b32 v[56:57], v20 offset0:32 offset1:48
	ds_load_b128 v[42:45], v21 offset:768
	ds_load_b128 v[46:49], v21 offset:256
	ds_load_b128 v[50:53], v21
	ds_load_2addr_b32 v[58:59], v20 offset0:64 offset1:80
	ds_load_2addr_b32 v[60:61], v20 offset0:96 offset1:112
	;; [unrolled: 1-line block ×6, first 2 shown]
	s_wait_dscnt 0x0
	s_barrier_signal -1
	s_barrier_wait -1
	v_mad_u32 v37, v38, v55, v37
	v_mad_u32 v35, v38, v56, v35
	;; [unrolled: 1-line block ×64, first 2 shown]
	s_cbranch_vccnz .LBB202_5
.LBB202_6:                              ;   in Loop: Header=BB202_3 Depth=1
	s_wait_loadcnt 0x0
	v_add_nc_u64_e32 v[12:13], s[14:15], v[12:13]
	v_mul_lo_u32 v17, v28, s30
	v_mul_lo_u32 v27, v27, s30
	;; [unrolled: 1-line block ×6, first 2 shown]
	s_wait_xcnt 0x0
	v_lshl_add_u64 v[14:15], v[2:3], 2, v[12:13]
	v_mul_lo_u32 v29, v29, s30
	v_mul_lo_u32 v25, v25, s30
	;; [unrolled: 1-line block ×10, first 2 shown]
	v_add_nc_u64_e32 v[12:13], v[14:15], v[8:9]
	v_add_nc_u64_e32 v[14:15], s[22:23], v[14:15]
	s_and_not1_b32 vcc_lo, exec_lo, s1
	s_cbranch_vccnz .LBB202_8
; %bb.7:                                ;   in Loop: Header=BB202_3 Depth=1
	v_add_nc_u64_e32 v[10:11], s[16:17], v[10:11]
	s_delay_alu instid0(VALU_DEP_1) | instskip(NEXT) | instid1(VALU_DEP_1)
	v_lshl_add_u64 v[10:11], v[0:1], 2, v[10:11]
	v_add_nc_u64_e32 v[36:37], v[10:11], v[8:9]
	v_add_nc_u64_e32 v[10:11], s[20:21], v[10:11]
	flat_load_b32 v38, v[36:37]
	s_wait_loadcnt_dscnt 0x0
	v_mad_u32 v38, v38, s33, v17
	flat_store_b32 v[12:13], v38
	flat_load_b32 v38, v[36:37] offset:64
	s_wait_loadcnt_dscnt 0x0
	v_mad_u32 v38, v38, s33, v27
	flat_store_b32 v[12:13], v38 offset:64
	flat_load_b32 v38, v[36:37] offset:128
	s_wait_loadcnt_dscnt 0x0
	v_mad_u32 v38, v38, s33, v26
	flat_store_b32 v[12:13], v38 offset:128
	flat_load_b32 v36, v[36:37] offset:192
	s_wait_loadcnt_dscnt 0x0
	s_wait_xcnt 0x1
	v_mad_u32 v38, v36, s33, v28
	s_wait_xcnt 0x0
	v_add_nc_u64_e32 v[36:37], v[10:11], v[8:9]
	v_add_nc_u64_e32 v[10:11], s[20:21], v[10:11]
	flat_store_b32 v[12:13], v38 offset:192
	flat_load_b32 v38, v[36:37]
	s_wait_loadcnt_dscnt 0x0
	v_mad_u32 v40, v38, s33, v16
	v_add_nc_u64_e32 v[38:39], v[14:15], v[8:9]
	flat_store_b32 v[38:39], v40
	flat_load_b32 v40, v[36:37] offset:64
	s_wait_loadcnt_dscnt 0x0
	v_mad_u32 v40, v40, s33, v24
	flat_store_b32 v[38:39], v40 offset:64
	flat_load_b32 v40, v[36:37] offset:128
	s_wait_loadcnt_dscnt 0x0
	v_mad_u32 v40, v40, s33, v29
	flat_store_b32 v[38:39], v40 offset:128
	flat_load_b32 v36, v[36:37] offset:192
	s_wait_loadcnt_dscnt 0x0
	s_wait_xcnt 0x1
	v_mad_u32 v40, v36, s33, v25
	s_wait_xcnt 0x0
	v_add_nc_u64_e32 v[36:37], v[10:11], v[8:9]
	v_add_nc_u64_e32 v[10:11], s[20:21], v[10:11]
	s_delay_alu instid0(VALU_DEP_1)
	v_add_nc_u64_e32 v[10:11], v[10:11], v[8:9]
	flat_store_b32 v[38:39], v40 offset:192
	flat_load_b32 v40, v[36:37]
	v_add_nc_u64_e32 v[38:39], s[22:23], v[14:15]
	s_wait_loadcnt_dscnt 0x0
	v_mad_u32 v42, v40, s33, v23
	s_delay_alu instid0(VALU_DEP_2)
	v_add_nc_u64_e32 v[40:41], v[38:39], v[8:9]
	flat_store_b32 v[40:41], v42
	flat_load_b32 v42, v[36:37] offset:64
	s_wait_loadcnt_dscnt 0x0
	v_mad_u32 v42, v42, s33, v30
	flat_store_b32 v[40:41], v42 offset:64
	flat_load_b32 v42, v[36:37] offset:128
	s_wait_loadcnt_dscnt 0x0
	v_mad_u32 v42, v42, s33, v31
	flat_store_b32 v[40:41], v42 offset:128
	flat_load_b32 v36, v[36:37] offset:192
	s_wait_loadcnt_dscnt 0x0
	s_wait_xcnt 0x0
	v_mad_u32 v36, v36, s33, v35
	flat_store_b32 v[40:41], v36 offset:192
	flat_load_b32 v40, v[10:11]
	v_add_nc_u64_e32 v[36:37], s[22:23], v[38:39]
	s_delay_alu instid0(VALU_DEP_1)
	v_add_nc_u64_e32 v[36:37], v[36:37], v[8:9]
	s_wait_loadcnt_dscnt 0x0
	v_mad_u32 v38, v40, s33, v34
	flat_store_b32 v[36:37], v38
	flat_load_b32 v38, v[10:11] offset:64
	s_wait_loadcnt_dscnt 0x0
	v_mad_u32 v38, v38, s33, v33
	flat_store_b32 v[36:37], v38 offset:64
	flat_load_b32 v38, v[10:11] offset:128
	s_wait_loadcnt_dscnt 0x0
	v_mad_u32 v38, v38, s33, v32
	flat_store_b32 v[36:37], v38 offset:128
	flat_load_b32 v10, v[10:11] offset:192
	s_wait_loadcnt_dscnt 0x0
	s_wait_xcnt 0x0
	v_mad_u32 v10, v10, s33, v22
	flat_store_b32 v[36:37], v10 offset:192
	s_cbranch_execnz .LBB202_2
	s_branch .LBB202_9
.LBB202_8:                              ;   in Loop: Header=BB202_3 Depth=1
.LBB202_9:                              ;   in Loop: Header=BB202_3 Depth=1
	s_wait_xcnt 0x0
	s_delay_alu instid0(VALU_DEP_1)
	v_add_nc_u64_e32 v[10:11], s[22:23], v[14:15]
	v_add_nc_u64_e32 v[14:15], v[14:15], v[8:9]
	s_clause 0x3
	flat_store_b32 v[12:13], v17
	flat_store_b32 v[12:13], v27 offset:64
	flat_store_b32 v[12:13], v26 offset:128
	;; [unrolled: 1-line block ×3, first 2 shown]
	v_add_nc_u64_e32 v[36:37], s[22:23], v[10:11]
	v_add_nc_u64_e32 v[10:11], v[10:11], v[8:9]
	s_wait_xcnt 0x0
	s_delay_alu instid0(VALU_DEP_2)
	v_add_nc_u64_e32 v[12:13], v[36:37], v[8:9]
	s_clause 0xb
	flat_store_b32 v[14:15], v16
	flat_store_b32 v[14:15], v24 offset:64
	flat_store_b32 v[14:15], v29 offset:128
	flat_store_b32 v[14:15], v25 offset:192
	flat_store_b32 v[10:11], v23
	flat_store_b32 v[10:11], v30 offset:64
	flat_store_b32 v[10:11], v31 offset:128
	flat_store_b32 v[10:11], v35 offset:192
	;; [unrolled: 4-line block ×3, first 2 shown]
	s_branch .LBB202_2
.LBB202_10:
	s_sendmsg sendmsg(MSG_DEALLOC_VGPRS)
	s_endpgm
	.section	.rodata,"a",@progbits
	.p2align	6, 0x0
	.amdhsa_kernel _ZN12_GLOBAL__N_127rocblas_gemm_batched_kernelIiLi16ELi16ELi64ELi64ELi4ELi64ELi4ELi4ELi64ELc78ELc67EKPKaKPKiKPiEEvlllT_PT11_llSB_llS9_PT12_llPT13_lli
		.amdhsa_group_segment_fixed_size 2048
		.amdhsa_private_segment_fixed_size 0
		.amdhsa_kernarg_size 140
		.amdhsa_user_sgpr_count 2
		.amdhsa_user_sgpr_dispatch_ptr 0
		.amdhsa_user_sgpr_queue_ptr 0
		.amdhsa_user_sgpr_kernarg_segment_ptr 1
		.amdhsa_user_sgpr_dispatch_id 0
		.amdhsa_user_sgpr_kernarg_preload_length 0
		.amdhsa_user_sgpr_kernarg_preload_offset 0
		.amdhsa_user_sgpr_private_segment_size 0
		.amdhsa_wavefront_size32 1
		.amdhsa_uses_dynamic_stack 0
		.amdhsa_enable_private_segment 0
		.amdhsa_system_sgpr_workgroup_id_x 1
		.amdhsa_system_sgpr_workgroup_id_y 1
		.amdhsa_system_sgpr_workgroup_id_z 1
		.amdhsa_system_sgpr_workgroup_info 0
		.amdhsa_system_vgpr_workitem_id 1
		.amdhsa_next_free_vgpr 70
		.amdhsa_next_free_sgpr 38
		.amdhsa_named_barrier_count 0
		.amdhsa_reserve_vcc 1
		.amdhsa_float_round_mode_32 0
		.amdhsa_float_round_mode_16_64 0
		.amdhsa_float_denorm_mode_32 3
		.amdhsa_float_denorm_mode_16_64 3
		.amdhsa_fp16_overflow 0
		.amdhsa_memory_ordered 1
		.amdhsa_forward_progress 1
		.amdhsa_inst_pref_size 21
		.amdhsa_round_robin_scheduling 0
		.amdhsa_exception_fp_ieee_invalid_op 0
		.amdhsa_exception_fp_denorm_src 0
		.amdhsa_exception_fp_ieee_div_zero 0
		.amdhsa_exception_fp_ieee_overflow 0
		.amdhsa_exception_fp_ieee_underflow 0
		.amdhsa_exception_fp_ieee_inexact 0
		.amdhsa_exception_int_div_zero 0
	.end_amdhsa_kernel
	.section	.text._ZN12_GLOBAL__N_127rocblas_gemm_batched_kernelIiLi16ELi16ELi64ELi64ELi4ELi64ELi4ELi4ELi64ELc78ELc67EKPKaKPKiKPiEEvlllT_PT11_llSB_llS9_PT12_llPT13_lli,"axG",@progbits,_ZN12_GLOBAL__N_127rocblas_gemm_batched_kernelIiLi16ELi16ELi64ELi64ELi4ELi64ELi4ELi4ELi64ELc78ELc67EKPKaKPKiKPiEEvlllT_PT11_llSB_llS9_PT12_llPT13_lli,comdat
.Lfunc_end202:
	.size	_ZN12_GLOBAL__N_127rocblas_gemm_batched_kernelIiLi16ELi16ELi64ELi64ELi4ELi64ELi4ELi4ELi64ELc78ELc67EKPKaKPKiKPiEEvlllT_PT11_llSB_llS9_PT12_llPT13_lli, .Lfunc_end202-_ZN12_GLOBAL__N_127rocblas_gemm_batched_kernelIiLi16ELi16ELi64ELi64ELi4ELi64ELi4ELi4ELi64ELc78ELc67EKPKaKPKiKPiEEvlllT_PT11_llSB_llS9_PT12_llPT13_lli
                                        ; -- End function
	.set _ZN12_GLOBAL__N_127rocblas_gemm_batched_kernelIiLi16ELi16ELi64ELi64ELi4ELi64ELi4ELi4ELi64ELc78ELc67EKPKaKPKiKPiEEvlllT_PT11_llSB_llS9_PT12_llPT13_lli.num_vgpr, 70
	.set _ZN12_GLOBAL__N_127rocblas_gemm_batched_kernelIiLi16ELi16ELi64ELi64ELi4ELi64ELi4ELi4ELi64ELc78ELc67EKPKaKPKiKPiEEvlllT_PT11_llSB_llS9_PT12_llPT13_lli.num_agpr, 0
	.set _ZN12_GLOBAL__N_127rocblas_gemm_batched_kernelIiLi16ELi16ELi64ELi64ELi4ELi64ELi4ELi4ELi64ELc78ELc67EKPKaKPKiKPiEEvlllT_PT11_llSB_llS9_PT12_llPT13_lli.numbered_sgpr, 38
	.set _ZN12_GLOBAL__N_127rocblas_gemm_batched_kernelIiLi16ELi16ELi64ELi64ELi4ELi64ELi4ELi4ELi64ELc78ELc67EKPKaKPKiKPiEEvlllT_PT11_llSB_llS9_PT12_llPT13_lli.num_named_barrier, 0
	.set _ZN12_GLOBAL__N_127rocblas_gemm_batched_kernelIiLi16ELi16ELi64ELi64ELi4ELi64ELi4ELi4ELi64ELc78ELc67EKPKaKPKiKPiEEvlllT_PT11_llSB_llS9_PT12_llPT13_lli.private_seg_size, 0
	.set _ZN12_GLOBAL__N_127rocblas_gemm_batched_kernelIiLi16ELi16ELi64ELi64ELi4ELi64ELi4ELi4ELi64ELc78ELc67EKPKaKPKiKPiEEvlllT_PT11_llSB_llS9_PT12_llPT13_lli.uses_vcc, 1
	.set _ZN12_GLOBAL__N_127rocblas_gemm_batched_kernelIiLi16ELi16ELi64ELi64ELi4ELi64ELi4ELi4ELi64ELc78ELc67EKPKaKPKiKPiEEvlllT_PT11_llSB_llS9_PT12_llPT13_lli.uses_flat_scratch, 1
	.set _ZN12_GLOBAL__N_127rocblas_gemm_batched_kernelIiLi16ELi16ELi64ELi64ELi4ELi64ELi4ELi4ELi64ELc78ELc67EKPKaKPKiKPiEEvlllT_PT11_llSB_llS9_PT12_llPT13_lli.has_dyn_sized_stack, 0
	.set _ZN12_GLOBAL__N_127rocblas_gemm_batched_kernelIiLi16ELi16ELi64ELi64ELi4ELi64ELi4ELi4ELi64ELc78ELc67EKPKaKPKiKPiEEvlllT_PT11_llSB_llS9_PT12_llPT13_lli.has_recursion, 0
	.set _ZN12_GLOBAL__N_127rocblas_gemm_batched_kernelIiLi16ELi16ELi64ELi64ELi4ELi64ELi4ELi4ELi64ELc78ELc67EKPKaKPKiKPiEEvlllT_PT11_llSB_llS9_PT12_llPT13_lli.has_indirect_call, 0
	.section	.AMDGPU.csdata,"",@progbits
; Kernel info:
; codeLenInByte = 2584
; TotalNumSgprs: 40
; NumVgprs: 70
; ScratchSize: 0
; MemoryBound: 0
; FloatMode: 240
; IeeeMode: 1
; LDSByteSize: 2048 bytes/workgroup (compile time only)
; SGPRBlocks: 0
; VGPRBlocks: 4
; NumSGPRsForWavesPerEU: 40
; NumVGPRsForWavesPerEU: 70
; NamedBarCnt: 0
; Occupancy: 12
; WaveLimiterHint : 1
; COMPUTE_PGM_RSRC2:SCRATCH_EN: 0
; COMPUTE_PGM_RSRC2:USER_SGPR: 2
; COMPUTE_PGM_RSRC2:TRAP_HANDLER: 0
; COMPUTE_PGM_RSRC2:TGID_X_EN: 1
; COMPUTE_PGM_RSRC2:TGID_Y_EN: 1
; COMPUTE_PGM_RSRC2:TGID_Z_EN: 1
; COMPUTE_PGM_RSRC2:TIDIG_COMP_CNT: 1
	.section	.text._ZN12_GLOBAL__N_127rocblas_gemm_batched_kernelIiLi16ELi16ELi64ELi64ELi4ELi64ELi4ELi4ELi64ELc84ELc67EKPKaKPKiKPiEEvlllT_PT11_llSB_llS9_PT12_llPT13_lli,"axG",@progbits,_ZN12_GLOBAL__N_127rocblas_gemm_batched_kernelIiLi16ELi16ELi64ELi64ELi4ELi64ELi4ELi4ELi64ELc84ELc67EKPKaKPKiKPiEEvlllT_PT11_llSB_llS9_PT12_llPT13_lli,comdat
	.globl	_ZN12_GLOBAL__N_127rocblas_gemm_batched_kernelIiLi16ELi16ELi64ELi64ELi4ELi64ELi4ELi4ELi64ELc84ELc67EKPKaKPKiKPiEEvlllT_PT11_llSB_llS9_PT12_llPT13_lli ; -- Begin function _ZN12_GLOBAL__N_127rocblas_gemm_batched_kernelIiLi16ELi16ELi64ELi64ELi4ELi64ELi4ELi4ELi64ELc84ELc67EKPKaKPKiKPiEEvlllT_PT11_llSB_llS9_PT12_llPT13_lli
	.p2align	8
	.type	_ZN12_GLOBAL__N_127rocblas_gemm_batched_kernelIiLi16ELi16ELi64ELi64ELi4ELi64ELi4ELi4ELi64ELc84ELc67EKPKaKPKiKPiEEvlllT_PT11_llSB_llS9_PT12_llPT13_lli,@function
_ZN12_GLOBAL__N_127rocblas_gemm_batched_kernelIiLi16ELi16ELi64ELi64ELi4ELi64ELi4ELi4ELi64ELc84ELc67EKPKaKPKiKPiEEvlllT_PT11_llSB_llS9_PT12_llPT13_lli: ; @_ZN12_GLOBAL__N_127rocblas_gemm_batched_kernelIiLi16ELi16ELi64ELi64ELi4ELi64ELi4ELi4ELi64ELc84ELc67EKPKaKPKiKPiEEvlllT_PT11_llSB_llS9_PT12_llPT13_lli
; %bb.0:
	s_load_b32 s31, s[0:1], 0x88
	s_bfe_u32 s2, ttmp6, 0x40014
	s_lshr_b32 s3, ttmp7, 16
	s_add_co_i32 s2, s2, 1
	s_bfe_u32 s4, ttmp6, 0x40008
	s_mul_i32 s2, s3, s2
	s_getreg_b32 s28, hwreg(HW_REG_IB_STS2, 6, 4)
	s_add_co_i32 s4, s4, s2
	s_cmp_eq_u32 s28, 0
	s_cselect_b32 s2, s3, s4
	s_mov_b32 s3, 0
	s_wait_kmcnt 0x0
	s_cmp_ge_i32 s2, s31
	s_cbranch_scc1 .LBB203_10
; %bb.1:
	v_bfe_u32 v6, v0, 10, 10
	s_clause 0x1
	s_load_b256 s[4:11], s[0:1], 0x20
	s_load_b128 s[24:27], s[0:1], 0x40
	v_and_b32_e32 v8, 0x3ff, v0
	s_bfe_u32 s30, ttmp6, 0x4000c
	s_bfe_u32 s33, ttmp6, 0x40010
	v_dual_mov_b32 v7, 0 :: v_dual_lshlrev_b32 v16, 4, v6
	s_clause 0x1
	s_load_b128 s[20:23], s[0:1], 0x78
	s_load_b256 s[12:19], s[0:1], 0x58
	s_add_co_i32 s30, s30, 1
	s_and_b32 s34, ttmp7, 0xffff
	s_add_co_i32 s33, s33, 1
	v_dual_add_nc_u32 v1, v16, v8 :: v_dual_mov_b32 v11, v7
	s_and_b32 s29, ttmp6, 15
	s_mul_i32 s30, ttmp9, s30
	s_mul_i32 s33, s34, s33
	s_bfe_u32 s35, ttmp6, 0x40004
	s_add_co_i32 s29, s29, s30
	s_add_co_i32 s35, s35, s33
	s_cmp_eq_u32 s28, 0
	v_dual_lshrrev_b32 v10, 6, v1 :: v_dual_bitop2_b32 v9, 63, v1 bitop3:0x40
	s_cselect_b32 s28, ttmp9, s29
	s_cselect_b32 s30, s34, s35
	s_ashr_i32 s29, s28, 31
	v_dual_mov_b32 v13, v7 :: v_dual_lshrrev_b32 v12, 2, v1
	s_lshl_b32 s36, s30, 6
	s_mov_b32 s37, s3
	s_lshl_b64 s[34:35], s[28:29], 6
	s_wait_kmcnt 0x0
	v_add_nc_u64_e32 v[2:3], s[8:9], v[10:11]
	v_add_nc_u64_e32 v[4:5], s[36:37], v[6:7]
	v_dual_lshlrev_b32 v17, 2, v9 :: v_dual_bitop2_b32 v11, 3, v0 bitop3:0x40
	v_or_b32_e32 v6, s34, v9
	s_clause 0x1
	s_load_b32 s33, s[0:1], 0x50
	s_load_b96 s[28:30], s[0:1], 0x10
	v_add_nc_u64_e32 v[14:15], s[26:27], v[12:13]
	v_lshlrev_b32_e32 v13, 2, v11
	v_mad_nc_u64_u32 v[0:1], s6, v6, v[2:3]
	v_mul_u64_e32 v[2:3], s[14:15], v[4:5]
	v_mul_u64_e32 v[4:5], s[20:21], v[4:5]
	v_dual_mov_b32 v9, v7 :: v_dual_lshlrev_b32 v20, 2, v8
	v_mad_nc_u64_u32 v[14:15], s24, v11, v[14:15]
	v_lshl_or_b32 v12, v12, 4, v13
	v_lshl_or_b32 v18, v10, 8, v17
	s_delay_alu instid0(VALU_DEP_4) | instskip(SKIP_4) | instid1(VALU_DEP_4)
	v_add_nc_u64_e32 v[8:9], s[34:35], v[8:9]
	s_lshl_b64 s[8:9], s[24:25], 2
	v_add_nc_u32_e32 v21, 0x400, v16
	v_mad_u32 v1, s7, v6, v1
	v_add_nc_u32_e32 v19, 0x400, v12
	v_lshlrev_b64_e32 v[8:9], 2, v[8:9]
	v_mad_u32 v15, s25, v11, v15
	s_wait_kmcnt 0x0
	v_cmp_gt_i64_e64 s0, s[28:29], 0
	s_cmp_lg_u32 s33, 0
	s_cselect_b32 s1, -1, 0
	s_lshl_b64 s[24:25], s[14:15], 4
	v_mad_u32 v1, s6, s35, v1
	s_lshl_b64 s[20:21], s[20:21], 4
	v_cndmask_b32_e64 v10, 0, 1, s0
	s_lshl_b64 s[6:7], s[22:23], 2
	s_lshl_b64 s[14:15], s[16:17], 2
	v_add_nc_u64_e32 v[6:7], s[36:37], v[14:15]
	s_lshl_b64 s[16:17], s[24:25], 2
	v_cmp_ne_u32_e64 s0, 1, v10
	s_lshl_b64 s[20:21], s[20:21], 2
	s_branch .LBB203_3
.LBB203_2:                              ;   in Loop: Header=BB203_3 Depth=1
	s_add_co_i32 s2, s2, 0x10000
	s_delay_alu instid0(SALU_CYCLE_1)
	s_cmp_lt_i32 s2, s31
	s_cbranch_scc0 .LBB203_10
.LBB203_3:                              ; =>This Loop Header: Depth=1
                                        ;     Child Loop BB203_5 Depth 2
	s_wait_xcnt 0x6
	v_dual_mov_b32 v14, s2 :: v_dual_mov_b32 v30, 0
	v_dual_mov_b32 v24, 0 :: v_dual_mov_b32 v25, 0
	s_wait_xcnt 0x0
	v_dual_mov_b32 v23, 0 :: v_dual_mov_b32 v36, 0
	s_clause 0x1
	global_load_b64 v[10:11], v14, s[12:13] scale_offset
	global_load_b64 v[12:13], v14, s[18:19] scale_offset
	v_dual_mov_b32 v34, 0 :: v_dual_mov_b32 v28, 0
	v_dual_mov_b32 v27, 0 :: v_dual_mov_b32 v26, 0
	v_dual_mov_b32 v31, 0 :: v_dual_mov_b32 v29, 0
	v_dual_mov_b32 v37, 0 :: v_dual_mov_b32 v35, 0
	v_dual_mov_b32 v33, 0 :: v_dual_mov_b32 v32, 0
	v_mov_b32_e32 v22, 0
	s_and_b32 vcc_lo, exec_lo, s0
	s_cbranch_vccnz .LBB203_6
; %bb.4:                                ;   in Loop: Header=BB203_3 Depth=1
	v_dual_mov_b32 v22, 0 :: v_dual_mov_b32 v32, 0
	s_lshl_b64 s[22:23], s[2:3], 3
	v_dual_mov_b32 v33, 0 :: v_dual_mov_b32 v35, 0
	s_add_nc_u64 s[24:25], s[10:11], s[22:23]
	s_add_nc_u64 s[22:23], s[4:5], s[22:23]
	s_clause 0x1
	global_load_b64 v[14:15], v22, s[24:25]
	global_load_b64 v[16:17], v22, s[22:23]
	v_dual_mov_b32 v37, 0 :: v_dual_mov_b32 v29, 0
	v_dual_mov_b32 v31, 0 :: v_dual_mov_b32 v26, 0
	;; [unrolled: 1-line block ×6, first 2 shown]
	s_wait_xcnt 0x0
	s_mov_b64 s[22:23], 0
	s_wait_loadcnt 0x1
	v_add_nc_u64_e32 v[14:15], v[14:15], v[6:7]
	s_wait_loadcnt 0x0
	v_add_nc_u64_e32 v[16:17], v[16:17], v[0:1]
.LBB203_5:                              ;   Parent Loop BB203_3 Depth=1
                                        ; =>  This Inner Loop Header: Depth=2
	s_delay_alu instid0(VALU_DEP_1) | instskip(SKIP_1) | instid1(SALU_CYCLE_1)
	v_add_nc_u64_e32 v[38:39], s[22:23], v[16:17]
	s_add_nc_u64 s[22:23], s[22:23], 4
	v_cmp_lt_i64_e64 s24, s[22:23], s[28:29]
	flat_load_i8 v38, v[38:39]
	s_and_b32 vcc_lo, exec_lo, s24
	s_wait_loadcnt_dscnt 0x0
	ds_store_b32 v18, v38
	flat_load_i8 v38, v[14:15]
	s_wait_xcnt 0x0
	v_add_nc_u64_e32 v[14:15], s[8:9], v[14:15]
	s_wait_loadcnt_dscnt 0x0
	ds_store_b32 v19, v38
	s_wait_dscnt 0x0
	s_barrier_signal -1
	s_barrier_wait -1
	ds_load_2addr_b32 v[54:55], v20 offset1:16
	ds_load_b128 v[38:41], v21 offset:512
	ds_load_2addr_b32 v[56:57], v20 offset0:32 offset1:48
	ds_load_b128 v[42:45], v21 offset:768
	ds_load_b128 v[46:49], v21 offset:256
	ds_load_b128 v[50:53], v21
	ds_load_2addr_b32 v[58:59], v20 offset0:64 offset1:80
	ds_load_2addr_b32 v[60:61], v20 offset0:96 offset1:112
	;; [unrolled: 1-line block ×6, first 2 shown]
	s_wait_dscnt 0x0
	s_barrier_signal -1
	s_barrier_wait -1
	v_mad_u32 v37, v38, v55, v37
	v_mad_u32 v35, v38, v56, v35
	v_mad_u32 v36, v38, v57, v36
	v_mad_u32 v34, v42, v54, v34
	v_mad_u32 v33, v42, v55, v33
	v_mad_u32 v32, v42, v56, v32
	v_mad_u32 v22, v42, v57, v22
	v_mad_u32 v31, v46, v55, v31
	v_mad_u32 v29, v46, v56, v29
	v_mad_u32 v28, v50, v54, v28
	v_mad_u32 v27, v50, v55, v27
	v_mad_u32 v26, v50, v56, v26
	v_mad_u32 v30, v50, v57, v30
	v_mad_u32 v24, v46, v54, v24
	v_mad_u32 v25, v46, v57, v25
	v_mad_u32 v23, v38, v54, v23
	v_mad_u32 v37, v39, v59, v37
	v_mad_u32 v35, v39, v60, v35
	v_mad_u32 v34, v43, v58, v34
	v_mad_u32 v36, v39, v61, v36
	v_mad_u32 v33, v43, v59, v33
	v_mad_u32 v32, v43, v60, v32
	v_mad_u32 v22, v43, v61, v22
	v_mad_u32 v31, v47, v59, v31
	v_mad_u32 v29, v47, v60, v29
	v_mad_u32 v28, v51, v58, v28
	v_mad_u32 v27, v51, v59, v27
	v_mad_u32 v26, v51, v60, v26
	v_mad_u32 v24, v47, v58, v24
	v_mad_u32 v30, v51, v61, v30
	v_mad_u32 v23, v39, v58, v23
	v_mad_u32 v25, v47, v61, v25
	v_mad_u32 v37, v40, v63, v37
	v_mad_u32 v35, v40, v64, v35
	v_mad_u32 v36, v40, v65, v36
	v_mad_u32 v34, v44, v62, v34
	v_mad_u32 v33, v44, v63, v33
	v_mad_u32 v28, v52, v62, v28
	v_mad_u32 v27, v52, v63, v27
	v_mad_u32 v26, v52, v64, v26
	v_mad_u32 v24, v48, v62, v24
	v_mad_u32 v30, v52, v65, v30
	v_mad_u32 v31, v48, v63, v31
	v_mad_u32 v29, v48, v64, v29
	v_mad_u32 v23, v40, v62, v23
	v_mad_u32 v25, v48, v65, v25
	v_mad_u32 v32, v44, v64, v32
	v_mad_u32 v22, v44, v65, v22
	v_mad_u32 v28, v53, v66, v28
	v_mad_u32 v27, v53, v67, v27
	v_mad_u32 v26, v53, v68, v26
	v_mad_u32 v24, v49, v66, v24
	v_mad_u32 v30, v53, v69, v30
	v_mad_u32 v31, v49, v67, v31
	v_mad_u32 v29, v49, v68, v29
	v_mad_u32 v23, v41, v66, v23
	v_mad_u32 v25, v49, v69, v25
	v_mad_u32 v37, v41, v67, v37
	v_mad_u32 v35, v41, v68, v35
	v_mad_u32 v34, v45, v66, v34
	v_mad_u32 v36, v41, v69, v36
	v_mad_u32 v33, v45, v67, v33
	v_mad_u32 v32, v45, v68, v32
	v_mad_u32 v22, v45, v69, v22
	s_cbranch_vccnz .LBB203_5
.LBB203_6:                              ;   in Loop: Header=BB203_3 Depth=1
	s_wait_loadcnt 0x0
	v_add_nc_u64_e32 v[12:13], s[6:7], v[12:13]
	v_mul_lo_u32 v17, v28, s30
	v_mul_lo_u32 v27, v27, s30
	;; [unrolled: 1-line block ×6, first 2 shown]
	s_wait_xcnt 0x0
	v_lshl_add_u64 v[14:15], v[4:5], 2, v[12:13]
	v_mul_lo_u32 v29, v29, s30
	v_mul_lo_u32 v25, v25, s30
	;; [unrolled: 1-line block ×10, first 2 shown]
	v_add_nc_u64_e32 v[12:13], v[14:15], v[8:9]
	v_add_nc_u64_e32 v[14:15], s[20:21], v[14:15]
	s_and_not1_b32 vcc_lo, exec_lo, s1
	s_cbranch_vccnz .LBB203_8
; %bb.7:                                ;   in Loop: Header=BB203_3 Depth=1
	v_add_nc_u64_e32 v[10:11], s[14:15], v[10:11]
	s_delay_alu instid0(VALU_DEP_1) | instskip(NEXT) | instid1(VALU_DEP_1)
	v_lshl_add_u64 v[10:11], v[2:3], 2, v[10:11]
	v_add_nc_u64_e32 v[36:37], v[10:11], v[8:9]
	v_add_nc_u64_e32 v[10:11], s[16:17], v[10:11]
	flat_load_b32 v38, v[36:37]
	s_wait_loadcnt_dscnt 0x0
	v_mad_u32 v38, v38, s33, v17
	flat_store_b32 v[12:13], v38
	flat_load_b32 v38, v[36:37] offset:64
	s_wait_loadcnt_dscnt 0x0
	v_mad_u32 v38, v38, s33, v27
	flat_store_b32 v[12:13], v38 offset:64
	flat_load_b32 v38, v[36:37] offset:128
	s_wait_loadcnt_dscnt 0x0
	v_mad_u32 v38, v38, s33, v26
	flat_store_b32 v[12:13], v38 offset:128
	flat_load_b32 v36, v[36:37] offset:192
	s_wait_loadcnt_dscnt 0x0
	s_wait_xcnt 0x1
	v_mad_u32 v38, v36, s33, v28
	s_wait_xcnt 0x0
	v_add_nc_u64_e32 v[36:37], v[10:11], v[8:9]
	v_add_nc_u64_e32 v[10:11], s[16:17], v[10:11]
	flat_store_b32 v[12:13], v38 offset:192
	flat_load_b32 v38, v[36:37]
	s_wait_loadcnt_dscnt 0x0
	v_mad_u32 v40, v38, s33, v16
	v_add_nc_u64_e32 v[38:39], v[14:15], v[8:9]
	flat_store_b32 v[38:39], v40
	flat_load_b32 v40, v[36:37] offset:64
	s_wait_loadcnt_dscnt 0x0
	v_mad_u32 v40, v40, s33, v24
	flat_store_b32 v[38:39], v40 offset:64
	flat_load_b32 v40, v[36:37] offset:128
	s_wait_loadcnt_dscnt 0x0
	v_mad_u32 v40, v40, s33, v29
	flat_store_b32 v[38:39], v40 offset:128
	flat_load_b32 v36, v[36:37] offset:192
	s_wait_loadcnt_dscnt 0x0
	s_wait_xcnt 0x1
	v_mad_u32 v40, v36, s33, v25
	s_wait_xcnt 0x0
	v_add_nc_u64_e32 v[36:37], v[10:11], v[8:9]
	v_add_nc_u64_e32 v[10:11], s[16:17], v[10:11]
	s_delay_alu instid0(VALU_DEP_1)
	v_add_nc_u64_e32 v[10:11], v[10:11], v[8:9]
	flat_store_b32 v[38:39], v40 offset:192
	flat_load_b32 v40, v[36:37]
	v_add_nc_u64_e32 v[38:39], s[20:21], v[14:15]
	s_wait_loadcnt_dscnt 0x0
	v_mad_u32 v42, v40, s33, v23
	s_delay_alu instid0(VALU_DEP_2)
	v_add_nc_u64_e32 v[40:41], v[38:39], v[8:9]
	flat_store_b32 v[40:41], v42
	flat_load_b32 v42, v[36:37] offset:64
	s_wait_loadcnt_dscnt 0x0
	v_mad_u32 v42, v42, s33, v30
	flat_store_b32 v[40:41], v42 offset:64
	flat_load_b32 v42, v[36:37] offset:128
	s_wait_loadcnt_dscnt 0x0
	v_mad_u32 v42, v42, s33, v31
	flat_store_b32 v[40:41], v42 offset:128
	flat_load_b32 v36, v[36:37] offset:192
	s_wait_loadcnt_dscnt 0x0
	s_wait_xcnt 0x0
	v_mad_u32 v36, v36, s33, v35
	flat_store_b32 v[40:41], v36 offset:192
	flat_load_b32 v40, v[10:11]
	v_add_nc_u64_e32 v[36:37], s[20:21], v[38:39]
	s_delay_alu instid0(VALU_DEP_1)
	v_add_nc_u64_e32 v[36:37], v[36:37], v[8:9]
	s_wait_loadcnt_dscnt 0x0
	v_mad_u32 v38, v40, s33, v34
	flat_store_b32 v[36:37], v38
	flat_load_b32 v38, v[10:11] offset:64
	s_wait_loadcnt_dscnt 0x0
	v_mad_u32 v38, v38, s33, v33
	flat_store_b32 v[36:37], v38 offset:64
	flat_load_b32 v38, v[10:11] offset:128
	s_wait_loadcnt_dscnt 0x0
	v_mad_u32 v38, v38, s33, v32
	flat_store_b32 v[36:37], v38 offset:128
	flat_load_b32 v10, v[10:11] offset:192
	s_wait_loadcnt_dscnt 0x0
	s_wait_xcnt 0x0
	v_mad_u32 v10, v10, s33, v22
	flat_store_b32 v[36:37], v10 offset:192
	s_cbranch_execnz .LBB203_2
	s_branch .LBB203_9
.LBB203_8:                              ;   in Loop: Header=BB203_3 Depth=1
.LBB203_9:                              ;   in Loop: Header=BB203_3 Depth=1
	s_wait_xcnt 0x0
	s_delay_alu instid0(VALU_DEP_1)
	v_add_nc_u64_e32 v[10:11], s[20:21], v[14:15]
	v_add_nc_u64_e32 v[14:15], v[14:15], v[8:9]
	s_clause 0x3
	flat_store_b32 v[12:13], v17
	flat_store_b32 v[12:13], v27 offset:64
	flat_store_b32 v[12:13], v26 offset:128
	;; [unrolled: 1-line block ×3, first 2 shown]
	v_add_nc_u64_e32 v[36:37], s[20:21], v[10:11]
	v_add_nc_u64_e32 v[10:11], v[10:11], v[8:9]
	s_wait_xcnt 0x0
	s_delay_alu instid0(VALU_DEP_2)
	v_add_nc_u64_e32 v[12:13], v[36:37], v[8:9]
	s_clause 0xb
	flat_store_b32 v[14:15], v16
	flat_store_b32 v[14:15], v24 offset:64
	flat_store_b32 v[14:15], v29 offset:128
	flat_store_b32 v[14:15], v25 offset:192
	flat_store_b32 v[10:11], v23
	flat_store_b32 v[10:11], v30 offset:64
	flat_store_b32 v[10:11], v31 offset:128
	flat_store_b32 v[10:11], v35 offset:192
	;; [unrolled: 4-line block ×3, first 2 shown]
	s_branch .LBB203_2
.LBB203_10:
	s_sendmsg sendmsg(MSG_DEALLOC_VGPRS)
	s_endpgm
	.section	.rodata,"a",@progbits
	.p2align	6, 0x0
	.amdhsa_kernel _ZN12_GLOBAL__N_127rocblas_gemm_batched_kernelIiLi16ELi16ELi64ELi64ELi4ELi64ELi4ELi4ELi64ELc84ELc67EKPKaKPKiKPiEEvlllT_PT11_llSB_llS9_PT12_llPT13_lli
		.amdhsa_group_segment_fixed_size 2048
		.amdhsa_private_segment_fixed_size 0
		.amdhsa_kernarg_size 140
		.amdhsa_user_sgpr_count 2
		.amdhsa_user_sgpr_dispatch_ptr 0
		.amdhsa_user_sgpr_queue_ptr 0
		.amdhsa_user_sgpr_kernarg_segment_ptr 1
		.amdhsa_user_sgpr_dispatch_id 0
		.amdhsa_user_sgpr_kernarg_preload_length 0
		.amdhsa_user_sgpr_kernarg_preload_offset 0
		.amdhsa_user_sgpr_private_segment_size 0
		.amdhsa_wavefront_size32 1
		.amdhsa_uses_dynamic_stack 0
		.amdhsa_enable_private_segment 0
		.amdhsa_system_sgpr_workgroup_id_x 1
		.amdhsa_system_sgpr_workgroup_id_y 1
		.amdhsa_system_sgpr_workgroup_id_z 1
		.amdhsa_system_sgpr_workgroup_info 0
		.amdhsa_system_vgpr_workitem_id 1
		.amdhsa_next_free_vgpr 70
		.amdhsa_next_free_sgpr 38
		.amdhsa_named_barrier_count 0
		.amdhsa_reserve_vcc 1
		.amdhsa_float_round_mode_32 0
		.amdhsa_float_round_mode_16_64 0
		.amdhsa_float_denorm_mode_32 3
		.amdhsa_float_denorm_mode_16_64 3
		.amdhsa_fp16_overflow 0
		.amdhsa_memory_ordered 1
		.amdhsa_forward_progress 1
		.amdhsa_inst_pref_size 21
		.amdhsa_round_robin_scheduling 0
		.amdhsa_exception_fp_ieee_invalid_op 0
		.amdhsa_exception_fp_denorm_src 0
		.amdhsa_exception_fp_ieee_div_zero 0
		.amdhsa_exception_fp_ieee_overflow 0
		.amdhsa_exception_fp_ieee_underflow 0
		.amdhsa_exception_fp_ieee_inexact 0
		.amdhsa_exception_int_div_zero 0
	.end_amdhsa_kernel
	.section	.text._ZN12_GLOBAL__N_127rocblas_gemm_batched_kernelIiLi16ELi16ELi64ELi64ELi4ELi64ELi4ELi4ELi64ELc84ELc67EKPKaKPKiKPiEEvlllT_PT11_llSB_llS9_PT12_llPT13_lli,"axG",@progbits,_ZN12_GLOBAL__N_127rocblas_gemm_batched_kernelIiLi16ELi16ELi64ELi64ELi4ELi64ELi4ELi4ELi64ELc84ELc67EKPKaKPKiKPiEEvlllT_PT11_llSB_llS9_PT12_llPT13_lli,comdat
.Lfunc_end203:
	.size	_ZN12_GLOBAL__N_127rocblas_gemm_batched_kernelIiLi16ELi16ELi64ELi64ELi4ELi64ELi4ELi4ELi64ELc84ELc67EKPKaKPKiKPiEEvlllT_PT11_llSB_llS9_PT12_llPT13_lli, .Lfunc_end203-_ZN12_GLOBAL__N_127rocblas_gemm_batched_kernelIiLi16ELi16ELi64ELi64ELi4ELi64ELi4ELi4ELi64ELc84ELc67EKPKaKPKiKPiEEvlllT_PT11_llSB_llS9_PT12_llPT13_lli
                                        ; -- End function
	.set _ZN12_GLOBAL__N_127rocblas_gemm_batched_kernelIiLi16ELi16ELi64ELi64ELi4ELi64ELi4ELi4ELi64ELc84ELc67EKPKaKPKiKPiEEvlllT_PT11_llSB_llS9_PT12_llPT13_lli.num_vgpr, 70
	.set _ZN12_GLOBAL__N_127rocblas_gemm_batched_kernelIiLi16ELi16ELi64ELi64ELi4ELi64ELi4ELi4ELi64ELc84ELc67EKPKaKPKiKPiEEvlllT_PT11_llSB_llS9_PT12_llPT13_lli.num_agpr, 0
	.set _ZN12_GLOBAL__N_127rocblas_gemm_batched_kernelIiLi16ELi16ELi64ELi64ELi4ELi64ELi4ELi4ELi64ELc84ELc67EKPKaKPKiKPiEEvlllT_PT11_llSB_llS9_PT12_llPT13_lli.numbered_sgpr, 38
	.set _ZN12_GLOBAL__N_127rocblas_gemm_batched_kernelIiLi16ELi16ELi64ELi64ELi4ELi64ELi4ELi4ELi64ELc84ELc67EKPKaKPKiKPiEEvlllT_PT11_llSB_llS9_PT12_llPT13_lli.num_named_barrier, 0
	.set _ZN12_GLOBAL__N_127rocblas_gemm_batched_kernelIiLi16ELi16ELi64ELi64ELi4ELi64ELi4ELi4ELi64ELc84ELc67EKPKaKPKiKPiEEvlllT_PT11_llSB_llS9_PT12_llPT13_lli.private_seg_size, 0
	.set _ZN12_GLOBAL__N_127rocblas_gemm_batched_kernelIiLi16ELi16ELi64ELi64ELi4ELi64ELi4ELi4ELi64ELc84ELc67EKPKaKPKiKPiEEvlllT_PT11_llSB_llS9_PT12_llPT13_lli.uses_vcc, 1
	.set _ZN12_GLOBAL__N_127rocblas_gemm_batched_kernelIiLi16ELi16ELi64ELi64ELi4ELi64ELi4ELi4ELi64ELc84ELc67EKPKaKPKiKPiEEvlllT_PT11_llSB_llS9_PT12_llPT13_lli.uses_flat_scratch, 1
	.set _ZN12_GLOBAL__N_127rocblas_gemm_batched_kernelIiLi16ELi16ELi64ELi64ELi4ELi64ELi4ELi4ELi64ELc84ELc67EKPKaKPKiKPiEEvlllT_PT11_llSB_llS9_PT12_llPT13_lli.has_dyn_sized_stack, 0
	.set _ZN12_GLOBAL__N_127rocblas_gemm_batched_kernelIiLi16ELi16ELi64ELi64ELi4ELi64ELi4ELi4ELi64ELc84ELc67EKPKaKPKiKPiEEvlllT_PT11_llSB_llS9_PT12_llPT13_lli.has_recursion, 0
	.set _ZN12_GLOBAL__N_127rocblas_gemm_batched_kernelIiLi16ELi16ELi64ELi64ELi4ELi64ELi4ELi4ELi64ELc84ELc67EKPKaKPKiKPiEEvlllT_PT11_llSB_llS9_PT12_llPT13_lli.has_indirect_call, 0
	.section	.AMDGPU.csdata,"",@progbits
; Kernel info:
; codeLenInByte = 2592
; TotalNumSgprs: 40
; NumVgprs: 70
; ScratchSize: 0
; MemoryBound: 0
; FloatMode: 240
; IeeeMode: 1
; LDSByteSize: 2048 bytes/workgroup (compile time only)
; SGPRBlocks: 0
; VGPRBlocks: 4
; NumSGPRsForWavesPerEU: 40
; NumVGPRsForWavesPerEU: 70
; NamedBarCnt: 0
; Occupancy: 12
; WaveLimiterHint : 1
; COMPUTE_PGM_RSRC2:SCRATCH_EN: 0
; COMPUTE_PGM_RSRC2:USER_SGPR: 2
; COMPUTE_PGM_RSRC2:TRAP_HANDLER: 0
; COMPUTE_PGM_RSRC2:TGID_X_EN: 1
; COMPUTE_PGM_RSRC2:TGID_Y_EN: 1
; COMPUTE_PGM_RSRC2:TGID_Z_EN: 1
; COMPUTE_PGM_RSRC2:TIDIG_COMP_CNT: 1
	.section	.text._ZN12_GLOBAL__N_127rocblas_gemm_batched_kernelIiLi16ELi16ELi32ELi32ELi8ELi32ELi8ELi8ELi32ELc78ELc78EKPKaKPKiKPiEEvlllT_PT11_llSB_llS9_PT12_llPT13_lli,"axG",@progbits,_ZN12_GLOBAL__N_127rocblas_gemm_batched_kernelIiLi16ELi16ELi32ELi32ELi8ELi32ELi8ELi8ELi32ELc78ELc78EKPKaKPKiKPiEEvlllT_PT11_llSB_llS9_PT12_llPT13_lli,comdat
	.globl	_ZN12_GLOBAL__N_127rocblas_gemm_batched_kernelIiLi16ELi16ELi32ELi32ELi8ELi32ELi8ELi8ELi32ELc78ELc78EKPKaKPKiKPiEEvlllT_PT11_llSB_llS9_PT12_llPT13_lli ; -- Begin function _ZN12_GLOBAL__N_127rocblas_gemm_batched_kernelIiLi16ELi16ELi32ELi32ELi8ELi32ELi8ELi8ELi32ELc78ELc78EKPKaKPKiKPiEEvlllT_PT11_llSB_llS9_PT12_llPT13_lli
	.p2align	8
	.type	_ZN12_GLOBAL__N_127rocblas_gemm_batched_kernelIiLi16ELi16ELi32ELi32ELi8ELi32ELi8ELi8ELi32ELc78ELc78EKPKaKPKiKPiEEvlllT_PT11_llSB_llS9_PT12_llPT13_lli,@function
_ZN12_GLOBAL__N_127rocblas_gemm_batched_kernelIiLi16ELi16ELi32ELi32ELi8ELi32ELi8ELi8ELi32ELc78ELc78EKPKaKPKiKPiEEvlllT_PT11_llSB_llS9_PT12_llPT13_lli: ; @_ZN12_GLOBAL__N_127rocblas_gemm_batched_kernelIiLi16ELi16ELi32ELi32ELi8ELi32ELi8ELi8ELi32ELc78ELc78EKPKaKPKiKPiEEvlllT_PT11_llSB_llS9_PT12_llPT13_lli
; %bb.0:
	s_load_b32 s31, s[0:1], 0x88
	s_bfe_u32 s2, ttmp6, 0x40014
	s_lshr_b32 s3, ttmp7, 16
	s_add_co_i32 s2, s2, 1
	s_bfe_u32 s4, ttmp6, 0x40008
	s_mul_i32 s2, s3, s2
	s_getreg_b32 s28, hwreg(HW_REG_IB_STS2, 6, 4)
	s_add_co_i32 s4, s4, s2
	s_cmp_eq_u32 s28, 0
	s_cselect_b32 s2, s3, s4
	s_mov_b32 s3, 0
	s_wait_kmcnt 0x0
	s_cmp_ge_i32 s2, s31
	s_cbranch_scc1 .LBB204_10
; %bb.1:
	v_bfe_u32 v4, v0, 10, 10
	v_and_b32_e32 v6, 0x3ff, v0
	s_bfe_u32 s30, ttmp6, 0x4000c
	s_bfe_u32 s33, ttmp6, 0x40010
	s_clause 0x2
	s_load_b256 s[4:11], s[0:1], 0x20
	s_load_b128 s[24:27], s[0:1], 0x40
	s_load_b128 s[20:23], s[0:1], 0x78
	s_add_co_i32 s30, s30, 1
	s_and_b32 s34, ttmp7, 0xffff
	s_add_co_i32 s33, s33, 1
	v_lshl_add_u32 v1, v4, 4, v6
	v_mov_b32_e32 v5, 0
	s_and_b32 s29, ttmp6, 15
	s_mul_i32 s30, ttmp9, s30
	s_mul_i32 s33, s34, s33
	s_bfe_u32 s35, ttmp6, 0x40004
	s_add_co_i32 s29, s29, s30
	s_add_co_i32 s35, s35, s33
	s_cmp_eq_u32 s28, 0
	s_load_b256 s[12:19], s[0:1], 0x58
	v_dual_mov_b32 v9, v5 :: v_dual_lshrrev_b32 v8, 3, v1
	v_and_b32_e32 v14, 31, v1
	s_cselect_b32 s28, s34, s35
	s_cselect_b32 s34, ttmp9, s29
	s_lshl_b32 s28, s28, 5
	s_mov_b32 s29, s3
	s_load_b32 s33, s[0:1], 0x50
	v_add_nc_u64_e32 v[10:11], s[28:29], v[8:9]
	v_add_nc_u64_e32 v[2:3], s[28:29], v[4:5]
	s_load_b96 s[28:30], s[0:1], 0x10
	s_ashr_i32 s35, s34, 31
	v_dual_lshrrev_b32 v9, 5, v1 :: v_dual_bitop2_b32 v16, 7, v0 bitop3:0x40
	s_wait_xcnt 0x0
	s_lshl_b64 s[0:1], s[34:35], 5
	s_wait_kmcnt 0x0
	v_mad_nc_u64_u32 v[12:13], s24, v10, s[26:27]
	s_add_nc_u64 s[8:9], s[0:1], s[8:9]
	v_lshlrev_b32_e32 v18, 2, v14
	v_mad_nc_u64_u32 v[22:23], s6, v9, s[8:9]
	v_mul_u64_e32 v[0:1], s[14:15], v[2:3]
	v_mul_u64_e32 v[2:3], s[20:21], v[2:3]
	v_dual_mov_b32 v7, v5 :: v_dual_mov_b32 v15, v5
	v_lshl_or_b32 v18, v9, 7, v18
	v_dual_mov_b32 v17, v5 :: v_dual_lshlrev_b32 v20, 2, v6
	v_mad_u32 v10, s25, v10, v13
	v_lshlrev_b32_e32 v13, 2, v16
	v_lshl_add_u32 v21, v4, 5, 0x400
	v_mad_u32 v23, s7, v9, v23
	s_lshl_b64 s[6:7], s[6:7], 3
	s_cmp_lg_u32 s33, 0
	v_lshl_or_b32 v8, v8, 5, v13
	v_mad_u32 v13, s24, v11, v10
	s_delay_alu instid0(VALU_DEP_2)
	v_add_nc_u32_e32 v19, 0x400, v8
	v_add_nc_u64_e32 v[8:9], s[0:1], v[6:7]
	v_cmp_gt_i64_e64 s0, s[28:29], 0
	v_add_nc_u64_e32 v[6:7], v[22:23], v[14:15]
	s_cselect_b32 s1, -1, 0
	s_lshl_b64 s[8:9], s[14:15], 4
	s_lshl_b64 s[14:15], s[20:21], 4
	s_lshl_b64 s[20:21], s[22:23], 2
	v_lshlrev_b64_e32 v[8:9], 2, v[8:9]
	v_cndmask_b32_e64 v10, 0, 1, s0
	v_add_nc_u64_e32 v[4:5], v[12:13], v[16:17]
	s_lshl_b64 s[16:17], s[16:17], 2
	s_delay_alu instid0(VALU_DEP_2)
	v_cmp_ne_u32_e64 s0, 1, v10
	s_branch .LBB204_3
.LBB204_2:                              ;   in Loop: Header=BB204_3 Depth=1
	s_add_co_i32 s2, s2, 0x10000
	s_delay_alu instid0(SALU_CYCLE_1)
	s_cmp_lt_i32 s2, s31
	s_cbranch_scc0 .LBB204_10
.LBB204_3:                              ; =>This Loop Header: Depth=1
                                        ;     Child Loop BB204_5 Depth 2
	s_wait_xcnt 0x0
	v_dual_mov_b32 v14, s2 :: v_dual_mov_b32 v24, 0
	v_dual_mov_b32 v23, 0 :: v_dual_mov_b32 v25, 0
	v_mov_b32_e32 v22, 0
	s_clause 0x1
	global_load_b64 v[10:11], v14, s[12:13] scale_offset
	global_load_b64 v[12:13], v14, s[18:19] scale_offset
	s_and_b32 vcc_lo, exec_lo, s0
	s_cbranch_vccnz .LBB204_6
; %bb.4:                                ;   in Loop: Header=BB204_3 Depth=1
	v_dual_mov_b32 v22, 0 :: v_dual_mov_b32 v25, 0
	s_lshl_b64 s[22:23], s[2:3], 3
	v_dual_mov_b32 v23, 0 :: v_dual_mov_b32 v24, 0
	s_add_nc_u64 s[24:25], s[10:11], s[22:23]
	s_add_nc_u64 s[22:23], s[4:5], s[22:23]
	s_clause 0x1
	global_load_b64 v[14:15], v22, s[24:25]
	global_load_b64 v[16:17], v22, s[22:23]
	s_wait_xcnt 0x0
	s_mov_b64 s[22:23], 0
	s_wait_loadcnt 0x1
	v_add_nc_u64_e32 v[14:15], v[14:15], v[4:5]
	s_wait_loadcnt 0x0
	v_add_nc_u64_e32 v[16:17], v[16:17], v[6:7]
.LBB204_5:                              ;   Parent Loop BB204_3 Depth=1
                                        ; =>  This Inner Loop Header: Depth=2
	flat_load_i8 v28, v[16:17]
	v_add_nc_u64_e32 v[26:27], s[22:23], v[14:15]
	s_add_nc_u64 s[22:23], s[22:23], 8
	s_wait_xcnt 0x0
	v_add_nc_u64_e32 v[16:17], s[6:7], v[16:17]
	v_cmp_lt_i64_e64 s24, s[22:23], s[28:29]
	s_and_b32 vcc_lo, exec_lo, s24
	s_wait_loadcnt_dscnt 0x0
	ds_store_b32 v18, v28
	flat_load_i8 v26, v[26:27]
	s_wait_loadcnt_dscnt 0x0
	ds_store_b32 v19, v26
	s_wait_dscnt 0x0
	s_barrier_signal -1
	s_barrier_wait -1
	ds_load_2addr_b32 v[42:43], v20 offset1:16
	s_wait_xcnt 0x0
	ds_load_b128 v[26:29], v21
	ds_load_b128 v[30:33], v21 offset:512
	ds_load_2addr_b32 v[44:45], v20 offset0:32 offset1:48
	ds_load_b128 v[34:37], v21 offset:16
	ds_load_b128 v[38:41], v21 offset:528
	s_wait_dscnt 0x4
	v_mad_u32 v25, v26, v42, v25
	s_wait_dscnt 0x3
	v_mad_u32 v42, v30, v42, v23
	v_mad_u32 v24, v26, v43, v24
	v_mad_u32 v26, v30, v43, v22
	ds_load_2addr_b32 v[22:23], v20 offset0:64 offset1:80
	s_wait_dscnt 0x3
	v_mad_u32 v30, v27, v44, v25
	v_mad_u32 v42, v31, v44, v42
	v_mad_u32 v27, v27, v45, v24
	v_mad_u32 v26, v31, v45, v26
	ds_load_2addr_b32 v[24:25], v20 offset0:96 offset1:112
	s_wait_dscnt 0x1
	v_mad_u32 v30, v28, v22, v30
	;; [unrolled: 6-line block ×5, first 2 shown]
	v_mad_u32 v24, v39, v24, v29
	v_mad_u32 v29, v35, v25, v27
	;; [unrolled: 1-line block ×3, first 2 shown]
	ds_load_2addr_b32 v[26:27], v20 offset0:224 offset1:240
	s_wait_dscnt 0x0
	s_barrier_signal -1
	s_barrier_wait -1
	v_mad_u32 v28, v36, v22, v28
	v_mad_u32 v22, v40, v22, v24
	v_mad_u32 v24, v36, v23, v29
	v_mad_u32 v29, v40, v23, v25
	s_delay_alu instid0(VALU_DEP_4) | instskip(NEXT) | instid1(VALU_DEP_4)
	v_mad_u32 v25, v37, v26, v28
	v_mad_u32 v23, v41, v26, v22
	s_delay_alu instid0(VALU_DEP_4) | instskip(NEXT) | instid1(VALU_DEP_4)
	v_mad_u32 v24, v37, v27, v24
	v_mad_u32 v22, v41, v27, v29
	s_cbranch_vccnz .LBB204_5
.LBB204_6:                              ;   in Loop: Header=BB204_3 Depth=1
	s_wait_loadcnt 0x0
	v_add_nc_u64_e32 v[12:13], s[20:21], v[12:13]
	v_mul_lo_u32 v16, v25, s30
	s_delay_alu instid0(VALU_DEP_4)
	v_mul_lo_u32 v17, v24, s30
	v_mul_lo_u32 v23, v23, s30
	;; [unrolled: 1-line block ×3, first 2 shown]
	s_and_not1_b32 vcc_lo, exec_lo, s1
	s_wait_xcnt 0x0
	v_lshl_add_u64 v[14:15], v[2:3], 2, v[12:13]
	s_delay_alu instid0(VALU_DEP_1)
	v_add_nc_u64_e32 v[12:13], v[14:15], v[8:9]
	v_lshl_add_u64 v[14:15], s[14:15], 2, v[14:15]
	s_cbranch_vccnz .LBB204_8
; %bb.7:                                ;   in Loop: Header=BB204_3 Depth=1
	v_add_nc_u64_e32 v[10:11], s[16:17], v[10:11]
	s_delay_alu instid0(VALU_DEP_1) | instskip(NEXT) | instid1(VALU_DEP_1)
	v_lshl_add_u64 v[10:11], v[0:1], 2, v[10:11]
	v_add_nc_u64_e32 v[24:25], v[10:11], v[8:9]
	v_lshl_add_u64 v[10:11], s[8:9], 2, v[10:11]
	s_delay_alu instid0(VALU_DEP_1)
	v_add_nc_u64_e32 v[10:11], v[10:11], v[8:9]
	flat_load_b32 v26, v[24:25]
	s_wait_loadcnt_dscnt 0x0
	v_mad_u32 v26, v26, s33, v16
	flat_store_b32 v[12:13], v26
	flat_load_b32 v24, v[24:25] offset:64
	s_wait_loadcnt_dscnt 0x0
	s_wait_xcnt 0x0
	v_mad_u32 v24, v24, s33, v17
	flat_store_b32 v[12:13], v24 offset:64
	flat_load_b32 v24, v[10:11]
	s_wait_loadcnt_dscnt 0x0
	v_mad_u32 v26, v24, s33, v23
	v_add_nc_u64_e32 v[24:25], v[14:15], v[8:9]
	flat_store_b32 v[24:25], v26
	flat_load_b32 v10, v[10:11] offset:64
	s_wait_loadcnt_dscnt 0x0
	s_wait_xcnt 0x0
	v_mad_u32 v10, v10, s33, v22
	flat_store_b32 v[24:25], v10 offset:64
	s_cbranch_execnz .LBB204_2
	s_branch .LBB204_9
.LBB204_8:                              ;   in Loop: Header=BB204_3 Depth=1
.LBB204_9:                              ;   in Loop: Header=BB204_3 Depth=1
	s_wait_xcnt 0x0
	s_delay_alu instid0(VALU_DEP_1)
	v_add_nc_u64_e32 v[10:11], v[14:15], v[8:9]
	s_clause 0x3
	flat_store_b32 v[12:13], v16
	flat_store_b32 v[12:13], v17 offset:64
	flat_store_b32 v[10:11], v23
	flat_store_b32 v[10:11], v22 offset:64
	s_branch .LBB204_2
.LBB204_10:
	s_endpgm
	.section	.rodata,"a",@progbits
	.p2align	6, 0x0
	.amdhsa_kernel _ZN12_GLOBAL__N_127rocblas_gemm_batched_kernelIiLi16ELi16ELi32ELi32ELi8ELi32ELi8ELi8ELi32ELc78ELc78EKPKaKPKiKPiEEvlllT_PT11_llSB_llS9_PT12_llPT13_lli
		.amdhsa_group_segment_fixed_size 2048
		.amdhsa_private_segment_fixed_size 0
		.amdhsa_kernarg_size 140
		.amdhsa_user_sgpr_count 2
		.amdhsa_user_sgpr_dispatch_ptr 0
		.amdhsa_user_sgpr_queue_ptr 0
		.amdhsa_user_sgpr_kernarg_segment_ptr 1
		.amdhsa_user_sgpr_dispatch_id 0
		.amdhsa_user_sgpr_kernarg_preload_length 0
		.amdhsa_user_sgpr_kernarg_preload_offset 0
		.amdhsa_user_sgpr_private_segment_size 0
		.amdhsa_wavefront_size32 1
		.amdhsa_uses_dynamic_stack 0
		.amdhsa_enable_private_segment 0
		.amdhsa_system_sgpr_workgroup_id_x 1
		.amdhsa_system_sgpr_workgroup_id_y 1
		.amdhsa_system_sgpr_workgroup_id_z 1
		.amdhsa_system_sgpr_workgroup_info 0
		.amdhsa_system_vgpr_workitem_id 1
		.amdhsa_next_free_vgpr 46
		.amdhsa_next_free_sgpr 36
		.amdhsa_named_barrier_count 0
		.amdhsa_reserve_vcc 1
		.amdhsa_float_round_mode_32 0
		.amdhsa_float_round_mode_16_64 0
		.amdhsa_float_denorm_mode_32 3
		.amdhsa_float_denorm_mode_16_64 3
		.amdhsa_fp16_overflow 0
		.amdhsa_memory_ordered 1
		.amdhsa_forward_progress 1
		.amdhsa_inst_pref_size 12
		.amdhsa_round_robin_scheduling 0
		.amdhsa_exception_fp_ieee_invalid_op 0
		.amdhsa_exception_fp_denorm_src 0
		.amdhsa_exception_fp_ieee_div_zero 0
		.amdhsa_exception_fp_ieee_overflow 0
		.amdhsa_exception_fp_ieee_underflow 0
		.amdhsa_exception_fp_ieee_inexact 0
		.amdhsa_exception_int_div_zero 0
	.end_amdhsa_kernel
	.section	.text._ZN12_GLOBAL__N_127rocblas_gemm_batched_kernelIiLi16ELi16ELi32ELi32ELi8ELi32ELi8ELi8ELi32ELc78ELc78EKPKaKPKiKPiEEvlllT_PT11_llSB_llS9_PT12_llPT13_lli,"axG",@progbits,_ZN12_GLOBAL__N_127rocblas_gemm_batched_kernelIiLi16ELi16ELi32ELi32ELi8ELi32ELi8ELi8ELi32ELc78ELc78EKPKaKPKiKPiEEvlllT_PT11_llSB_llS9_PT12_llPT13_lli,comdat
.Lfunc_end204:
	.size	_ZN12_GLOBAL__N_127rocblas_gemm_batched_kernelIiLi16ELi16ELi32ELi32ELi8ELi32ELi8ELi8ELi32ELc78ELc78EKPKaKPKiKPiEEvlllT_PT11_llSB_llS9_PT12_llPT13_lli, .Lfunc_end204-_ZN12_GLOBAL__N_127rocblas_gemm_batched_kernelIiLi16ELi16ELi32ELi32ELi8ELi32ELi8ELi8ELi32ELc78ELc78EKPKaKPKiKPiEEvlllT_PT11_llSB_llS9_PT12_llPT13_lli
                                        ; -- End function
	.set _ZN12_GLOBAL__N_127rocblas_gemm_batched_kernelIiLi16ELi16ELi32ELi32ELi8ELi32ELi8ELi8ELi32ELc78ELc78EKPKaKPKiKPiEEvlllT_PT11_llSB_llS9_PT12_llPT13_lli.num_vgpr, 46
	.set _ZN12_GLOBAL__N_127rocblas_gemm_batched_kernelIiLi16ELi16ELi32ELi32ELi8ELi32ELi8ELi8ELi32ELc78ELc78EKPKaKPKiKPiEEvlllT_PT11_llSB_llS9_PT12_llPT13_lli.num_agpr, 0
	.set _ZN12_GLOBAL__N_127rocblas_gemm_batched_kernelIiLi16ELi16ELi32ELi32ELi8ELi32ELi8ELi8ELi32ELc78ELc78EKPKaKPKiKPiEEvlllT_PT11_llSB_llS9_PT12_llPT13_lli.numbered_sgpr, 36
	.set _ZN12_GLOBAL__N_127rocblas_gemm_batched_kernelIiLi16ELi16ELi32ELi32ELi8ELi32ELi8ELi8ELi32ELc78ELc78EKPKaKPKiKPiEEvlllT_PT11_llSB_llS9_PT12_llPT13_lli.num_named_barrier, 0
	.set _ZN12_GLOBAL__N_127rocblas_gemm_batched_kernelIiLi16ELi16ELi32ELi32ELi8ELi32ELi8ELi8ELi32ELc78ELc78EKPKaKPKiKPiEEvlllT_PT11_llSB_llS9_PT12_llPT13_lli.private_seg_size, 0
	.set _ZN12_GLOBAL__N_127rocblas_gemm_batched_kernelIiLi16ELi16ELi32ELi32ELi8ELi32ELi8ELi8ELi32ELc78ELc78EKPKaKPKiKPiEEvlllT_PT11_llSB_llS9_PT12_llPT13_lli.uses_vcc, 1
	.set _ZN12_GLOBAL__N_127rocblas_gemm_batched_kernelIiLi16ELi16ELi32ELi32ELi8ELi32ELi8ELi8ELi32ELc78ELc78EKPKaKPKiKPiEEvlllT_PT11_llSB_llS9_PT12_llPT13_lli.uses_flat_scratch, 1
	.set _ZN12_GLOBAL__N_127rocblas_gemm_batched_kernelIiLi16ELi16ELi32ELi32ELi8ELi32ELi8ELi8ELi32ELc78ELc78EKPKaKPKiKPiEEvlllT_PT11_llSB_llS9_PT12_llPT13_lli.has_dyn_sized_stack, 0
	.set _ZN12_GLOBAL__N_127rocblas_gemm_batched_kernelIiLi16ELi16ELi32ELi32ELi8ELi32ELi8ELi8ELi32ELc78ELc78EKPKaKPKiKPiEEvlllT_PT11_llSB_llS9_PT12_llPT13_lli.has_recursion, 0
	.set _ZN12_GLOBAL__N_127rocblas_gemm_batched_kernelIiLi16ELi16ELi32ELi32ELi8ELi32ELi8ELi8ELi32ELc78ELc78EKPKaKPKiKPiEEvlllT_PT11_llSB_llS9_PT12_llPT13_lli.has_indirect_call, 0
	.section	.AMDGPU.csdata,"",@progbits
; Kernel info:
; codeLenInByte = 1488
; TotalNumSgprs: 38
; NumVgprs: 46
; ScratchSize: 0
; MemoryBound: 0
; FloatMode: 240
; IeeeMode: 1
; LDSByteSize: 2048 bytes/workgroup (compile time only)
; SGPRBlocks: 0
; VGPRBlocks: 2
; NumSGPRsForWavesPerEU: 38
; NumVGPRsForWavesPerEU: 46
; NamedBarCnt: 0
; Occupancy: 16
; WaveLimiterHint : 1
; COMPUTE_PGM_RSRC2:SCRATCH_EN: 0
; COMPUTE_PGM_RSRC2:USER_SGPR: 2
; COMPUTE_PGM_RSRC2:TRAP_HANDLER: 0
; COMPUTE_PGM_RSRC2:TGID_X_EN: 1
; COMPUTE_PGM_RSRC2:TGID_Y_EN: 1
; COMPUTE_PGM_RSRC2:TGID_Z_EN: 1
; COMPUTE_PGM_RSRC2:TIDIG_COMP_CNT: 1
	.section	.text._ZN12_GLOBAL__N_127rocblas_gemm_batched_kernelIiLi16ELi16ELi32ELi32ELi8ELi32ELi8ELi8ELi32ELc84ELc78EKPKaKPKiKPiEEvlllT_PT11_llSB_llS9_PT12_llPT13_lli,"axG",@progbits,_ZN12_GLOBAL__N_127rocblas_gemm_batched_kernelIiLi16ELi16ELi32ELi32ELi8ELi32ELi8ELi8ELi32ELc84ELc78EKPKaKPKiKPiEEvlllT_PT11_llSB_llS9_PT12_llPT13_lli,comdat
	.globl	_ZN12_GLOBAL__N_127rocblas_gemm_batched_kernelIiLi16ELi16ELi32ELi32ELi8ELi32ELi8ELi8ELi32ELc84ELc78EKPKaKPKiKPiEEvlllT_PT11_llSB_llS9_PT12_llPT13_lli ; -- Begin function _ZN12_GLOBAL__N_127rocblas_gemm_batched_kernelIiLi16ELi16ELi32ELi32ELi8ELi32ELi8ELi8ELi32ELc84ELc78EKPKaKPKiKPiEEvlllT_PT11_llSB_llS9_PT12_llPT13_lli
	.p2align	8
	.type	_ZN12_GLOBAL__N_127rocblas_gemm_batched_kernelIiLi16ELi16ELi32ELi32ELi8ELi32ELi8ELi8ELi32ELc84ELc78EKPKaKPKiKPiEEvlllT_PT11_llSB_llS9_PT12_llPT13_lli,@function
_ZN12_GLOBAL__N_127rocblas_gemm_batched_kernelIiLi16ELi16ELi32ELi32ELi8ELi32ELi8ELi8ELi32ELc84ELc78EKPKaKPKiKPiEEvlllT_PT11_llSB_llS9_PT12_llPT13_lli: ; @_ZN12_GLOBAL__N_127rocblas_gemm_batched_kernelIiLi16ELi16ELi32ELi32ELi8ELi32ELi8ELi8ELi32ELc84ELc78EKPKaKPKiKPiEEvlllT_PT11_llSB_llS9_PT12_llPT13_lli
; %bb.0:
	s_load_b32 s31, s[0:1], 0x88
	s_bfe_u32 s2, ttmp6, 0x40014
	s_lshr_b32 s3, ttmp7, 16
	s_add_co_i32 s2, s2, 1
	s_bfe_u32 s4, ttmp6, 0x40008
	s_mul_i32 s2, s3, s2
	s_getreg_b32 s28, hwreg(HW_REG_IB_STS2, 6, 4)
	s_add_co_i32 s4, s4, s2
	s_cmp_eq_u32 s28, 0
	s_cselect_b32 s2, s3, s4
	s_mov_b32 s3, 0
	s_wait_kmcnt 0x0
	s_cmp_ge_i32 s2, s31
	s_cbranch_scc1 .LBB205_10
; %bb.1:
	v_bfe_u32 v6, v0, 10, 10
	v_and_b32_e32 v8, 0x3ff, v0
	s_bfe_u32 s30, ttmp6, 0x4000c
	s_bfe_u32 s33, ttmp6, 0x40010
	s_clause 0x2
	s_load_b256 s[4:11], s[0:1], 0x20
	s_load_b128 s[24:27], s[0:1], 0x40
	s_load_b128 s[20:23], s[0:1], 0x78
	s_add_co_i32 s30, s30, 1
	s_and_b32 s34, ttmp7, 0xffff
	s_add_co_i32 s33, s33, 1
	v_lshl_add_u32 v1, v6, 4, v8
	v_mov_b32_e32 v7, 0
	s_and_b32 s29, ttmp6, 15
	s_mul_i32 s30, ttmp9, s30
	s_mul_i32 s33, s34, s33
	s_bfe_u32 s35, ttmp6, 0x40004
	s_add_co_i32 s29, s29, s30
	s_add_co_i32 s35, s35, s33
	s_cmp_eq_u32 s28, 0
	s_load_b256 s[12:19], s[0:1], 0x58
	v_dual_mov_b32 v11, v7 :: v_dual_lshrrev_b32 v10, 3, v1
	v_lshrrev_b32_e32 v14, 5, v1
	s_cselect_b32 s30, s34, s35
	s_cselect_b32 s28, ttmp9, s29
	s_lshl_b32 s34, s30, 5
	s_mov_b32 s35, s3
	v_dual_mov_b32 v15, v7 :: v_dual_bitop2_b32 v9, 31, v1 bitop3:0x40
	v_add_nc_u64_e32 v[12:13], s[34:35], v[10:11]
	s_ashr_i32 s29, s28, 31
	v_add_nc_u64_e32 v[4:5], s[34:35], v[6:7]
	s_lshl_b64 s[36:37], s[28:29], 5
	s_wait_kmcnt 0x0
	v_add_nc_u64_e32 v[2:3], s[8:9], v[14:15]
	v_dual_lshlrev_b32 v18, 2, v9 :: v_dual_bitop2_b32 v22, 7, v0 bitop3:0x40
	v_mad_nc_u64_u32 v[16:17], s24, v12, s[26:27]
	v_or_b32_e32 v11, s36, v9
	s_clause 0x1
	s_load_b32 s33, s[0:1], 0x50
	s_load_b96 s[28:30], s[0:1], 0x10
	v_dual_lshlrev_b32 v15, 2, v22 :: v_dual_mov_b32 v9, v7
	v_mov_b32_e32 v23, v7
	v_mad_nc_u64_u32 v[0:1], s6, v11, v[2:3]
	v_mul_u64_e32 v[2:3], s[14:15], v[4:5]
	v_mul_u64_e32 v[4:5], s[20:21], v[4:5]
	v_lshl_or_b32 v10, v10, 5, v15
	v_mad_u32 v12, s25, v12, v17
	v_lshlrev_b32_e32 v20, 2, v8
	v_add_nc_u64_e32 v[8:9], s[36:37], v[8:9]
	v_lshl_add_u32 v21, v6, 5, 0x400
	v_add_nc_u32_e32 v19, 0x400, v10
	v_lshl_or_b32 v18, v14, 7, v18
	v_mad_u32 v1, s7, v11, v1
	v_lshlrev_b64_e32 v[8:9], 2, v[8:9]
	v_mad_u32 v17, s24, v13, v12
	s_wait_kmcnt 0x0
	v_cmp_gt_i64_e64 s0, s[28:29], 0
	s_cmp_lg_u32 s33, 0
	s_cselect_b32 s1, -1, 0
	s_lshl_b64 s[8:9], s[20:21], 4
	s_lshl_b64 s[16:17], s[16:17], 2
	v_mad_u32 v1, s6, s37, v1
	v_cndmask_b32_e64 v10, 0, 1, s0
	s_lshl_b64 s[6:7], s[14:15], 4
	s_lshl_b64 s[14:15], s[22:23], 2
	v_add_nc_u64_e32 v[6:7], v[16:17], v[22:23]
	s_delay_alu instid0(VALU_DEP_2)
	v_cmp_ne_u32_e64 s0, 1, v10
	s_branch .LBB205_3
.LBB205_2:                              ;   in Loop: Header=BB205_3 Depth=1
	s_add_co_i32 s2, s2, 0x10000
	s_delay_alu instid0(SALU_CYCLE_1)
	s_cmp_lt_i32 s2, s31
	s_cbranch_scc0 .LBB205_10
.LBB205_3:                              ; =>This Loop Header: Depth=1
                                        ;     Child Loop BB205_5 Depth 2
	s_wait_xcnt 0x0
	v_dual_mov_b32 v14, s2 :: v_dual_mov_b32 v24, 0
	v_dual_mov_b32 v23, 0 :: v_dual_mov_b32 v25, 0
	v_mov_b32_e32 v22, 0
	s_clause 0x1
	global_load_b64 v[10:11], v14, s[12:13] scale_offset
	global_load_b64 v[12:13], v14, s[18:19] scale_offset
	s_and_b32 vcc_lo, exec_lo, s0
	s_cbranch_vccnz .LBB205_6
; %bb.4:                                ;   in Loop: Header=BB205_3 Depth=1
	v_dual_mov_b32 v22, 0 :: v_dual_mov_b32 v25, 0
	s_lshl_b64 s[20:21], s[2:3], 3
	v_dual_mov_b32 v23, 0 :: v_dual_mov_b32 v24, 0
	s_add_nc_u64 s[22:23], s[10:11], s[20:21]
	s_add_nc_u64 s[20:21], s[4:5], s[20:21]
	s_clause 0x1
	global_load_b64 v[14:15], v22, s[22:23]
	global_load_b64 v[16:17], v22, s[20:21]
	s_wait_xcnt 0x0
	s_mov_b64 s[20:21], 0
	s_wait_loadcnt 0x1
	v_add_nc_u64_e32 v[14:15], v[14:15], v[6:7]
	s_wait_loadcnt 0x0
	v_add_nc_u64_e32 v[16:17], v[16:17], v[0:1]
.LBB205_5:                              ;   Parent Loop BB205_3 Depth=1
                                        ; =>  This Inner Loop Header: Depth=2
	s_delay_alu instid0(VALU_DEP_1) | instskip(SKIP_4) | instid1(SALU_CYCLE_1)
	v_add_nc_u64_e32 v[26:27], s[20:21], v[16:17]
	flat_load_i8 v28, v[26:27]
	s_wait_xcnt 0x0
	v_add_nc_u64_e32 v[26:27], s[20:21], v[14:15]
	s_add_nc_u64 s[20:21], s[20:21], 8
	v_cmp_lt_i64_e64 s22, s[20:21], s[28:29]
	s_and_b32 vcc_lo, exec_lo, s22
	s_wait_loadcnt_dscnt 0x0
	ds_store_b32 v18, v28
	flat_load_i8 v26, v[26:27]
	s_wait_loadcnt_dscnt 0x0
	ds_store_b32 v19, v26
	s_wait_dscnt 0x0
	s_barrier_signal -1
	s_barrier_wait -1
	ds_load_2addr_b32 v[42:43], v20 offset1:16
	s_wait_xcnt 0x0
	ds_load_b128 v[26:29], v21
	ds_load_b128 v[30:33], v21 offset:512
	ds_load_2addr_b32 v[44:45], v20 offset0:32 offset1:48
	ds_load_b128 v[34:37], v21 offset:16
	ds_load_b128 v[38:41], v21 offset:528
	s_wait_dscnt 0x4
	v_mad_u32 v25, v26, v42, v25
	s_wait_dscnt 0x3
	v_mad_u32 v42, v30, v42, v23
	v_mad_u32 v24, v26, v43, v24
	v_mad_u32 v26, v30, v43, v22
	ds_load_2addr_b32 v[22:23], v20 offset0:64 offset1:80
	s_wait_dscnt 0x3
	v_mad_u32 v30, v27, v44, v25
	v_mad_u32 v42, v31, v44, v42
	v_mad_u32 v27, v27, v45, v24
	v_mad_u32 v26, v31, v45, v26
	ds_load_2addr_b32 v[24:25], v20 offset0:96 offset1:112
	s_wait_dscnt 0x1
	v_mad_u32 v30, v28, v22, v30
	;; [unrolled: 6-line block ×5, first 2 shown]
	v_mad_u32 v24, v39, v24, v29
	v_mad_u32 v29, v35, v25, v27
	v_mad_u32 v25, v39, v25, v26
	ds_load_2addr_b32 v[26:27], v20 offset0:224 offset1:240
	s_wait_dscnt 0x0
	s_barrier_signal -1
	s_barrier_wait -1
	v_mad_u32 v28, v36, v22, v28
	v_mad_u32 v22, v40, v22, v24
	;; [unrolled: 1-line block ×4, first 2 shown]
	s_delay_alu instid0(VALU_DEP_4) | instskip(NEXT) | instid1(VALU_DEP_4)
	v_mad_u32 v25, v37, v26, v28
	v_mad_u32 v23, v41, v26, v22
	s_delay_alu instid0(VALU_DEP_4) | instskip(NEXT) | instid1(VALU_DEP_4)
	v_mad_u32 v24, v37, v27, v24
	v_mad_u32 v22, v41, v27, v29
	s_cbranch_vccnz .LBB205_5
.LBB205_6:                              ;   in Loop: Header=BB205_3 Depth=1
	s_wait_loadcnt 0x0
	v_add_nc_u64_e32 v[12:13], s[14:15], v[12:13]
	v_mul_lo_u32 v16, v25, s30
	s_delay_alu instid0(VALU_DEP_4)
	v_mul_lo_u32 v17, v24, s30
	v_mul_lo_u32 v23, v23, s30
	;; [unrolled: 1-line block ×3, first 2 shown]
	s_and_not1_b32 vcc_lo, exec_lo, s1
	s_wait_xcnt 0x0
	v_lshl_add_u64 v[14:15], v[4:5], 2, v[12:13]
	s_delay_alu instid0(VALU_DEP_1)
	v_add_nc_u64_e32 v[12:13], v[14:15], v[8:9]
	v_lshl_add_u64 v[14:15], s[8:9], 2, v[14:15]
	s_cbranch_vccnz .LBB205_8
; %bb.7:                                ;   in Loop: Header=BB205_3 Depth=1
	v_add_nc_u64_e32 v[10:11], s[16:17], v[10:11]
	s_delay_alu instid0(VALU_DEP_1) | instskip(NEXT) | instid1(VALU_DEP_1)
	v_lshl_add_u64 v[10:11], v[2:3], 2, v[10:11]
	v_add_nc_u64_e32 v[24:25], v[10:11], v[8:9]
	v_lshl_add_u64 v[10:11], s[6:7], 2, v[10:11]
	s_delay_alu instid0(VALU_DEP_1)
	v_add_nc_u64_e32 v[10:11], v[10:11], v[8:9]
	flat_load_b32 v26, v[24:25]
	s_wait_loadcnt_dscnt 0x0
	v_mad_u32 v26, v26, s33, v16
	flat_store_b32 v[12:13], v26
	flat_load_b32 v24, v[24:25] offset:64
	s_wait_loadcnt_dscnt 0x0
	s_wait_xcnt 0x0
	v_mad_u32 v24, v24, s33, v17
	flat_store_b32 v[12:13], v24 offset:64
	flat_load_b32 v24, v[10:11]
	s_wait_loadcnt_dscnt 0x0
	v_mad_u32 v26, v24, s33, v23
	v_add_nc_u64_e32 v[24:25], v[14:15], v[8:9]
	flat_store_b32 v[24:25], v26
	flat_load_b32 v10, v[10:11] offset:64
	s_wait_loadcnt_dscnt 0x0
	s_wait_xcnt 0x0
	v_mad_u32 v10, v10, s33, v22
	flat_store_b32 v[24:25], v10 offset:64
	s_cbranch_execnz .LBB205_2
	s_branch .LBB205_9
.LBB205_8:                              ;   in Loop: Header=BB205_3 Depth=1
.LBB205_9:                              ;   in Loop: Header=BB205_3 Depth=1
	s_wait_xcnt 0x0
	s_delay_alu instid0(VALU_DEP_1)
	v_add_nc_u64_e32 v[10:11], v[14:15], v[8:9]
	s_clause 0x3
	flat_store_b32 v[12:13], v16
	flat_store_b32 v[12:13], v17 offset:64
	flat_store_b32 v[10:11], v23
	flat_store_b32 v[10:11], v22 offset:64
	s_branch .LBB205_2
.LBB205_10:
	s_endpgm
	.section	.rodata,"a",@progbits
	.p2align	6, 0x0
	.amdhsa_kernel _ZN12_GLOBAL__N_127rocblas_gemm_batched_kernelIiLi16ELi16ELi32ELi32ELi8ELi32ELi8ELi8ELi32ELc84ELc78EKPKaKPKiKPiEEvlllT_PT11_llSB_llS9_PT12_llPT13_lli
		.amdhsa_group_segment_fixed_size 2048
		.amdhsa_private_segment_fixed_size 0
		.amdhsa_kernarg_size 140
		.amdhsa_user_sgpr_count 2
		.amdhsa_user_sgpr_dispatch_ptr 0
		.amdhsa_user_sgpr_queue_ptr 0
		.amdhsa_user_sgpr_kernarg_segment_ptr 1
		.amdhsa_user_sgpr_dispatch_id 0
		.amdhsa_user_sgpr_kernarg_preload_length 0
		.amdhsa_user_sgpr_kernarg_preload_offset 0
		.amdhsa_user_sgpr_private_segment_size 0
		.amdhsa_wavefront_size32 1
		.amdhsa_uses_dynamic_stack 0
		.amdhsa_enable_private_segment 0
		.amdhsa_system_sgpr_workgroup_id_x 1
		.amdhsa_system_sgpr_workgroup_id_y 1
		.amdhsa_system_sgpr_workgroup_id_z 1
		.amdhsa_system_sgpr_workgroup_info 0
		.amdhsa_system_vgpr_workitem_id 1
		.amdhsa_next_free_vgpr 46
		.amdhsa_next_free_sgpr 38
		.amdhsa_named_barrier_count 0
		.amdhsa_reserve_vcc 1
		.amdhsa_float_round_mode_32 0
		.amdhsa_float_round_mode_16_64 0
		.amdhsa_float_denorm_mode_32 3
		.amdhsa_float_denorm_mode_16_64 3
		.amdhsa_fp16_overflow 0
		.amdhsa_memory_ordered 1
		.amdhsa_forward_progress 1
		.amdhsa_inst_pref_size 12
		.amdhsa_round_robin_scheduling 0
		.amdhsa_exception_fp_ieee_invalid_op 0
		.amdhsa_exception_fp_denorm_src 0
		.amdhsa_exception_fp_ieee_div_zero 0
		.amdhsa_exception_fp_ieee_overflow 0
		.amdhsa_exception_fp_ieee_underflow 0
		.amdhsa_exception_fp_ieee_inexact 0
		.amdhsa_exception_int_div_zero 0
	.end_amdhsa_kernel
	.section	.text._ZN12_GLOBAL__N_127rocblas_gemm_batched_kernelIiLi16ELi16ELi32ELi32ELi8ELi32ELi8ELi8ELi32ELc84ELc78EKPKaKPKiKPiEEvlllT_PT11_llSB_llS9_PT12_llPT13_lli,"axG",@progbits,_ZN12_GLOBAL__N_127rocblas_gemm_batched_kernelIiLi16ELi16ELi32ELi32ELi8ELi32ELi8ELi8ELi32ELc84ELc78EKPKaKPKiKPiEEvlllT_PT11_llSB_llS9_PT12_llPT13_lli,comdat
.Lfunc_end205:
	.size	_ZN12_GLOBAL__N_127rocblas_gemm_batched_kernelIiLi16ELi16ELi32ELi32ELi8ELi32ELi8ELi8ELi32ELc84ELc78EKPKaKPKiKPiEEvlllT_PT11_llSB_llS9_PT12_llPT13_lli, .Lfunc_end205-_ZN12_GLOBAL__N_127rocblas_gemm_batched_kernelIiLi16ELi16ELi32ELi32ELi8ELi32ELi8ELi8ELi32ELc84ELc78EKPKaKPKiKPiEEvlllT_PT11_llSB_llS9_PT12_llPT13_lli
                                        ; -- End function
	.set _ZN12_GLOBAL__N_127rocblas_gemm_batched_kernelIiLi16ELi16ELi32ELi32ELi8ELi32ELi8ELi8ELi32ELc84ELc78EKPKaKPKiKPiEEvlllT_PT11_llSB_llS9_PT12_llPT13_lli.num_vgpr, 46
	.set _ZN12_GLOBAL__N_127rocblas_gemm_batched_kernelIiLi16ELi16ELi32ELi32ELi8ELi32ELi8ELi8ELi32ELc84ELc78EKPKaKPKiKPiEEvlllT_PT11_llSB_llS9_PT12_llPT13_lli.num_agpr, 0
	.set _ZN12_GLOBAL__N_127rocblas_gemm_batched_kernelIiLi16ELi16ELi32ELi32ELi8ELi32ELi8ELi8ELi32ELc84ELc78EKPKaKPKiKPiEEvlllT_PT11_llSB_llS9_PT12_llPT13_lli.numbered_sgpr, 38
	.set _ZN12_GLOBAL__N_127rocblas_gemm_batched_kernelIiLi16ELi16ELi32ELi32ELi8ELi32ELi8ELi8ELi32ELc84ELc78EKPKaKPKiKPiEEvlllT_PT11_llSB_llS9_PT12_llPT13_lli.num_named_barrier, 0
	.set _ZN12_GLOBAL__N_127rocblas_gemm_batched_kernelIiLi16ELi16ELi32ELi32ELi8ELi32ELi8ELi8ELi32ELc84ELc78EKPKaKPKiKPiEEvlllT_PT11_llSB_llS9_PT12_llPT13_lli.private_seg_size, 0
	.set _ZN12_GLOBAL__N_127rocblas_gemm_batched_kernelIiLi16ELi16ELi32ELi32ELi8ELi32ELi8ELi8ELi32ELc84ELc78EKPKaKPKiKPiEEvlllT_PT11_llSB_llS9_PT12_llPT13_lli.uses_vcc, 1
	.set _ZN12_GLOBAL__N_127rocblas_gemm_batched_kernelIiLi16ELi16ELi32ELi32ELi8ELi32ELi8ELi8ELi32ELc84ELc78EKPKaKPKiKPiEEvlllT_PT11_llSB_llS9_PT12_llPT13_lli.uses_flat_scratch, 1
	.set _ZN12_GLOBAL__N_127rocblas_gemm_batched_kernelIiLi16ELi16ELi32ELi32ELi8ELi32ELi8ELi8ELi32ELc84ELc78EKPKaKPKiKPiEEvlllT_PT11_llSB_llS9_PT12_llPT13_lli.has_dyn_sized_stack, 0
	.set _ZN12_GLOBAL__N_127rocblas_gemm_batched_kernelIiLi16ELi16ELi32ELi32ELi8ELi32ELi8ELi8ELi32ELc84ELc78EKPKaKPKiKPiEEvlllT_PT11_llSB_llS9_PT12_llPT13_lli.has_recursion, 0
	.set _ZN12_GLOBAL__N_127rocblas_gemm_batched_kernelIiLi16ELi16ELi32ELi32ELi8ELi32ELi8ELi8ELi32ELc84ELc78EKPKaKPKiKPiEEvlllT_PT11_llSB_llS9_PT12_llPT13_lli.has_indirect_call, 0
	.section	.AMDGPU.csdata,"",@progbits
; Kernel info:
; codeLenInByte = 1500
; TotalNumSgprs: 40
; NumVgprs: 46
; ScratchSize: 0
; MemoryBound: 0
; FloatMode: 240
; IeeeMode: 1
; LDSByteSize: 2048 bytes/workgroup (compile time only)
; SGPRBlocks: 0
; VGPRBlocks: 2
; NumSGPRsForWavesPerEU: 40
; NumVGPRsForWavesPerEU: 46
; NamedBarCnt: 0
; Occupancy: 16
; WaveLimiterHint : 1
; COMPUTE_PGM_RSRC2:SCRATCH_EN: 0
; COMPUTE_PGM_RSRC2:USER_SGPR: 2
; COMPUTE_PGM_RSRC2:TRAP_HANDLER: 0
; COMPUTE_PGM_RSRC2:TGID_X_EN: 1
; COMPUTE_PGM_RSRC2:TGID_Y_EN: 1
; COMPUTE_PGM_RSRC2:TGID_Z_EN: 1
; COMPUTE_PGM_RSRC2:TIDIG_COMP_CNT: 1
	.section	.text._ZN12_GLOBAL__N_127rocblas_gemm_batched_kernelIiLi16ELi16ELi32ELi32ELi8ELi32ELi8ELi8ELi32ELc78ELc84EKPKaKPKiKPiEEvlllT_PT11_llSB_llS9_PT12_llPT13_lli,"axG",@progbits,_ZN12_GLOBAL__N_127rocblas_gemm_batched_kernelIiLi16ELi16ELi32ELi32ELi8ELi32ELi8ELi8ELi32ELc78ELc84EKPKaKPKiKPiEEvlllT_PT11_llSB_llS9_PT12_llPT13_lli,comdat
	.globl	_ZN12_GLOBAL__N_127rocblas_gemm_batched_kernelIiLi16ELi16ELi32ELi32ELi8ELi32ELi8ELi8ELi32ELc78ELc84EKPKaKPKiKPiEEvlllT_PT11_llSB_llS9_PT12_llPT13_lli ; -- Begin function _ZN12_GLOBAL__N_127rocblas_gemm_batched_kernelIiLi16ELi16ELi32ELi32ELi8ELi32ELi8ELi8ELi32ELc78ELc84EKPKaKPKiKPiEEvlllT_PT11_llSB_llS9_PT12_llPT13_lli
	.p2align	8
	.type	_ZN12_GLOBAL__N_127rocblas_gemm_batched_kernelIiLi16ELi16ELi32ELi32ELi8ELi32ELi8ELi8ELi32ELc78ELc84EKPKaKPKiKPiEEvlllT_PT11_llSB_llS9_PT12_llPT13_lli,@function
_ZN12_GLOBAL__N_127rocblas_gemm_batched_kernelIiLi16ELi16ELi32ELi32ELi8ELi32ELi8ELi8ELi32ELc78ELc84EKPKaKPKiKPiEEvlllT_PT11_llSB_llS9_PT12_llPT13_lli: ; @_ZN12_GLOBAL__N_127rocblas_gemm_batched_kernelIiLi16ELi16ELi32ELi32ELi8ELi32ELi8ELi8ELi32ELc78ELc84EKPKaKPKiKPiEEvlllT_PT11_llSB_llS9_PT12_llPT13_lli
; %bb.0:
	s_load_b32 s31, s[0:1], 0x88
	s_bfe_u32 s2, ttmp6, 0x40014
	s_lshr_b32 s3, ttmp7, 16
	s_add_co_i32 s2, s2, 1
	s_bfe_u32 s4, ttmp6, 0x40008
	s_mul_i32 s2, s3, s2
	s_getreg_b32 s34, hwreg(HW_REG_IB_STS2, 6, 4)
	s_add_co_i32 s4, s4, s2
	s_cmp_eq_u32 s34, 0
	s_cselect_b32 s2, s3, s4
	s_mov_b32 s3, 0
	s_wait_kmcnt 0x0
	s_cmp_ge_i32 s2, s31
	s_cbranch_scc1 .LBB206_10
; %bb.1:
	s_clause 0x5
	s_load_b96 s[28:30], s[0:1], 0x10
	s_load_b256 s[4:11], s[0:1], 0x20
	s_load_b128 s[24:27], s[0:1], 0x40
	s_load_b32 s33, s[0:1], 0x50
	s_load_b128 s[20:23], s[0:1], 0x78
	s_load_b256 s[12:19], s[0:1], 0x58
	s_wait_xcnt 0x0
	s_bfe_u32 s0, ttmp6, 0x4000c
	s_bfe_u32 s35, ttmp6, 0x40010
	v_bfe_u32 v4, v0, 10, 10
	v_and_b32_e32 v6, 0x3ff, v0
	s_add_co_i32 s0, s0, 1
	s_and_b32 s36, ttmp7, 0xffff
	s_add_co_i32 s35, s35, 1
	s_and_b32 s1, ttmp6, 15
	s_mul_i32 s0, ttmp9, s0
	s_mul_i32 s35, s36, s35
	s_bfe_u32 s37, ttmp6, 0x40004
	v_lshl_add_u32 v1, v4, 4, v6
	v_mov_b32_e32 v5, 0
	s_add_co_i32 s1, s1, s0
	s_add_co_i32 s37, s37, s35
	s_cmp_eq_u32 s34, 0
	v_lshrrev_b32_e32 v8, 3, v1
	s_cselect_b32 s34, s36, s37
	v_dual_mov_b32 v9, v5 :: v_dual_bitop2_b32 v10, 31, v1 bitop3:0x40
	s_cselect_b32 s0, ttmp9, s1
	s_lshl_b32 s34, s34, 5
	s_mov_b32 s35, s3
	s_wait_kmcnt 0x0
	v_add_nc_u64_e32 v[12:13], s[26:27], v[8:9]
	v_add_nc_u64_e32 v[2:3], s[34:35], v[4:5]
	s_ashr_i32 s1, s0, 31
	v_dual_lshrrev_b32 v9, 5, v1 :: v_dual_bitop2_b32 v16, 7, v0 bitop3:0x40
	s_lshl_b64 s[0:1], s[0:1], 5
	v_lshlrev_b32_e32 v17, 2, v10
	s_add_nc_u64 s[8:9], s[0:1], s[8:9]
	s_delay_alu instid0(VALU_DEP_3)
	v_mul_u64_e32 v[0:1], s[14:15], v[2:3]
	v_mul_u64_e32 v[2:3], s[20:21], v[2:3]
	v_mad_nc_u64_u32 v[12:13], s24, v16, v[12:13]
	v_mad_nc_u64_u32 v[14:15], s6, v9, s[8:9]
	v_dual_lshlrev_b32 v7, 2, v16 :: v_dual_mov_b32 v11, v5
	v_lshl_or_b32 v18, v9, 7, v17
	v_lshlrev_b32_e32 v20, 2, v6
	v_lshl_add_u32 v21, v4, 5, 0x400
	s_delay_alu instid0(VALU_DEP_4)
	v_lshl_or_b32 v8, v8, 5, v7
	v_mov_b32_e32 v7, v5
	s_lshl_b64 s[8:9], s[24:25], 3
	v_mad_u32 v13, s25, v16, v13
	v_mad_u32 v15, s7, v9, v15
	v_add_nc_u32_e32 v19, 0x400, v8
	v_add_nc_u64_e32 v[8:9], s[0:1], v[6:7]
	v_cmp_gt_i64_e64 s0, s[28:29], 0
	s_lshl_b64 s[6:7], s[6:7], 3
	s_cmp_lg_u32 s33, 0
	s_cselect_b32 s1, -1, 0
	s_lshl_b64 s[14:15], s[14:15], 4
	v_lshlrev_b64_e32 v[8:9], 2, v[8:9]
	v_cndmask_b32_e64 v16, 0, 1, s0
	v_add_nc_u64_e32 v[4:5], s[34:35], v[12:13]
	v_add_nc_u64_e32 v[6:7], v[14:15], v[10:11]
	s_lshl_b64 s[20:21], s[20:21], 4
	s_lshl_b64 s[22:23], s[22:23], 2
	v_cmp_ne_u32_e64 s0, 1, v16
	s_lshl_b64 s[16:17], s[16:17], 2
	s_branch .LBB206_3
.LBB206_2:                              ;   in Loop: Header=BB206_3 Depth=1
	s_add_co_i32 s2, s2, 0x10000
	s_delay_alu instid0(SALU_CYCLE_1)
	s_cmp_lt_i32 s2, s31
	s_cbranch_scc0 .LBB206_10
.LBB206_3:                              ; =>This Loop Header: Depth=1
                                        ;     Child Loop BB206_5 Depth 2
	s_wait_xcnt 0x0
	v_dual_mov_b32 v14, s2 :: v_dual_mov_b32 v24, 0
	v_dual_mov_b32 v23, 0 :: v_dual_mov_b32 v25, 0
	v_mov_b32_e32 v22, 0
	s_clause 0x1
	global_load_b64 v[10:11], v14, s[12:13] scale_offset
	global_load_b64 v[12:13], v14, s[18:19] scale_offset
	s_and_b32 vcc_lo, exec_lo, s0
	s_cbranch_vccnz .LBB206_6
; %bb.4:                                ;   in Loop: Header=BB206_3 Depth=1
	v_dual_mov_b32 v22, 0 :: v_dual_mov_b32 v25, 0
	s_lshl_b64 s[24:25], s[2:3], 3
	v_dual_mov_b32 v23, 0 :: v_dual_mov_b32 v24, 0
	s_add_nc_u64 s[26:27], s[10:11], s[24:25]
	s_add_nc_u64 s[24:25], s[4:5], s[24:25]
	s_clause 0x1
	global_load_b64 v[14:15], v22, s[26:27]
	global_load_b64 v[16:17], v22, s[24:25]
	s_wait_xcnt 0x0
	s_mov_b64 s[24:25], 0
	s_wait_loadcnt 0x1
	v_add_nc_u64_e32 v[14:15], v[14:15], v[4:5]
	s_wait_loadcnt 0x0
	v_add_nc_u64_e32 v[16:17], v[16:17], v[6:7]
.LBB206_5:                              ;   Parent Loop BB206_3 Depth=1
                                        ; =>  This Inner Loop Header: Depth=2
	flat_load_i8 v26, v[16:17]
	s_add_nc_u64 s[24:25], s[24:25], 8
	s_wait_xcnt 0x0
	v_add_nc_u64_e32 v[16:17], s[6:7], v[16:17]
	v_cmp_lt_i64_e64 s26, s[24:25], s[28:29]
	s_and_b32 vcc_lo, exec_lo, s26
	s_wait_loadcnt_dscnt 0x0
	ds_store_b32 v18, v26
	flat_load_i8 v26, v[14:15]
	s_wait_xcnt 0x0
	v_add_nc_u64_e32 v[14:15], s[8:9], v[14:15]
	s_wait_loadcnt_dscnt 0x0
	ds_store_b32 v19, v26
	s_wait_dscnt 0x0
	s_barrier_signal -1
	s_barrier_wait -1
	ds_load_2addr_b32 v[42:43], v20 offset1:16
	ds_load_b128 v[26:29], v21
	ds_load_b128 v[30:33], v21 offset:512
	ds_load_2addr_b32 v[44:45], v20 offset0:32 offset1:48
	ds_load_b128 v[34:37], v21 offset:16
	ds_load_b128 v[38:41], v21 offset:528
	s_wait_dscnt 0x4
	v_mad_u32 v25, v26, v42, v25
	s_wait_dscnt 0x3
	v_mad_u32 v42, v30, v42, v23
	v_mad_u32 v24, v26, v43, v24
	v_mad_u32 v26, v30, v43, v22
	ds_load_2addr_b32 v[22:23], v20 offset0:64 offset1:80
	s_wait_dscnt 0x3
	v_mad_u32 v30, v27, v44, v25
	v_mad_u32 v42, v31, v44, v42
	v_mad_u32 v27, v27, v45, v24
	v_mad_u32 v26, v31, v45, v26
	ds_load_2addr_b32 v[24:25], v20 offset0:96 offset1:112
	s_wait_dscnt 0x1
	v_mad_u32 v30, v28, v22, v30
	;; [unrolled: 6-line block ×5, first 2 shown]
	v_mad_u32 v24, v39, v24, v29
	v_mad_u32 v29, v35, v25, v27
	;; [unrolled: 1-line block ×3, first 2 shown]
	ds_load_2addr_b32 v[26:27], v20 offset0:224 offset1:240
	s_wait_dscnt 0x0
	s_barrier_signal -1
	s_barrier_wait -1
	v_mad_u32 v28, v36, v22, v28
	v_mad_u32 v22, v40, v22, v24
	;; [unrolled: 1-line block ×4, first 2 shown]
	s_delay_alu instid0(VALU_DEP_4) | instskip(NEXT) | instid1(VALU_DEP_4)
	v_mad_u32 v25, v37, v26, v28
	v_mad_u32 v23, v41, v26, v22
	s_delay_alu instid0(VALU_DEP_4) | instskip(NEXT) | instid1(VALU_DEP_4)
	v_mad_u32 v24, v37, v27, v24
	v_mad_u32 v22, v41, v27, v29
	s_cbranch_vccnz .LBB206_5
.LBB206_6:                              ;   in Loop: Header=BB206_3 Depth=1
	s_wait_loadcnt 0x0
	v_add_nc_u64_e32 v[12:13], s[22:23], v[12:13]
	v_mul_lo_u32 v16, v25, s30
	s_delay_alu instid0(VALU_DEP_4)
	v_mul_lo_u32 v17, v24, s30
	v_mul_lo_u32 v23, v23, s30
	;; [unrolled: 1-line block ×3, first 2 shown]
	s_and_not1_b32 vcc_lo, exec_lo, s1
	s_wait_xcnt 0x0
	v_lshl_add_u64 v[14:15], v[2:3], 2, v[12:13]
	s_delay_alu instid0(VALU_DEP_1)
	v_add_nc_u64_e32 v[12:13], v[14:15], v[8:9]
	v_lshl_add_u64 v[14:15], s[20:21], 2, v[14:15]
	s_cbranch_vccnz .LBB206_8
; %bb.7:                                ;   in Loop: Header=BB206_3 Depth=1
	v_add_nc_u64_e32 v[10:11], s[16:17], v[10:11]
	s_delay_alu instid0(VALU_DEP_1) | instskip(NEXT) | instid1(VALU_DEP_1)
	v_lshl_add_u64 v[10:11], v[0:1], 2, v[10:11]
	v_add_nc_u64_e32 v[24:25], v[10:11], v[8:9]
	v_lshl_add_u64 v[10:11], s[14:15], 2, v[10:11]
	s_delay_alu instid0(VALU_DEP_1)
	v_add_nc_u64_e32 v[10:11], v[10:11], v[8:9]
	flat_load_b32 v26, v[24:25]
	s_wait_loadcnt_dscnt 0x0
	v_mad_u32 v26, v26, s33, v16
	flat_store_b32 v[12:13], v26
	flat_load_b32 v24, v[24:25] offset:64
	s_wait_loadcnt_dscnt 0x0
	s_wait_xcnt 0x0
	v_mad_u32 v24, v24, s33, v17
	flat_store_b32 v[12:13], v24 offset:64
	flat_load_b32 v24, v[10:11]
	s_wait_loadcnt_dscnt 0x0
	v_mad_u32 v26, v24, s33, v23
	v_add_nc_u64_e32 v[24:25], v[14:15], v[8:9]
	flat_store_b32 v[24:25], v26
	flat_load_b32 v10, v[10:11] offset:64
	s_wait_loadcnt_dscnt 0x0
	s_wait_xcnt 0x0
	v_mad_u32 v10, v10, s33, v22
	flat_store_b32 v[24:25], v10 offset:64
	s_cbranch_execnz .LBB206_2
	s_branch .LBB206_9
.LBB206_8:                              ;   in Loop: Header=BB206_3 Depth=1
.LBB206_9:                              ;   in Loop: Header=BB206_3 Depth=1
	s_wait_xcnt 0x0
	s_delay_alu instid0(VALU_DEP_1)
	v_add_nc_u64_e32 v[10:11], v[14:15], v[8:9]
	s_clause 0x3
	flat_store_b32 v[12:13], v16
	flat_store_b32 v[12:13], v17 offset:64
	flat_store_b32 v[10:11], v23
	flat_store_b32 v[10:11], v22 offset:64
	s_branch .LBB206_2
.LBB206_10:
	s_endpgm
	.section	.rodata,"a",@progbits
	.p2align	6, 0x0
	.amdhsa_kernel _ZN12_GLOBAL__N_127rocblas_gemm_batched_kernelIiLi16ELi16ELi32ELi32ELi8ELi32ELi8ELi8ELi32ELc78ELc84EKPKaKPKiKPiEEvlllT_PT11_llSB_llS9_PT12_llPT13_lli
		.amdhsa_group_segment_fixed_size 2048
		.amdhsa_private_segment_fixed_size 0
		.amdhsa_kernarg_size 140
		.amdhsa_user_sgpr_count 2
		.amdhsa_user_sgpr_dispatch_ptr 0
		.amdhsa_user_sgpr_queue_ptr 0
		.amdhsa_user_sgpr_kernarg_segment_ptr 1
		.amdhsa_user_sgpr_dispatch_id 0
		.amdhsa_user_sgpr_kernarg_preload_length 0
		.amdhsa_user_sgpr_kernarg_preload_offset 0
		.amdhsa_user_sgpr_private_segment_size 0
		.amdhsa_wavefront_size32 1
		.amdhsa_uses_dynamic_stack 0
		.amdhsa_enable_private_segment 0
		.amdhsa_system_sgpr_workgroup_id_x 1
		.amdhsa_system_sgpr_workgroup_id_y 1
		.amdhsa_system_sgpr_workgroup_id_z 1
		.amdhsa_system_sgpr_workgroup_info 0
		.amdhsa_system_vgpr_workitem_id 1
		.amdhsa_next_free_vgpr 46
		.amdhsa_next_free_sgpr 38
		.amdhsa_named_barrier_count 0
		.amdhsa_reserve_vcc 1
		.amdhsa_float_round_mode_32 0
		.amdhsa_float_round_mode_16_64 0
		.amdhsa_float_denorm_mode_32 3
		.amdhsa_float_denorm_mode_16_64 3
		.amdhsa_fp16_overflow 0
		.amdhsa_memory_ordered 1
		.amdhsa_forward_progress 1
		.amdhsa_inst_pref_size 12
		.amdhsa_round_robin_scheduling 0
		.amdhsa_exception_fp_ieee_invalid_op 0
		.amdhsa_exception_fp_denorm_src 0
		.amdhsa_exception_fp_ieee_div_zero 0
		.amdhsa_exception_fp_ieee_overflow 0
		.amdhsa_exception_fp_ieee_underflow 0
		.amdhsa_exception_fp_ieee_inexact 0
		.amdhsa_exception_int_div_zero 0
	.end_amdhsa_kernel
	.section	.text._ZN12_GLOBAL__N_127rocblas_gemm_batched_kernelIiLi16ELi16ELi32ELi32ELi8ELi32ELi8ELi8ELi32ELc78ELc84EKPKaKPKiKPiEEvlllT_PT11_llSB_llS9_PT12_llPT13_lli,"axG",@progbits,_ZN12_GLOBAL__N_127rocblas_gemm_batched_kernelIiLi16ELi16ELi32ELi32ELi8ELi32ELi8ELi8ELi32ELc78ELc84EKPKaKPKiKPiEEvlllT_PT11_llSB_llS9_PT12_llPT13_lli,comdat
.Lfunc_end206:
	.size	_ZN12_GLOBAL__N_127rocblas_gemm_batched_kernelIiLi16ELi16ELi32ELi32ELi8ELi32ELi8ELi8ELi32ELc78ELc84EKPKaKPKiKPiEEvlllT_PT11_llSB_llS9_PT12_llPT13_lli, .Lfunc_end206-_ZN12_GLOBAL__N_127rocblas_gemm_batched_kernelIiLi16ELi16ELi32ELi32ELi8ELi32ELi8ELi8ELi32ELc78ELc84EKPKaKPKiKPiEEvlllT_PT11_llSB_llS9_PT12_llPT13_lli
                                        ; -- End function
	.set _ZN12_GLOBAL__N_127rocblas_gemm_batched_kernelIiLi16ELi16ELi32ELi32ELi8ELi32ELi8ELi8ELi32ELc78ELc84EKPKaKPKiKPiEEvlllT_PT11_llSB_llS9_PT12_llPT13_lli.num_vgpr, 46
	.set _ZN12_GLOBAL__N_127rocblas_gemm_batched_kernelIiLi16ELi16ELi32ELi32ELi8ELi32ELi8ELi8ELi32ELc78ELc84EKPKaKPKiKPiEEvlllT_PT11_llSB_llS9_PT12_llPT13_lli.num_agpr, 0
	.set _ZN12_GLOBAL__N_127rocblas_gemm_batched_kernelIiLi16ELi16ELi32ELi32ELi8ELi32ELi8ELi8ELi32ELc78ELc84EKPKaKPKiKPiEEvlllT_PT11_llSB_llS9_PT12_llPT13_lli.numbered_sgpr, 38
	.set _ZN12_GLOBAL__N_127rocblas_gemm_batched_kernelIiLi16ELi16ELi32ELi32ELi8ELi32ELi8ELi8ELi32ELc78ELc84EKPKaKPKiKPiEEvlllT_PT11_llSB_llS9_PT12_llPT13_lli.num_named_barrier, 0
	.set _ZN12_GLOBAL__N_127rocblas_gemm_batched_kernelIiLi16ELi16ELi32ELi32ELi8ELi32ELi8ELi8ELi32ELc78ELc84EKPKaKPKiKPiEEvlllT_PT11_llSB_llS9_PT12_llPT13_lli.private_seg_size, 0
	.set _ZN12_GLOBAL__N_127rocblas_gemm_batched_kernelIiLi16ELi16ELi32ELi32ELi8ELi32ELi8ELi8ELi32ELc78ELc84EKPKaKPKiKPiEEvlllT_PT11_llSB_llS9_PT12_llPT13_lli.uses_vcc, 1
	.set _ZN12_GLOBAL__N_127rocblas_gemm_batched_kernelIiLi16ELi16ELi32ELi32ELi8ELi32ELi8ELi8ELi32ELc78ELc84EKPKaKPKiKPiEEvlllT_PT11_llSB_llS9_PT12_llPT13_lli.uses_flat_scratch, 1
	.set _ZN12_GLOBAL__N_127rocblas_gemm_batched_kernelIiLi16ELi16ELi32ELi32ELi8ELi32ELi8ELi8ELi32ELc78ELc84EKPKaKPKiKPiEEvlllT_PT11_llSB_llS9_PT12_llPT13_lli.has_dyn_sized_stack, 0
	.set _ZN12_GLOBAL__N_127rocblas_gemm_batched_kernelIiLi16ELi16ELi32ELi32ELi8ELi32ELi8ELi8ELi32ELc78ELc84EKPKaKPKiKPiEEvlllT_PT11_llSB_llS9_PT12_llPT13_lli.has_recursion, 0
	.set _ZN12_GLOBAL__N_127rocblas_gemm_batched_kernelIiLi16ELi16ELi32ELi32ELi8ELi32ELi8ELi8ELi32ELc78ELc84EKPKaKPKiKPiEEvlllT_PT11_llSB_llS9_PT12_llPT13_lli.has_indirect_call, 0
	.section	.AMDGPU.csdata,"",@progbits
; Kernel info:
; codeLenInByte = 1484
; TotalNumSgprs: 40
; NumVgprs: 46
; ScratchSize: 0
; MemoryBound: 0
; FloatMode: 240
; IeeeMode: 1
; LDSByteSize: 2048 bytes/workgroup (compile time only)
; SGPRBlocks: 0
; VGPRBlocks: 2
; NumSGPRsForWavesPerEU: 40
; NumVGPRsForWavesPerEU: 46
; NamedBarCnt: 0
; Occupancy: 16
; WaveLimiterHint : 1
; COMPUTE_PGM_RSRC2:SCRATCH_EN: 0
; COMPUTE_PGM_RSRC2:USER_SGPR: 2
; COMPUTE_PGM_RSRC2:TRAP_HANDLER: 0
; COMPUTE_PGM_RSRC2:TGID_X_EN: 1
; COMPUTE_PGM_RSRC2:TGID_Y_EN: 1
; COMPUTE_PGM_RSRC2:TGID_Z_EN: 1
; COMPUTE_PGM_RSRC2:TIDIG_COMP_CNT: 1
	.section	.text._ZN12_GLOBAL__N_127rocblas_gemm_batched_kernelIiLi16ELi16ELi32ELi32ELi8ELi32ELi8ELi8ELi32ELc84ELc84EKPKaKPKiKPiEEvlllT_PT11_llSB_llS9_PT12_llPT13_lli,"axG",@progbits,_ZN12_GLOBAL__N_127rocblas_gemm_batched_kernelIiLi16ELi16ELi32ELi32ELi8ELi32ELi8ELi8ELi32ELc84ELc84EKPKaKPKiKPiEEvlllT_PT11_llSB_llS9_PT12_llPT13_lli,comdat
	.globl	_ZN12_GLOBAL__N_127rocblas_gemm_batched_kernelIiLi16ELi16ELi32ELi32ELi8ELi32ELi8ELi8ELi32ELc84ELc84EKPKaKPKiKPiEEvlllT_PT11_llSB_llS9_PT12_llPT13_lli ; -- Begin function _ZN12_GLOBAL__N_127rocblas_gemm_batched_kernelIiLi16ELi16ELi32ELi32ELi8ELi32ELi8ELi8ELi32ELc84ELc84EKPKaKPKiKPiEEvlllT_PT11_llSB_llS9_PT12_llPT13_lli
	.p2align	8
	.type	_ZN12_GLOBAL__N_127rocblas_gemm_batched_kernelIiLi16ELi16ELi32ELi32ELi8ELi32ELi8ELi8ELi32ELc84ELc84EKPKaKPKiKPiEEvlllT_PT11_llSB_llS9_PT12_llPT13_lli,@function
_ZN12_GLOBAL__N_127rocblas_gemm_batched_kernelIiLi16ELi16ELi32ELi32ELi8ELi32ELi8ELi8ELi32ELc84ELc84EKPKaKPKiKPiEEvlllT_PT11_llSB_llS9_PT12_llPT13_lli: ; @_ZN12_GLOBAL__N_127rocblas_gemm_batched_kernelIiLi16ELi16ELi32ELi32ELi8ELi32ELi8ELi8ELi32ELc84ELc84EKPKaKPKiKPiEEvlllT_PT11_llSB_llS9_PT12_llPT13_lli
; %bb.0:
	s_load_b32 s31, s[0:1], 0x88
	s_bfe_u32 s2, ttmp6, 0x40014
	s_lshr_b32 s3, ttmp7, 16
	s_add_co_i32 s2, s2, 1
	s_bfe_u32 s4, ttmp6, 0x40008
	s_mul_i32 s2, s3, s2
	s_getreg_b32 s28, hwreg(HW_REG_IB_STS2, 6, 4)
	s_add_co_i32 s4, s4, s2
	s_cmp_eq_u32 s28, 0
	s_cselect_b32 s2, s3, s4
	s_mov_b32 s3, 0
	s_wait_kmcnt 0x0
	s_cmp_ge_i32 s2, s31
	s_cbranch_scc1 .LBB207_10
; %bb.1:
	s_load_b256 s[4:11], s[0:1], 0x20
	v_bfe_u32 v6, v0, 10, 10
	v_and_b32_e32 v8, 0x3ff, v0
	s_clause 0x2
	s_load_b128 s[24:27], s[0:1], 0x40
	s_load_b128 s[20:23], s[0:1], 0x78
	s_load_b256 s[12:19], s[0:1], 0x58
	s_bfe_u32 s29, ttmp6, 0x4000c
	s_bfe_u32 s33, ttmp6, 0x40010
	s_add_co_i32 s29, s29, 1
	s_and_b32 s34, ttmp7, 0xffff
	s_add_co_i32 s33, s33, 1
	v_lshl_add_u32 v1, v6, 4, v8
	v_mov_b32_e32 v7, 0
	s_and_b32 s30, ttmp6, 15
	s_mul_i32 s29, ttmp9, s29
	s_mul_i32 s33, s34, s33
	s_bfe_u32 s35, ttmp6, 0x40004
	s_add_co_i32 s30, s30, s29
	s_add_co_i32 s35, s35, s33
	s_cmp_eq_u32 s28, 0
	v_dual_mov_b32 v11, v7 :: v_dual_bitop2_b32 v9, 31, v1 bitop3:0x40
	v_lshrrev_b32_e32 v10, 5, v1
	s_cselect_b32 s28, ttmp9, s30
	s_cselect_b32 s30, s34, s35
	s_ashr_i32 s29, s28, 31
	v_dual_mov_b32 v13, v7 :: v_dual_lshrrev_b32 v12, 3, v1
	s_lshl_b32 s36, s30, 5
	s_mov_b32 s37, s3
	s_lshl_b64 s[34:35], s[28:29], 5
	s_wait_kmcnt 0x0
	v_add_nc_u64_e32 v[2:3], s[8:9], v[10:11]
	v_add_nc_u64_e32 v[4:5], s[36:37], v[6:7]
	v_dual_lshlrev_b32 v17, 2, v9 :: v_dual_bitop2_b32 v11, s34, v9 bitop3:0x54
	s_load_b96 s[28:30], s[0:1], 0x10
	v_add_nc_u64_e32 v[14:15], s[26:27], v[12:13]
	v_dual_mov_b32 v9, v7 :: v_dual_bitop2_b32 v13, 7, v0 bitop3:0x40
	s_delay_alu instid0(VALU_DEP_3)
	v_mad_nc_u64_u32 v[0:1], s6, v11, v[2:3]
	v_mul_u64_e32 v[2:3], s[14:15], v[4:5]
	v_mul_u64_e32 v[4:5], s[20:21], v[4:5]
	s_load_b32 s33, s[0:1], 0x50
	v_mad_nc_u64_u32 v[14:15], s24, v13, v[14:15]
	v_dual_lshlrev_b32 v16, 2, v13 :: v_dual_lshlrev_b32 v20, 2, v8
	v_add_nc_u64_e32 v[8:9], s[34:35], v[8:9]
	v_lshl_or_b32 v18, v10, 7, v17
	v_lshl_add_u32 v21, v6, 5, 0x400
	s_delay_alu instid0(VALU_DEP_4)
	v_lshl_or_b32 v12, v12, 5, v16
	v_mad_u32 v1, s7, v11, v1
	s_lshl_b64 s[8:9], s[24:25], 3
	v_lshlrev_b64_e32 v[8:9], 2, v[8:9]
	v_mad_u32 v15, s25, v13, v15
	s_wait_kmcnt 0x0
	v_cmp_gt_i64_e64 s0, s[28:29], 0
	v_add_nc_u32_e32 v19, 0x400, v12
	v_mad_u32 v1, s6, s35, v1
	s_delay_alu instid0(VALU_DEP_3) | instskip(SKIP_3) | instid1(VALU_DEP_2)
	v_cndmask_b32_e64 v10, 0, 1, s0
	s_cmp_lg_u32 s33, 0
	v_add_nc_u64_e32 v[6:7], s[36:37], v[14:15]
	s_cselect_b32 s1, -1, 0
	v_cmp_ne_u32_e64 s0, 1, v10
	s_lshl_b64 s[6:7], s[14:15], 4
	s_lshl_b64 s[14:15], s[20:21], 4
	s_lshl_b64 s[20:21], s[22:23], 2
	s_lshl_b64 s[16:17], s[16:17], 2
	s_branch .LBB207_3
.LBB207_2:                              ;   in Loop: Header=BB207_3 Depth=1
	s_add_co_i32 s2, s2, 0x10000
	s_delay_alu instid0(SALU_CYCLE_1)
	s_cmp_lt_i32 s2, s31
	s_cbranch_scc0 .LBB207_10
.LBB207_3:                              ; =>This Loop Header: Depth=1
                                        ;     Child Loop BB207_5 Depth 2
	s_wait_xcnt 0x0
	v_dual_mov_b32 v14, s2 :: v_dual_mov_b32 v24, 0
	v_dual_mov_b32 v23, 0 :: v_dual_mov_b32 v25, 0
	v_mov_b32_e32 v22, 0
	s_clause 0x1
	global_load_b64 v[10:11], v14, s[12:13] scale_offset
	global_load_b64 v[12:13], v14, s[18:19] scale_offset
	s_and_b32 vcc_lo, exec_lo, s0
	s_cbranch_vccnz .LBB207_6
; %bb.4:                                ;   in Loop: Header=BB207_3 Depth=1
	v_dual_mov_b32 v22, 0 :: v_dual_mov_b32 v25, 0
	s_lshl_b64 s[22:23], s[2:3], 3
	v_dual_mov_b32 v23, 0 :: v_dual_mov_b32 v24, 0
	s_add_nc_u64 s[24:25], s[10:11], s[22:23]
	s_add_nc_u64 s[22:23], s[4:5], s[22:23]
	s_clause 0x1
	global_load_b64 v[14:15], v22, s[24:25]
	global_load_b64 v[16:17], v22, s[22:23]
	s_wait_xcnt 0x0
	s_mov_b64 s[22:23], 0
	s_wait_loadcnt 0x1
	v_add_nc_u64_e32 v[14:15], v[14:15], v[6:7]
	s_wait_loadcnt 0x0
	v_add_nc_u64_e32 v[16:17], v[16:17], v[0:1]
.LBB207_5:                              ;   Parent Loop BB207_3 Depth=1
                                        ; =>  This Inner Loop Header: Depth=2
	s_delay_alu instid0(VALU_DEP_1) | instskip(SKIP_1) | instid1(SALU_CYCLE_1)
	v_add_nc_u64_e32 v[26:27], s[22:23], v[16:17]
	s_add_nc_u64 s[22:23], s[22:23], 8
	v_cmp_lt_i64_e64 s24, s[22:23], s[28:29]
	flat_load_i8 v26, v[26:27]
	s_and_b32 vcc_lo, exec_lo, s24
	s_wait_loadcnt_dscnt 0x0
	ds_store_b32 v18, v26
	flat_load_i8 v26, v[14:15]
	s_wait_xcnt 0x0
	v_add_nc_u64_e32 v[14:15], s[8:9], v[14:15]
	s_wait_loadcnt_dscnt 0x0
	ds_store_b32 v19, v26
	s_wait_dscnt 0x0
	s_barrier_signal -1
	s_barrier_wait -1
	ds_load_2addr_b32 v[42:43], v20 offset1:16
	ds_load_b128 v[26:29], v21
	ds_load_b128 v[30:33], v21 offset:512
	ds_load_2addr_b32 v[44:45], v20 offset0:32 offset1:48
	ds_load_b128 v[34:37], v21 offset:16
	ds_load_b128 v[38:41], v21 offset:528
	s_wait_dscnt 0x4
	v_mad_u32 v25, v26, v42, v25
	s_wait_dscnt 0x3
	v_mad_u32 v42, v30, v42, v23
	v_mad_u32 v24, v26, v43, v24
	v_mad_u32 v26, v30, v43, v22
	ds_load_2addr_b32 v[22:23], v20 offset0:64 offset1:80
	s_wait_dscnt 0x3
	v_mad_u32 v30, v27, v44, v25
	v_mad_u32 v42, v31, v44, v42
	v_mad_u32 v27, v27, v45, v24
	v_mad_u32 v26, v31, v45, v26
	ds_load_2addr_b32 v[24:25], v20 offset0:96 offset1:112
	s_wait_dscnt 0x1
	v_mad_u32 v30, v28, v22, v30
	;; [unrolled: 6-line block ×5, first 2 shown]
	v_mad_u32 v24, v39, v24, v29
	v_mad_u32 v29, v35, v25, v27
	v_mad_u32 v25, v39, v25, v26
	ds_load_2addr_b32 v[26:27], v20 offset0:224 offset1:240
	s_wait_dscnt 0x0
	s_barrier_signal -1
	s_barrier_wait -1
	v_mad_u32 v28, v36, v22, v28
	v_mad_u32 v22, v40, v22, v24
	;; [unrolled: 1-line block ×4, first 2 shown]
	s_delay_alu instid0(VALU_DEP_4) | instskip(NEXT) | instid1(VALU_DEP_4)
	v_mad_u32 v25, v37, v26, v28
	v_mad_u32 v23, v41, v26, v22
	s_delay_alu instid0(VALU_DEP_4) | instskip(NEXT) | instid1(VALU_DEP_4)
	v_mad_u32 v24, v37, v27, v24
	v_mad_u32 v22, v41, v27, v29
	s_cbranch_vccnz .LBB207_5
.LBB207_6:                              ;   in Loop: Header=BB207_3 Depth=1
	s_wait_loadcnt 0x0
	v_add_nc_u64_e32 v[12:13], s[20:21], v[12:13]
	v_mul_lo_u32 v16, v25, s30
	s_delay_alu instid0(VALU_DEP_4)
	v_mul_lo_u32 v17, v24, s30
	v_mul_lo_u32 v23, v23, s30
	;; [unrolled: 1-line block ×3, first 2 shown]
	s_and_not1_b32 vcc_lo, exec_lo, s1
	s_wait_xcnt 0x0
	v_lshl_add_u64 v[14:15], v[4:5], 2, v[12:13]
	s_delay_alu instid0(VALU_DEP_1)
	v_add_nc_u64_e32 v[12:13], v[14:15], v[8:9]
	v_lshl_add_u64 v[14:15], s[14:15], 2, v[14:15]
	s_cbranch_vccnz .LBB207_8
; %bb.7:                                ;   in Loop: Header=BB207_3 Depth=1
	v_add_nc_u64_e32 v[10:11], s[16:17], v[10:11]
	s_delay_alu instid0(VALU_DEP_1) | instskip(NEXT) | instid1(VALU_DEP_1)
	v_lshl_add_u64 v[10:11], v[2:3], 2, v[10:11]
	v_add_nc_u64_e32 v[24:25], v[10:11], v[8:9]
	v_lshl_add_u64 v[10:11], s[6:7], 2, v[10:11]
	s_delay_alu instid0(VALU_DEP_1)
	v_add_nc_u64_e32 v[10:11], v[10:11], v[8:9]
	flat_load_b32 v26, v[24:25]
	s_wait_loadcnt_dscnt 0x0
	v_mad_u32 v26, v26, s33, v16
	flat_store_b32 v[12:13], v26
	flat_load_b32 v24, v[24:25] offset:64
	s_wait_loadcnt_dscnt 0x0
	s_wait_xcnt 0x0
	v_mad_u32 v24, v24, s33, v17
	flat_store_b32 v[12:13], v24 offset:64
	flat_load_b32 v24, v[10:11]
	s_wait_loadcnt_dscnt 0x0
	v_mad_u32 v26, v24, s33, v23
	v_add_nc_u64_e32 v[24:25], v[14:15], v[8:9]
	flat_store_b32 v[24:25], v26
	flat_load_b32 v10, v[10:11] offset:64
	s_wait_loadcnt_dscnt 0x0
	s_wait_xcnt 0x0
	v_mad_u32 v10, v10, s33, v22
	flat_store_b32 v[24:25], v10 offset:64
	s_cbranch_execnz .LBB207_2
	s_branch .LBB207_9
.LBB207_8:                              ;   in Loop: Header=BB207_3 Depth=1
.LBB207_9:                              ;   in Loop: Header=BB207_3 Depth=1
	s_wait_xcnt 0x0
	s_delay_alu instid0(VALU_DEP_1)
	v_add_nc_u64_e32 v[10:11], v[14:15], v[8:9]
	s_clause 0x3
	flat_store_b32 v[12:13], v16
	flat_store_b32 v[12:13], v17 offset:64
	flat_store_b32 v[10:11], v23
	flat_store_b32 v[10:11], v22 offset:64
	s_branch .LBB207_2
.LBB207_10:
	s_endpgm
	.section	.rodata,"a",@progbits
	.p2align	6, 0x0
	.amdhsa_kernel _ZN12_GLOBAL__N_127rocblas_gemm_batched_kernelIiLi16ELi16ELi32ELi32ELi8ELi32ELi8ELi8ELi32ELc84ELc84EKPKaKPKiKPiEEvlllT_PT11_llSB_llS9_PT12_llPT13_lli
		.amdhsa_group_segment_fixed_size 2048
		.amdhsa_private_segment_fixed_size 0
		.amdhsa_kernarg_size 140
		.amdhsa_user_sgpr_count 2
		.amdhsa_user_sgpr_dispatch_ptr 0
		.amdhsa_user_sgpr_queue_ptr 0
		.amdhsa_user_sgpr_kernarg_segment_ptr 1
		.amdhsa_user_sgpr_dispatch_id 0
		.amdhsa_user_sgpr_kernarg_preload_length 0
		.amdhsa_user_sgpr_kernarg_preload_offset 0
		.amdhsa_user_sgpr_private_segment_size 0
		.amdhsa_wavefront_size32 1
		.amdhsa_uses_dynamic_stack 0
		.amdhsa_enable_private_segment 0
		.amdhsa_system_sgpr_workgroup_id_x 1
		.amdhsa_system_sgpr_workgroup_id_y 1
		.amdhsa_system_sgpr_workgroup_id_z 1
		.amdhsa_system_sgpr_workgroup_info 0
		.amdhsa_system_vgpr_workitem_id 1
		.amdhsa_next_free_vgpr 46
		.amdhsa_next_free_sgpr 38
		.amdhsa_named_barrier_count 0
		.amdhsa_reserve_vcc 1
		.amdhsa_float_round_mode_32 0
		.amdhsa_float_round_mode_16_64 0
		.amdhsa_float_denorm_mode_32 3
		.amdhsa_float_denorm_mode_16_64 3
		.amdhsa_fp16_overflow 0
		.amdhsa_memory_ordered 1
		.amdhsa_forward_progress 1
		.amdhsa_inst_pref_size 12
		.amdhsa_round_robin_scheduling 0
		.amdhsa_exception_fp_ieee_invalid_op 0
		.amdhsa_exception_fp_denorm_src 0
		.amdhsa_exception_fp_ieee_div_zero 0
		.amdhsa_exception_fp_ieee_overflow 0
		.amdhsa_exception_fp_ieee_underflow 0
		.amdhsa_exception_fp_ieee_inexact 0
		.amdhsa_exception_int_div_zero 0
	.end_amdhsa_kernel
	.section	.text._ZN12_GLOBAL__N_127rocblas_gemm_batched_kernelIiLi16ELi16ELi32ELi32ELi8ELi32ELi8ELi8ELi32ELc84ELc84EKPKaKPKiKPiEEvlllT_PT11_llSB_llS9_PT12_llPT13_lli,"axG",@progbits,_ZN12_GLOBAL__N_127rocblas_gemm_batched_kernelIiLi16ELi16ELi32ELi32ELi8ELi32ELi8ELi8ELi32ELc84ELc84EKPKaKPKiKPiEEvlllT_PT11_llSB_llS9_PT12_llPT13_lli,comdat
.Lfunc_end207:
	.size	_ZN12_GLOBAL__N_127rocblas_gemm_batched_kernelIiLi16ELi16ELi32ELi32ELi8ELi32ELi8ELi8ELi32ELc84ELc84EKPKaKPKiKPiEEvlllT_PT11_llSB_llS9_PT12_llPT13_lli, .Lfunc_end207-_ZN12_GLOBAL__N_127rocblas_gemm_batched_kernelIiLi16ELi16ELi32ELi32ELi8ELi32ELi8ELi8ELi32ELc84ELc84EKPKaKPKiKPiEEvlllT_PT11_llSB_llS9_PT12_llPT13_lli
                                        ; -- End function
	.set _ZN12_GLOBAL__N_127rocblas_gemm_batched_kernelIiLi16ELi16ELi32ELi32ELi8ELi32ELi8ELi8ELi32ELc84ELc84EKPKaKPKiKPiEEvlllT_PT11_llSB_llS9_PT12_llPT13_lli.num_vgpr, 46
	.set _ZN12_GLOBAL__N_127rocblas_gemm_batched_kernelIiLi16ELi16ELi32ELi32ELi8ELi32ELi8ELi8ELi32ELc84ELc84EKPKaKPKiKPiEEvlllT_PT11_llSB_llS9_PT12_llPT13_lli.num_agpr, 0
	.set _ZN12_GLOBAL__N_127rocblas_gemm_batched_kernelIiLi16ELi16ELi32ELi32ELi8ELi32ELi8ELi8ELi32ELc84ELc84EKPKaKPKiKPiEEvlllT_PT11_llSB_llS9_PT12_llPT13_lli.numbered_sgpr, 38
	.set _ZN12_GLOBAL__N_127rocblas_gemm_batched_kernelIiLi16ELi16ELi32ELi32ELi8ELi32ELi8ELi8ELi32ELc84ELc84EKPKaKPKiKPiEEvlllT_PT11_llSB_llS9_PT12_llPT13_lli.num_named_barrier, 0
	.set _ZN12_GLOBAL__N_127rocblas_gemm_batched_kernelIiLi16ELi16ELi32ELi32ELi8ELi32ELi8ELi8ELi32ELc84ELc84EKPKaKPKiKPiEEvlllT_PT11_llSB_llS9_PT12_llPT13_lli.private_seg_size, 0
	.set _ZN12_GLOBAL__N_127rocblas_gemm_batched_kernelIiLi16ELi16ELi32ELi32ELi8ELi32ELi8ELi8ELi32ELc84ELc84EKPKaKPKiKPiEEvlllT_PT11_llSB_llS9_PT12_llPT13_lli.uses_vcc, 1
	.set _ZN12_GLOBAL__N_127rocblas_gemm_batched_kernelIiLi16ELi16ELi32ELi32ELi8ELi32ELi8ELi8ELi32ELc84ELc84EKPKaKPKiKPiEEvlllT_PT11_llSB_llS9_PT12_llPT13_lli.uses_flat_scratch, 1
	.set _ZN12_GLOBAL__N_127rocblas_gemm_batched_kernelIiLi16ELi16ELi32ELi32ELi8ELi32ELi8ELi8ELi32ELc84ELc84EKPKaKPKiKPiEEvlllT_PT11_llSB_llS9_PT12_llPT13_lli.has_dyn_sized_stack, 0
	.set _ZN12_GLOBAL__N_127rocblas_gemm_batched_kernelIiLi16ELi16ELi32ELi32ELi8ELi32ELi8ELi8ELi32ELc84ELc84EKPKaKPKiKPiEEvlllT_PT11_llSB_llS9_PT12_llPT13_lli.has_recursion, 0
	.set _ZN12_GLOBAL__N_127rocblas_gemm_batched_kernelIiLi16ELi16ELi32ELi32ELi8ELi32ELi8ELi8ELi32ELc84ELc84EKPKaKPKiKPiEEvlllT_PT11_llSB_llS9_PT12_llPT13_lli.has_indirect_call, 0
	.section	.AMDGPU.csdata,"",@progbits
; Kernel info:
; codeLenInByte = 1496
; TotalNumSgprs: 40
; NumVgprs: 46
; ScratchSize: 0
; MemoryBound: 0
; FloatMode: 240
; IeeeMode: 1
; LDSByteSize: 2048 bytes/workgroup (compile time only)
; SGPRBlocks: 0
; VGPRBlocks: 2
; NumSGPRsForWavesPerEU: 40
; NumVGPRsForWavesPerEU: 46
; NamedBarCnt: 0
; Occupancy: 16
; WaveLimiterHint : 1
; COMPUTE_PGM_RSRC2:SCRATCH_EN: 0
; COMPUTE_PGM_RSRC2:USER_SGPR: 2
; COMPUTE_PGM_RSRC2:TRAP_HANDLER: 0
; COMPUTE_PGM_RSRC2:TGID_X_EN: 1
; COMPUTE_PGM_RSRC2:TGID_Y_EN: 1
; COMPUTE_PGM_RSRC2:TGID_Z_EN: 1
; COMPUTE_PGM_RSRC2:TIDIG_COMP_CNT: 1
	.section	.text._ZN12_GLOBAL__N_127rocblas_gemm_batched_kernelIiLi16ELi16ELi32ELi32ELi8ELi32ELi8ELi8ELi32ELc67ELc67EKPKaKPKiKPiEEvlllT_PT11_llSB_llS9_PT12_llPT13_lli,"axG",@progbits,_ZN12_GLOBAL__N_127rocblas_gemm_batched_kernelIiLi16ELi16ELi32ELi32ELi8ELi32ELi8ELi8ELi32ELc67ELc67EKPKaKPKiKPiEEvlllT_PT11_llSB_llS9_PT12_llPT13_lli,comdat
	.globl	_ZN12_GLOBAL__N_127rocblas_gemm_batched_kernelIiLi16ELi16ELi32ELi32ELi8ELi32ELi8ELi8ELi32ELc67ELc67EKPKaKPKiKPiEEvlllT_PT11_llSB_llS9_PT12_llPT13_lli ; -- Begin function _ZN12_GLOBAL__N_127rocblas_gemm_batched_kernelIiLi16ELi16ELi32ELi32ELi8ELi32ELi8ELi8ELi32ELc67ELc67EKPKaKPKiKPiEEvlllT_PT11_llSB_llS9_PT12_llPT13_lli
	.p2align	8
	.type	_ZN12_GLOBAL__N_127rocblas_gemm_batched_kernelIiLi16ELi16ELi32ELi32ELi8ELi32ELi8ELi8ELi32ELc67ELc67EKPKaKPKiKPiEEvlllT_PT11_llSB_llS9_PT12_llPT13_lli,@function
_ZN12_GLOBAL__N_127rocblas_gemm_batched_kernelIiLi16ELi16ELi32ELi32ELi8ELi32ELi8ELi8ELi32ELc67ELc67EKPKaKPKiKPiEEvlllT_PT11_llSB_llS9_PT12_llPT13_lli: ; @_ZN12_GLOBAL__N_127rocblas_gemm_batched_kernelIiLi16ELi16ELi32ELi32ELi8ELi32ELi8ELi8ELi32ELc67ELc67EKPKaKPKiKPiEEvlllT_PT11_llSB_llS9_PT12_llPT13_lli
; %bb.0:
	s_load_b32 s31, s[0:1], 0x88
	s_bfe_u32 s2, ttmp6, 0x40014
	s_lshr_b32 s3, ttmp7, 16
	s_add_co_i32 s2, s2, 1
	s_bfe_u32 s4, ttmp6, 0x40008
	s_mul_i32 s2, s3, s2
	s_getreg_b32 s28, hwreg(HW_REG_IB_STS2, 6, 4)
	s_add_co_i32 s4, s4, s2
	s_cmp_eq_u32 s28, 0
	s_cselect_b32 s2, s3, s4
	s_mov_b32 s3, 0
	s_wait_kmcnt 0x0
	s_cmp_ge_i32 s2, s31
	s_cbranch_scc1 .LBB208_10
; %bb.1:
	s_load_b256 s[4:11], s[0:1], 0x20
	v_bfe_u32 v6, v0, 10, 10
	v_and_b32_e32 v8, 0x3ff, v0
	s_clause 0x2
	s_load_b128 s[24:27], s[0:1], 0x40
	s_load_b128 s[20:23], s[0:1], 0x78
	s_load_b256 s[12:19], s[0:1], 0x58
	s_bfe_u32 s29, ttmp6, 0x4000c
	s_bfe_u32 s33, ttmp6, 0x40010
	s_add_co_i32 s29, s29, 1
	s_and_b32 s34, ttmp7, 0xffff
	s_add_co_i32 s33, s33, 1
	v_lshl_add_u32 v1, v6, 4, v8
	v_mov_b32_e32 v7, 0
	s_and_b32 s30, ttmp6, 15
	s_mul_i32 s29, ttmp9, s29
	s_mul_i32 s33, s34, s33
	s_bfe_u32 s35, ttmp6, 0x40004
	s_add_co_i32 s30, s30, s29
	s_add_co_i32 s35, s35, s33
	s_cmp_eq_u32 s28, 0
	v_dual_mov_b32 v11, v7 :: v_dual_bitop2_b32 v9, 31, v1 bitop3:0x40
	v_lshrrev_b32_e32 v10, 5, v1
	s_cselect_b32 s28, ttmp9, s30
	s_cselect_b32 s30, s34, s35
	s_ashr_i32 s29, s28, 31
	v_dual_mov_b32 v13, v7 :: v_dual_lshrrev_b32 v12, 3, v1
	s_lshl_b32 s36, s30, 5
	s_mov_b32 s37, s3
	s_lshl_b64 s[34:35], s[28:29], 5
	s_wait_kmcnt 0x0
	v_add_nc_u64_e32 v[2:3], s[8:9], v[10:11]
	v_add_nc_u64_e32 v[4:5], s[36:37], v[6:7]
	v_dual_lshlrev_b32 v17, 2, v9 :: v_dual_bitop2_b32 v11, s34, v9 bitop3:0x54
	s_load_b96 s[28:30], s[0:1], 0x10
	v_add_nc_u64_e32 v[14:15], s[26:27], v[12:13]
	v_dual_mov_b32 v9, v7 :: v_dual_bitop2_b32 v13, 7, v0 bitop3:0x40
	s_delay_alu instid0(VALU_DEP_3)
	v_mad_nc_u64_u32 v[0:1], s6, v11, v[2:3]
	v_mul_u64_e32 v[2:3], s[14:15], v[4:5]
	v_mul_u64_e32 v[4:5], s[20:21], v[4:5]
	s_load_b32 s33, s[0:1], 0x50
	v_mad_nc_u64_u32 v[14:15], s24, v13, v[14:15]
	v_dual_lshlrev_b32 v16, 2, v13 :: v_dual_lshlrev_b32 v20, 2, v8
	v_add_nc_u64_e32 v[8:9], s[34:35], v[8:9]
	v_lshl_or_b32 v18, v10, 7, v17
	v_lshl_add_u32 v21, v6, 5, 0x400
	s_delay_alu instid0(VALU_DEP_4)
	v_lshl_or_b32 v12, v12, 5, v16
	v_mad_u32 v1, s7, v11, v1
	s_lshl_b64 s[8:9], s[24:25], 3
	v_lshlrev_b64_e32 v[8:9], 2, v[8:9]
	v_mad_u32 v15, s25, v13, v15
	s_wait_kmcnt 0x0
	v_cmp_gt_i64_e64 s0, s[28:29], 0
	v_add_nc_u32_e32 v19, 0x400, v12
	v_mad_u32 v1, s6, s35, v1
	s_delay_alu instid0(VALU_DEP_3) | instskip(SKIP_3) | instid1(VALU_DEP_2)
	v_cndmask_b32_e64 v10, 0, 1, s0
	s_cmp_lg_u32 s33, 0
	v_add_nc_u64_e32 v[6:7], s[36:37], v[14:15]
	s_cselect_b32 s1, -1, 0
	v_cmp_ne_u32_e64 s0, 1, v10
	s_lshl_b64 s[6:7], s[14:15], 4
	s_lshl_b64 s[14:15], s[20:21], 4
	;; [unrolled: 1-line block ×4, first 2 shown]
	s_branch .LBB208_3
.LBB208_2:                              ;   in Loop: Header=BB208_3 Depth=1
	s_add_co_i32 s2, s2, 0x10000
	s_delay_alu instid0(SALU_CYCLE_1)
	s_cmp_lt_i32 s2, s31
	s_cbranch_scc0 .LBB208_10
.LBB208_3:                              ; =>This Loop Header: Depth=1
                                        ;     Child Loop BB208_5 Depth 2
	s_wait_xcnt 0x0
	v_dual_mov_b32 v14, s2 :: v_dual_mov_b32 v24, 0
	v_dual_mov_b32 v23, 0 :: v_dual_mov_b32 v25, 0
	v_mov_b32_e32 v22, 0
	s_clause 0x1
	global_load_b64 v[10:11], v14, s[12:13] scale_offset
	global_load_b64 v[12:13], v14, s[18:19] scale_offset
	s_and_b32 vcc_lo, exec_lo, s0
	s_cbranch_vccnz .LBB208_6
; %bb.4:                                ;   in Loop: Header=BB208_3 Depth=1
	v_dual_mov_b32 v22, 0 :: v_dual_mov_b32 v25, 0
	s_lshl_b64 s[22:23], s[2:3], 3
	v_dual_mov_b32 v23, 0 :: v_dual_mov_b32 v24, 0
	s_add_nc_u64 s[24:25], s[10:11], s[22:23]
	s_add_nc_u64 s[22:23], s[4:5], s[22:23]
	s_clause 0x1
	global_load_b64 v[14:15], v22, s[24:25]
	global_load_b64 v[16:17], v22, s[22:23]
	s_wait_xcnt 0x0
	s_mov_b64 s[22:23], 0
	s_wait_loadcnt 0x1
	v_add_nc_u64_e32 v[14:15], v[14:15], v[6:7]
	s_wait_loadcnt 0x0
	v_add_nc_u64_e32 v[16:17], v[16:17], v[0:1]
.LBB208_5:                              ;   Parent Loop BB208_3 Depth=1
                                        ; =>  This Inner Loop Header: Depth=2
	s_delay_alu instid0(VALU_DEP_1) | instskip(SKIP_1) | instid1(SALU_CYCLE_1)
	v_add_nc_u64_e32 v[26:27], s[22:23], v[16:17]
	s_add_nc_u64 s[22:23], s[22:23], 8
	v_cmp_lt_i64_e64 s24, s[22:23], s[28:29]
	flat_load_i8 v26, v[26:27]
	s_and_b32 vcc_lo, exec_lo, s24
	s_wait_loadcnt_dscnt 0x0
	ds_store_b32 v18, v26
	flat_load_i8 v26, v[14:15]
	s_wait_xcnt 0x0
	v_add_nc_u64_e32 v[14:15], s[8:9], v[14:15]
	s_wait_loadcnt_dscnt 0x0
	ds_store_b32 v19, v26
	s_wait_dscnt 0x0
	s_barrier_signal -1
	s_barrier_wait -1
	ds_load_2addr_b32 v[42:43], v20 offset1:16
	ds_load_b128 v[26:29], v21
	ds_load_b128 v[30:33], v21 offset:512
	ds_load_2addr_b32 v[44:45], v20 offset0:32 offset1:48
	ds_load_b128 v[34:37], v21 offset:16
	ds_load_b128 v[38:41], v21 offset:528
	s_wait_dscnt 0x4
	v_mad_u32 v25, v26, v42, v25
	s_wait_dscnt 0x3
	v_mad_u32 v42, v30, v42, v23
	v_mad_u32 v24, v26, v43, v24
	v_mad_u32 v26, v30, v43, v22
	ds_load_2addr_b32 v[22:23], v20 offset0:64 offset1:80
	s_wait_dscnt 0x3
	v_mad_u32 v30, v27, v44, v25
	v_mad_u32 v42, v31, v44, v42
	v_mad_u32 v27, v27, v45, v24
	v_mad_u32 v26, v31, v45, v26
	ds_load_2addr_b32 v[24:25], v20 offset0:96 offset1:112
	s_wait_dscnt 0x1
	v_mad_u32 v30, v28, v22, v30
	;; [unrolled: 6-line block ×5, first 2 shown]
	v_mad_u32 v24, v39, v24, v29
	v_mad_u32 v29, v35, v25, v27
	;; [unrolled: 1-line block ×3, first 2 shown]
	ds_load_2addr_b32 v[26:27], v20 offset0:224 offset1:240
	s_wait_dscnt 0x0
	s_barrier_signal -1
	s_barrier_wait -1
	v_mad_u32 v28, v36, v22, v28
	v_mad_u32 v22, v40, v22, v24
	;; [unrolled: 1-line block ×4, first 2 shown]
	s_delay_alu instid0(VALU_DEP_4) | instskip(NEXT) | instid1(VALU_DEP_4)
	v_mad_u32 v25, v37, v26, v28
	v_mad_u32 v23, v41, v26, v22
	s_delay_alu instid0(VALU_DEP_4) | instskip(NEXT) | instid1(VALU_DEP_4)
	v_mad_u32 v24, v37, v27, v24
	v_mad_u32 v22, v41, v27, v29
	s_cbranch_vccnz .LBB208_5
.LBB208_6:                              ;   in Loop: Header=BB208_3 Depth=1
	s_wait_loadcnt 0x0
	v_add_nc_u64_e32 v[12:13], s[20:21], v[12:13]
	v_mul_lo_u32 v16, v25, s30
	s_delay_alu instid0(VALU_DEP_4)
	v_mul_lo_u32 v17, v24, s30
	v_mul_lo_u32 v23, v23, s30
	;; [unrolled: 1-line block ×3, first 2 shown]
	s_and_not1_b32 vcc_lo, exec_lo, s1
	s_wait_xcnt 0x0
	v_lshl_add_u64 v[14:15], v[4:5], 2, v[12:13]
	s_delay_alu instid0(VALU_DEP_1)
	v_add_nc_u64_e32 v[12:13], v[14:15], v[8:9]
	v_lshl_add_u64 v[14:15], s[14:15], 2, v[14:15]
	s_cbranch_vccnz .LBB208_8
; %bb.7:                                ;   in Loop: Header=BB208_3 Depth=1
	v_add_nc_u64_e32 v[10:11], s[16:17], v[10:11]
	s_delay_alu instid0(VALU_DEP_1) | instskip(NEXT) | instid1(VALU_DEP_1)
	v_lshl_add_u64 v[10:11], v[2:3], 2, v[10:11]
	v_add_nc_u64_e32 v[24:25], v[10:11], v[8:9]
	v_lshl_add_u64 v[10:11], s[6:7], 2, v[10:11]
	s_delay_alu instid0(VALU_DEP_1)
	v_add_nc_u64_e32 v[10:11], v[10:11], v[8:9]
	flat_load_b32 v26, v[24:25]
	s_wait_loadcnt_dscnt 0x0
	v_mad_u32 v26, v26, s33, v16
	flat_store_b32 v[12:13], v26
	flat_load_b32 v24, v[24:25] offset:64
	s_wait_loadcnt_dscnt 0x0
	s_wait_xcnt 0x0
	v_mad_u32 v24, v24, s33, v17
	flat_store_b32 v[12:13], v24 offset:64
	flat_load_b32 v24, v[10:11]
	s_wait_loadcnt_dscnt 0x0
	v_mad_u32 v26, v24, s33, v23
	v_add_nc_u64_e32 v[24:25], v[14:15], v[8:9]
	flat_store_b32 v[24:25], v26
	flat_load_b32 v10, v[10:11] offset:64
	s_wait_loadcnt_dscnt 0x0
	s_wait_xcnt 0x0
	v_mad_u32 v10, v10, s33, v22
	flat_store_b32 v[24:25], v10 offset:64
	s_cbranch_execnz .LBB208_2
	s_branch .LBB208_9
.LBB208_8:                              ;   in Loop: Header=BB208_3 Depth=1
.LBB208_9:                              ;   in Loop: Header=BB208_3 Depth=1
	s_wait_xcnt 0x0
	s_delay_alu instid0(VALU_DEP_1)
	v_add_nc_u64_e32 v[10:11], v[14:15], v[8:9]
	s_clause 0x3
	flat_store_b32 v[12:13], v16
	flat_store_b32 v[12:13], v17 offset:64
	flat_store_b32 v[10:11], v23
	flat_store_b32 v[10:11], v22 offset:64
	s_branch .LBB208_2
.LBB208_10:
	s_endpgm
	.section	.rodata,"a",@progbits
	.p2align	6, 0x0
	.amdhsa_kernel _ZN12_GLOBAL__N_127rocblas_gemm_batched_kernelIiLi16ELi16ELi32ELi32ELi8ELi32ELi8ELi8ELi32ELc67ELc67EKPKaKPKiKPiEEvlllT_PT11_llSB_llS9_PT12_llPT13_lli
		.amdhsa_group_segment_fixed_size 2048
		.amdhsa_private_segment_fixed_size 0
		.amdhsa_kernarg_size 140
		.amdhsa_user_sgpr_count 2
		.amdhsa_user_sgpr_dispatch_ptr 0
		.amdhsa_user_sgpr_queue_ptr 0
		.amdhsa_user_sgpr_kernarg_segment_ptr 1
		.amdhsa_user_sgpr_dispatch_id 0
		.amdhsa_user_sgpr_kernarg_preload_length 0
		.amdhsa_user_sgpr_kernarg_preload_offset 0
		.amdhsa_user_sgpr_private_segment_size 0
		.amdhsa_wavefront_size32 1
		.amdhsa_uses_dynamic_stack 0
		.amdhsa_enable_private_segment 0
		.amdhsa_system_sgpr_workgroup_id_x 1
		.amdhsa_system_sgpr_workgroup_id_y 1
		.amdhsa_system_sgpr_workgroup_id_z 1
		.amdhsa_system_sgpr_workgroup_info 0
		.amdhsa_system_vgpr_workitem_id 1
		.amdhsa_next_free_vgpr 46
		.amdhsa_next_free_sgpr 38
		.amdhsa_named_barrier_count 0
		.amdhsa_reserve_vcc 1
		.amdhsa_float_round_mode_32 0
		.amdhsa_float_round_mode_16_64 0
		.amdhsa_float_denorm_mode_32 3
		.amdhsa_float_denorm_mode_16_64 3
		.amdhsa_fp16_overflow 0
		.amdhsa_memory_ordered 1
		.amdhsa_forward_progress 1
		.amdhsa_inst_pref_size 12
		.amdhsa_round_robin_scheduling 0
		.amdhsa_exception_fp_ieee_invalid_op 0
		.amdhsa_exception_fp_denorm_src 0
		.amdhsa_exception_fp_ieee_div_zero 0
		.amdhsa_exception_fp_ieee_overflow 0
		.amdhsa_exception_fp_ieee_underflow 0
		.amdhsa_exception_fp_ieee_inexact 0
		.amdhsa_exception_int_div_zero 0
	.end_amdhsa_kernel
	.section	.text._ZN12_GLOBAL__N_127rocblas_gemm_batched_kernelIiLi16ELi16ELi32ELi32ELi8ELi32ELi8ELi8ELi32ELc67ELc67EKPKaKPKiKPiEEvlllT_PT11_llSB_llS9_PT12_llPT13_lli,"axG",@progbits,_ZN12_GLOBAL__N_127rocblas_gemm_batched_kernelIiLi16ELi16ELi32ELi32ELi8ELi32ELi8ELi8ELi32ELc67ELc67EKPKaKPKiKPiEEvlllT_PT11_llSB_llS9_PT12_llPT13_lli,comdat
.Lfunc_end208:
	.size	_ZN12_GLOBAL__N_127rocblas_gemm_batched_kernelIiLi16ELi16ELi32ELi32ELi8ELi32ELi8ELi8ELi32ELc67ELc67EKPKaKPKiKPiEEvlllT_PT11_llSB_llS9_PT12_llPT13_lli, .Lfunc_end208-_ZN12_GLOBAL__N_127rocblas_gemm_batched_kernelIiLi16ELi16ELi32ELi32ELi8ELi32ELi8ELi8ELi32ELc67ELc67EKPKaKPKiKPiEEvlllT_PT11_llSB_llS9_PT12_llPT13_lli
                                        ; -- End function
	.set _ZN12_GLOBAL__N_127rocblas_gemm_batched_kernelIiLi16ELi16ELi32ELi32ELi8ELi32ELi8ELi8ELi32ELc67ELc67EKPKaKPKiKPiEEvlllT_PT11_llSB_llS9_PT12_llPT13_lli.num_vgpr, 46
	.set _ZN12_GLOBAL__N_127rocblas_gemm_batched_kernelIiLi16ELi16ELi32ELi32ELi8ELi32ELi8ELi8ELi32ELc67ELc67EKPKaKPKiKPiEEvlllT_PT11_llSB_llS9_PT12_llPT13_lli.num_agpr, 0
	.set _ZN12_GLOBAL__N_127rocblas_gemm_batched_kernelIiLi16ELi16ELi32ELi32ELi8ELi32ELi8ELi8ELi32ELc67ELc67EKPKaKPKiKPiEEvlllT_PT11_llSB_llS9_PT12_llPT13_lli.numbered_sgpr, 38
	.set _ZN12_GLOBAL__N_127rocblas_gemm_batched_kernelIiLi16ELi16ELi32ELi32ELi8ELi32ELi8ELi8ELi32ELc67ELc67EKPKaKPKiKPiEEvlllT_PT11_llSB_llS9_PT12_llPT13_lli.num_named_barrier, 0
	.set _ZN12_GLOBAL__N_127rocblas_gemm_batched_kernelIiLi16ELi16ELi32ELi32ELi8ELi32ELi8ELi8ELi32ELc67ELc67EKPKaKPKiKPiEEvlllT_PT11_llSB_llS9_PT12_llPT13_lli.private_seg_size, 0
	.set _ZN12_GLOBAL__N_127rocblas_gemm_batched_kernelIiLi16ELi16ELi32ELi32ELi8ELi32ELi8ELi8ELi32ELc67ELc67EKPKaKPKiKPiEEvlllT_PT11_llSB_llS9_PT12_llPT13_lli.uses_vcc, 1
	.set _ZN12_GLOBAL__N_127rocblas_gemm_batched_kernelIiLi16ELi16ELi32ELi32ELi8ELi32ELi8ELi8ELi32ELc67ELc67EKPKaKPKiKPiEEvlllT_PT11_llSB_llS9_PT12_llPT13_lli.uses_flat_scratch, 1
	.set _ZN12_GLOBAL__N_127rocblas_gemm_batched_kernelIiLi16ELi16ELi32ELi32ELi8ELi32ELi8ELi8ELi32ELc67ELc67EKPKaKPKiKPiEEvlllT_PT11_llSB_llS9_PT12_llPT13_lli.has_dyn_sized_stack, 0
	.set _ZN12_GLOBAL__N_127rocblas_gemm_batched_kernelIiLi16ELi16ELi32ELi32ELi8ELi32ELi8ELi8ELi32ELc67ELc67EKPKaKPKiKPiEEvlllT_PT11_llSB_llS9_PT12_llPT13_lli.has_recursion, 0
	.set _ZN12_GLOBAL__N_127rocblas_gemm_batched_kernelIiLi16ELi16ELi32ELi32ELi8ELi32ELi8ELi8ELi32ELc67ELc67EKPKaKPKiKPiEEvlllT_PT11_llSB_llS9_PT12_llPT13_lli.has_indirect_call, 0
	.section	.AMDGPU.csdata,"",@progbits
; Kernel info:
; codeLenInByte = 1496
; TotalNumSgprs: 40
; NumVgprs: 46
; ScratchSize: 0
; MemoryBound: 0
; FloatMode: 240
; IeeeMode: 1
; LDSByteSize: 2048 bytes/workgroup (compile time only)
; SGPRBlocks: 0
; VGPRBlocks: 2
; NumSGPRsForWavesPerEU: 40
; NumVGPRsForWavesPerEU: 46
; NamedBarCnt: 0
; Occupancy: 16
; WaveLimiterHint : 1
; COMPUTE_PGM_RSRC2:SCRATCH_EN: 0
; COMPUTE_PGM_RSRC2:USER_SGPR: 2
; COMPUTE_PGM_RSRC2:TRAP_HANDLER: 0
; COMPUTE_PGM_RSRC2:TGID_X_EN: 1
; COMPUTE_PGM_RSRC2:TGID_Y_EN: 1
; COMPUTE_PGM_RSRC2:TGID_Z_EN: 1
; COMPUTE_PGM_RSRC2:TIDIG_COMP_CNT: 1
	.section	.text._ZN12_GLOBAL__N_127rocblas_gemm_batched_kernelIiLi16ELi16ELi32ELi32ELi8ELi32ELi8ELi8ELi32ELc67ELc78EKPKaKPKiKPiEEvlllT_PT11_llSB_llS9_PT12_llPT13_lli,"axG",@progbits,_ZN12_GLOBAL__N_127rocblas_gemm_batched_kernelIiLi16ELi16ELi32ELi32ELi8ELi32ELi8ELi8ELi32ELc67ELc78EKPKaKPKiKPiEEvlllT_PT11_llSB_llS9_PT12_llPT13_lli,comdat
	.globl	_ZN12_GLOBAL__N_127rocblas_gemm_batched_kernelIiLi16ELi16ELi32ELi32ELi8ELi32ELi8ELi8ELi32ELc67ELc78EKPKaKPKiKPiEEvlllT_PT11_llSB_llS9_PT12_llPT13_lli ; -- Begin function _ZN12_GLOBAL__N_127rocblas_gemm_batched_kernelIiLi16ELi16ELi32ELi32ELi8ELi32ELi8ELi8ELi32ELc67ELc78EKPKaKPKiKPiEEvlllT_PT11_llSB_llS9_PT12_llPT13_lli
	.p2align	8
	.type	_ZN12_GLOBAL__N_127rocblas_gemm_batched_kernelIiLi16ELi16ELi32ELi32ELi8ELi32ELi8ELi8ELi32ELc67ELc78EKPKaKPKiKPiEEvlllT_PT11_llSB_llS9_PT12_llPT13_lli,@function
_ZN12_GLOBAL__N_127rocblas_gemm_batched_kernelIiLi16ELi16ELi32ELi32ELi8ELi32ELi8ELi8ELi32ELc67ELc78EKPKaKPKiKPiEEvlllT_PT11_llSB_llS9_PT12_llPT13_lli: ; @_ZN12_GLOBAL__N_127rocblas_gemm_batched_kernelIiLi16ELi16ELi32ELi32ELi8ELi32ELi8ELi8ELi32ELc67ELc78EKPKaKPKiKPiEEvlllT_PT11_llSB_llS9_PT12_llPT13_lli
; %bb.0:
	s_load_b32 s31, s[0:1], 0x88
	s_bfe_u32 s2, ttmp6, 0x40014
	s_lshr_b32 s3, ttmp7, 16
	s_add_co_i32 s2, s2, 1
	s_bfe_u32 s4, ttmp6, 0x40008
	s_mul_i32 s2, s3, s2
	s_getreg_b32 s28, hwreg(HW_REG_IB_STS2, 6, 4)
	s_add_co_i32 s4, s4, s2
	s_cmp_eq_u32 s28, 0
	s_cselect_b32 s2, s3, s4
	s_mov_b32 s3, 0
	s_wait_kmcnt 0x0
	s_cmp_ge_i32 s2, s31
	s_cbranch_scc1 .LBB209_10
; %bb.1:
	v_bfe_u32 v6, v0, 10, 10
	v_and_b32_e32 v8, 0x3ff, v0
	s_bfe_u32 s30, ttmp6, 0x4000c
	s_bfe_u32 s33, ttmp6, 0x40010
	s_clause 0x2
	s_load_b256 s[4:11], s[0:1], 0x20
	s_load_b128 s[24:27], s[0:1], 0x40
	s_load_b128 s[20:23], s[0:1], 0x78
	s_add_co_i32 s30, s30, 1
	s_and_b32 s34, ttmp7, 0xffff
	s_add_co_i32 s33, s33, 1
	v_lshl_add_u32 v1, v6, 4, v8
	v_mov_b32_e32 v7, 0
	s_and_b32 s29, ttmp6, 15
	s_mul_i32 s30, ttmp9, s30
	s_mul_i32 s33, s34, s33
	s_bfe_u32 s35, ttmp6, 0x40004
	s_add_co_i32 s29, s29, s30
	s_add_co_i32 s35, s35, s33
	s_cmp_eq_u32 s28, 0
	s_load_b256 s[12:19], s[0:1], 0x58
	v_dual_mov_b32 v11, v7 :: v_dual_lshrrev_b32 v10, 3, v1
	v_lshrrev_b32_e32 v14, 5, v1
	s_cselect_b32 s30, s34, s35
	s_cselect_b32 s28, ttmp9, s29
	s_lshl_b32 s34, s30, 5
	s_mov_b32 s35, s3
	v_dual_mov_b32 v15, v7 :: v_dual_bitop2_b32 v9, 31, v1 bitop3:0x40
	v_add_nc_u64_e32 v[12:13], s[34:35], v[10:11]
	s_ashr_i32 s29, s28, 31
	v_add_nc_u64_e32 v[4:5], s[34:35], v[6:7]
	s_lshl_b64 s[36:37], s[28:29], 5
	s_wait_kmcnt 0x0
	v_add_nc_u64_e32 v[2:3], s[8:9], v[14:15]
	v_dual_lshlrev_b32 v18, 2, v9 :: v_dual_bitop2_b32 v22, 7, v0 bitop3:0x40
	v_mad_nc_u64_u32 v[16:17], s24, v12, s[26:27]
	v_or_b32_e32 v11, s36, v9
	s_clause 0x1
	s_load_b32 s33, s[0:1], 0x50
	s_load_b96 s[28:30], s[0:1], 0x10
	v_dual_lshlrev_b32 v15, 2, v22 :: v_dual_mov_b32 v9, v7
	v_mov_b32_e32 v23, v7
	v_mad_nc_u64_u32 v[0:1], s6, v11, v[2:3]
	v_mul_u64_e32 v[2:3], s[14:15], v[4:5]
	v_mul_u64_e32 v[4:5], s[20:21], v[4:5]
	v_lshl_or_b32 v10, v10, 5, v15
	v_mad_u32 v12, s25, v12, v17
	v_lshlrev_b32_e32 v20, 2, v8
	v_add_nc_u64_e32 v[8:9], s[36:37], v[8:9]
	v_lshl_add_u32 v21, v6, 5, 0x400
	v_add_nc_u32_e32 v19, 0x400, v10
	v_lshl_or_b32 v18, v14, 7, v18
	v_mad_u32 v1, s7, v11, v1
	v_lshlrev_b64_e32 v[8:9], 2, v[8:9]
	v_mad_u32 v17, s24, v13, v12
	s_wait_kmcnt 0x0
	v_cmp_gt_i64_e64 s0, s[28:29], 0
	s_cmp_lg_u32 s33, 0
	s_cselect_b32 s1, -1, 0
	s_lshl_b64 s[8:9], s[20:21], 4
	s_lshl_b64 s[16:17], s[16:17], 2
	v_mad_u32 v1, s6, s37, v1
	v_cndmask_b32_e64 v10, 0, 1, s0
	s_lshl_b64 s[6:7], s[14:15], 4
	s_lshl_b64 s[14:15], s[22:23], 2
	v_add_nc_u64_e32 v[6:7], v[16:17], v[22:23]
	s_delay_alu instid0(VALU_DEP_2)
	v_cmp_ne_u32_e64 s0, 1, v10
	s_branch .LBB209_3
.LBB209_2:                              ;   in Loop: Header=BB209_3 Depth=1
	s_add_co_i32 s2, s2, 0x10000
	s_delay_alu instid0(SALU_CYCLE_1)
	s_cmp_lt_i32 s2, s31
	s_cbranch_scc0 .LBB209_10
.LBB209_3:                              ; =>This Loop Header: Depth=1
                                        ;     Child Loop BB209_5 Depth 2
	s_wait_xcnt 0x0
	v_dual_mov_b32 v14, s2 :: v_dual_mov_b32 v24, 0
	v_dual_mov_b32 v23, 0 :: v_dual_mov_b32 v25, 0
	v_mov_b32_e32 v22, 0
	s_clause 0x1
	global_load_b64 v[10:11], v14, s[12:13] scale_offset
	global_load_b64 v[12:13], v14, s[18:19] scale_offset
	s_and_b32 vcc_lo, exec_lo, s0
	s_cbranch_vccnz .LBB209_6
; %bb.4:                                ;   in Loop: Header=BB209_3 Depth=1
	v_dual_mov_b32 v22, 0 :: v_dual_mov_b32 v25, 0
	s_lshl_b64 s[20:21], s[2:3], 3
	v_dual_mov_b32 v23, 0 :: v_dual_mov_b32 v24, 0
	s_add_nc_u64 s[22:23], s[10:11], s[20:21]
	s_add_nc_u64 s[20:21], s[4:5], s[20:21]
	s_clause 0x1
	global_load_b64 v[14:15], v22, s[22:23]
	global_load_b64 v[16:17], v22, s[20:21]
	s_wait_xcnt 0x0
	s_mov_b64 s[20:21], 0
	s_wait_loadcnt 0x1
	v_add_nc_u64_e32 v[14:15], v[14:15], v[6:7]
	s_wait_loadcnt 0x0
	v_add_nc_u64_e32 v[16:17], v[16:17], v[0:1]
.LBB209_5:                              ;   Parent Loop BB209_3 Depth=1
                                        ; =>  This Inner Loop Header: Depth=2
	s_delay_alu instid0(VALU_DEP_1) | instskip(SKIP_4) | instid1(SALU_CYCLE_1)
	v_add_nc_u64_e32 v[26:27], s[20:21], v[16:17]
	flat_load_i8 v28, v[26:27]
	s_wait_xcnt 0x0
	v_add_nc_u64_e32 v[26:27], s[20:21], v[14:15]
	s_add_nc_u64 s[20:21], s[20:21], 8
	v_cmp_lt_i64_e64 s22, s[20:21], s[28:29]
	s_and_b32 vcc_lo, exec_lo, s22
	s_wait_loadcnt_dscnt 0x0
	ds_store_b32 v18, v28
	flat_load_i8 v26, v[26:27]
	s_wait_loadcnt_dscnt 0x0
	ds_store_b32 v19, v26
	s_wait_dscnt 0x0
	s_barrier_signal -1
	s_barrier_wait -1
	ds_load_2addr_b32 v[42:43], v20 offset1:16
	s_wait_xcnt 0x0
	ds_load_b128 v[26:29], v21
	ds_load_b128 v[30:33], v21 offset:512
	ds_load_2addr_b32 v[44:45], v20 offset0:32 offset1:48
	ds_load_b128 v[34:37], v21 offset:16
	ds_load_b128 v[38:41], v21 offset:528
	s_wait_dscnt 0x4
	v_mad_u32 v25, v26, v42, v25
	s_wait_dscnt 0x3
	v_mad_u32 v42, v30, v42, v23
	v_mad_u32 v24, v26, v43, v24
	v_mad_u32 v26, v30, v43, v22
	ds_load_2addr_b32 v[22:23], v20 offset0:64 offset1:80
	s_wait_dscnt 0x3
	v_mad_u32 v30, v27, v44, v25
	v_mad_u32 v42, v31, v44, v42
	v_mad_u32 v27, v27, v45, v24
	v_mad_u32 v26, v31, v45, v26
	ds_load_2addr_b32 v[24:25], v20 offset0:96 offset1:112
	s_wait_dscnt 0x1
	v_mad_u32 v30, v28, v22, v30
	;; [unrolled: 6-line block ×5, first 2 shown]
	v_mad_u32 v24, v39, v24, v29
	v_mad_u32 v29, v35, v25, v27
	;; [unrolled: 1-line block ×3, first 2 shown]
	ds_load_2addr_b32 v[26:27], v20 offset0:224 offset1:240
	s_wait_dscnt 0x0
	s_barrier_signal -1
	s_barrier_wait -1
	v_mad_u32 v28, v36, v22, v28
	v_mad_u32 v22, v40, v22, v24
	;; [unrolled: 1-line block ×4, first 2 shown]
	s_delay_alu instid0(VALU_DEP_4) | instskip(NEXT) | instid1(VALU_DEP_4)
	v_mad_u32 v25, v37, v26, v28
	v_mad_u32 v23, v41, v26, v22
	s_delay_alu instid0(VALU_DEP_4) | instskip(NEXT) | instid1(VALU_DEP_4)
	v_mad_u32 v24, v37, v27, v24
	v_mad_u32 v22, v41, v27, v29
	s_cbranch_vccnz .LBB209_5
.LBB209_6:                              ;   in Loop: Header=BB209_3 Depth=1
	s_wait_loadcnt 0x0
	v_add_nc_u64_e32 v[12:13], s[14:15], v[12:13]
	v_mul_lo_u32 v16, v25, s30
	s_delay_alu instid0(VALU_DEP_4)
	v_mul_lo_u32 v17, v24, s30
	v_mul_lo_u32 v23, v23, s30
	;; [unrolled: 1-line block ×3, first 2 shown]
	s_and_not1_b32 vcc_lo, exec_lo, s1
	s_wait_xcnt 0x0
	v_lshl_add_u64 v[14:15], v[4:5], 2, v[12:13]
	s_delay_alu instid0(VALU_DEP_1)
	v_add_nc_u64_e32 v[12:13], v[14:15], v[8:9]
	v_lshl_add_u64 v[14:15], s[8:9], 2, v[14:15]
	s_cbranch_vccnz .LBB209_8
; %bb.7:                                ;   in Loop: Header=BB209_3 Depth=1
	v_add_nc_u64_e32 v[10:11], s[16:17], v[10:11]
	s_delay_alu instid0(VALU_DEP_1) | instskip(NEXT) | instid1(VALU_DEP_1)
	v_lshl_add_u64 v[10:11], v[2:3], 2, v[10:11]
	v_add_nc_u64_e32 v[24:25], v[10:11], v[8:9]
	v_lshl_add_u64 v[10:11], s[6:7], 2, v[10:11]
	s_delay_alu instid0(VALU_DEP_1)
	v_add_nc_u64_e32 v[10:11], v[10:11], v[8:9]
	flat_load_b32 v26, v[24:25]
	s_wait_loadcnt_dscnt 0x0
	v_mad_u32 v26, v26, s33, v16
	flat_store_b32 v[12:13], v26
	flat_load_b32 v24, v[24:25] offset:64
	s_wait_loadcnt_dscnt 0x0
	s_wait_xcnt 0x0
	v_mad_u32 v24, v24, s33, v17
	flat_store_b32 v[12:13], v24 offset:64
	flat_load_b32 v24, v[10:11]
	s_wait_loadcnt_dscnt 0x0
	v_mad_u32 v26, v24, s33, v23
	v_add_nc_u64_e32 v[24:25], v[14:15], v[8:9]
	flat_store_b32 v[24:25], v26
	flat_load_b32 v10, v[10:11] offset:64
	s_wait_loadcnt_dscnt 0x0
	s_wait_xcnt 0x0
	v_mad_u32 v10, v10, s33, v22
	flat_store_b32 v[24:25], v10 offset:64
	s_cbranch_execnz .LBB209_2
	s_branch .LBB209_9
.LBB209_8:                              ;   in Loop: Header=BB209_3 Depth=1
.LBB209_9:                              ;   in Loop: Header=BB209_3 Depth=1
	s_wait_xcnt 0x0
	s_delay_alu instid0(VALU_DEP_1)
	v_add_nc_u64_e32 v[10:11], v[14:15], v[8:9]
	s_clause 0x3
	flat_store_b32 v[12:13], v16
	flat_store_b32 v[12:13], v17 offset:64
	flat_store_b32 v[10:11], v23
	flat_store_b32 v[10:11], v22 offset:64
	s_branch .LBB209_2
.LBB209_10:
	s_endpgm
	.section	.rodata,"a",@progbits
	.p2align	6, 0x0
	.amdhsa_kernel _ZN12_GLOBAL__N_127rocblas_gemm_batched_kernelIiLi16ELi16ELi32ELi32ELi8ELi32ELi8ELi8ELi32ELc67ELc78EKPKaKPKiKPiEEvlllT_PT11_llSB_llS9_PT12_llPT13_lli
		.amdhsa_group_segment_fixed_size 2048
		.amdhsa_private_segment_fixed_size 0
		.amdhsa_kernarg_size 140
		.amdhsa_user_sgpr_count 2
		.amdhsa_user_sgpr_dispatch_ptr 0
		.amdhsa_user_sgpr_queue_ptr 0
		.amdhsa_user_sgpr_kernarg_segment_ptr 1
		.amdhsa_user_sgpr_dispatch_id 0
		.amdhsa_user_sgpr_kernarg_preload_length 0
		.amdhsa_user_sgpr_kernarg_preload_offset 0
		.amdhsa_user_sgpr_private_segment_size 0
		.amdhsa_wavefront_size32 1
		.amdhsa_uses_dynamic_stack 0
		.amdhsa_enable_private_segment 0
		.amdhsa_system_sgpr_workgroup_id_x 1
		.amdhsa_system_sgpr_workgroup_id_y 1
		.amdhsa_system_sgpr_workgroup_id_z 1
		.amdhsa_system_sgpr_workgroup_info 0
		.amdhsa_system_vgpr_workitem_id 1
		.amdhsa_next_free_vgpr 46
		.amdhsa_next_free_sgpr 38
		.amdhsa_named_barrier_count 0
		.amdhsa_reserve_vcc 1
		.amdhsa_float_round_mode_32 0
		.amdhsa_float_round_mode_16_64 0
		.amdhsa_float_denorm_mode_32 3
		.amdhsa_float_denorm_mode_16_64 3
		.amdhsa_fp16_overflow 0
		.amdhsa_memory_ordered 1
		.amdhsa_forward_progress 1
		.amdhsa_inst_pref_size 12
		.amdhsa_round_robin_scheduling 0
		.amdhsa_exception_fp_ieee_invalid_op 0
		.amdhsa_exception_fp_denorm_src 0
		.amdhsa_exception_fp_ieee_div_zero 0
		.amdhsa_exception_fp_ieee_overflow 0
		.amdhsa_exception_fp_ieee_underflow 0
		.amdhsa_exception_fp_ieee_inexact 0
		.amdhsa_exception_int_div_zero 0
	.end_amdhsa_kernel
	.section	.text._ZN12_GLOBAL__N_127rocblas_gemm_batched_kernelIiLi16ELi16ELi32ELi32ELi8ELi32ELi8ELi8ELi32ELc67ELc78EKPKaKPKiKPiEEvlllT_PT11_llSB_llS9_PT12_llPT13_lli,"axG",@progbits,_ZN12_GLOBAL__N_127rocblas_gemm_batched_kernelIiLi16ELi16ELi32ELi32ELi8ELi32ELi8ELi8ELi32ELc67ELc78EKPKaKPKiKPiEEvlllT_PT11_llSB_llS9_PT12_llPT13_lli,comdat
.Lfunc_end209:
	.size	_ZN12_GLOBAL__N_127rocblas_gemm_batched_kernelIiLi16ELi16ELi32ELi32ELi8ELi32ELi8ELi8ELi32ELc67ELc78EKPKaKPKiKPiEEvlllT_PT11_llSB_llS9_PT12_llPT13_lli, .Lfunc_end209-_ZN12_GLOBAL__N_127rocblas_gemm_batched_kernelIiLi16ELi16ELi32ELi32ELi8ELi32ELi8ELi8ELi32ELc67ELc78EKPKaKPKiKPiEEvlllT_PT11_llSB_llS9_PT12_llPT13_lli
                                        ; -- End function
	.set _ZN12_GLOBAL__N_127rocblas_gemm_batched_kernelIiLi16ELi16ELi32ELi32ELi8ELi32ELi8ELi8ELi32ELc67ELc78EKPKaKPKiKPiEEvlllT_PT11_llSB_llS9_PT12_llPT13_lli.num_vgpr, 46
	.set _ZN12_GLOBAL__N_127rocblas_gemm_batched_kernelIiLi16ELi16ELi32ELi32ELi8ELi32ELi8ELi8ELi32ELc67ELc78EKPKaKPKiKPiEEvlllT_PT11_llSB_llS9_PT12_llPT13_lli.num_agpr, 0
	.set _ZN12_GLOBAL__N_127rocblas_gemm_batched_kernelIiLi16ELi16ELi32ELi32ELi8ELi32ELi8ELi8ELi32ELc67ELc78EKPKaKPKiKPiEEvlllT_PT11_llSB_llS9_PT12_llPT13_lli.numbered_sgpr, 38
	.set _ZN12_GLOBAL__N_127rocblas_gemm_batched_kernelIiLi16ELi16ELi32ELi32ELi8ELi32ELi8ELi8ELi32ELc67ELc78EKPKaKPKiKPiEEvlllT_PT11_llSB_llS9_PT12_llPT13_lli.num_named_barrier, 0
	.set _ZN12_GLOBAL__N_127rocblas_gemm_batched_kernelIiLi16ELi16ELi32ELi32ELi8ELi32ELi8ELi8ELi32ELc67ELc78EKPKaKPKiKPiEEvlllT_PT11_llSB_llS9_PT12_llPT13_lli.private_seg_size, 0
	.set _ZN12_GLOBAL__N_127rocblas_gemm_batched_kernelIiLi16ELi16ELi32ELi32ELi8ELi32ELi8ELi8ELi32ELc67ELc78EKPKaKPKiKPiEEvlllT_PT11_llSB_llS9_PT12_llPT13_lli.uses_vcc, 1
	.set _ZN12_GLOBAL__N_127rocblas_gemm_batched_kernelIiLi16ELi16ELi32ELi32ELi8ELi32ELi8ELi8ELi32ELc67ELc78EKPKaKPKiKPiEEvlllT_PT11_llSB_llS9_PT12_llPT13_lli.uses_flat_scratch, 1
	.set _ZN12_GLOBAL__N_127rocblas_gemm_batched_kernelIiLi16ELi16ELi32ELi32ELi8ELi32ELi8ELi8ELi32ELc67ELc78EKPKaKPKiKPiEEvlllT_PT11_llSB_llS9_PT12_llPT13_lli.has_dyn_sized_stack, 0
	.set _ZN12_GLOBAL__N_127rocblas_gemm_batched_kernelIiLi16ELi16ELi32ELi32ELi8ELi32ELi8ELi8ELi32ELc67ELc78EKPKaKPKiKPiEEvlllT_PT11_llSB_llS9_PT12_llPT13_lli.has_recursion, 0
	.set _ZN12_GLOBAL__N_127rocblas_gemm_batched_kernelIiLi16ELi16ELi32ELi32ELi8ELi32ELi8ELi8ELi32ELc67ELc78EKPKaKPKiKPiEEvlllT_PT11_llSB_llS9_PT12_llPT13_lli.has_indirect_call, 0
	.section	.AMDGPU.csdata,"",@progbits
; Kernel info:
; codeLenInByte = 1500
; TotalNumSgprs: 40
; NumVgprs: 46
; ScratchSize: 0
; MemoryBound: 0
; FloatMode: 240
; IeeeMode: 1
; LDSByteSize: 2048 bytes/workgroup (compile time only)
; SGPRBlocks: 0
; VGPRBlocks: 2
; NumSGPRsForWavesPerEU: 40
; NumVGPRsForWavesPerEU: 46
; NamedBarCnt: 0
; Occupancy: 16
; WaveLimiterHint : 1
; COMPUTE_PGM_RSRC2:SCRATCH_EN: 0
; COMPUTE_PGM_RSRC2:USER_SGPR: 2
; COMPUTE_PGM_RSRC2:TRAP_HANDLER: 0
; COMPUTE_PGM_RSRC2:TGID_X_EN: 1
; COMPUTE_PGM_RSRC2:TGID_Y_EN: 1
; COMPUTE_PGM_RSRC2:TGID_Z_EN: 1
; COMPUTE_PGM_RSRC2:TIDIG_COMP_CNT: 1
	.section	.text._ZN12_GLOBAL__N_127rocblas_gemm_batched_kernelIiLi16ELi16ELi32ELi32ELi8ELi32ELi8ELi8ELi32ELc67ELc84EKPKaKPKiKPiEEvlllT_PT11_llSB_llS9_PT12_llPT13_lli,"axG",@progbits,_ZN12_GLOBAL__N_127rocblas_gemm_batched_kernelIiLi16ELi16ELi32ELi32ELi8ELi32ELi8ELi8ELi32ELc67ELc84EKPKaKPKiKPiEEvlllT_PT11_llSB_llS9_PT12_llPT13_lli,comdat
	.globl	_ZN12_GLOBAL__N_127rocblas_gemm_batched_kernelIiLi16ELi16ELi32ELi32ELi8ELi32ELi8ELi8ELi32ELc67ELc84EKPKaKPKiKPiEEvlllT_PT11_llSB_llS9_PT12_llPT13_lli ; -- Begin function _ZN12_GLOBAL__N_127rocblas_gemm_batched_kernelIiLi16ELi16ELi32ELi32ELi8ELi32ELi8ELi8ELi32ELc67ELc84EKPKaKPKiKPiEEvlllT_PT11_llSB_llS9_PT12_llPT13_lli
	.p2align	8
	.type	_ZN12_GLOBAL__N_127rocblas_gemm_batched_kernelIiLi16ELi16ELi32ELi32ELi8ELi32ELi8ELi8ELi32ELc67ELc84EKPKaKPKiKPiEEvlllT_PT11_llSB_llS9_PT12_llPT13_lli,@function
_ZN12_GLOBAL__N_127rocblas_gemm_batched_kernelIiLi16ELi16ELi32ELi32ELi8ELi32ELi8ELi8ELi32ELc67ELc84EKPKaKPKiKPiEEvlllT_PT11_llSB_llS9_PT12_llPT13_lli: ; @_ZN12_GLOBAL__N_127rocblas_gemm_batched_kernelIiLi16ELi16ELi32ELi32ELi8ELi32ELi8ELi8ELi32ELc67ELc84EKPKaKPKiKPiEEvlllT_PT11_llSB_llS9_PT12_llPT13_lli
; %bb.0:
	s_load_b32 s31, s[0:1], 0x88
	s_bfe_u32 s2, ttmp6, 0x40014
	s_lshr_b32 s3, ttmp7, 16
	s_add_co_i32 s2, s2, 1
	s_bfe_u32 s4, ttmp6, 0x40008
	s_mul_i32 s2, s3, s2
	s_getreg_b32 s28, hwreg(HW_REG_IB_STS2, 6, 4)
	s_add_co_i32 s4, s4, s2
	s_cmp_eq_u32 s28, 0
	s_cselect_b32 s2, s3, s4
	s_mov_b32 s3, 0
	s_wait_kmcnt 0x0
	s_cmp_ge_i32 s2, s31
	s_cbranch_scc1 .LBB210_10
; %bb.1:
	s_load_b256 s[4:11], s[0:1], 0x20
	v_bfe_u32 v6, v0, 10, 10
	v_and_b32_e32 v8, 0x3ff, v0
	s_clause 0x2
	s_load_b128 s[24:27], s[0:1], 0x40
	s_load_b128 s[20:23], s[0:1], 0x78
	s_load_b256 s[12:19], s[0:1], 0x58
	s_bfe_u32 s29, ttmp6, 0x4000c
	s_bfe_u32 s33, ttmp6, 0x40010
	s_add_co_i32 s29, s29, 1
	s_and_b32 s34, ttmp7, 0xffff
	s_add_co_i32 s33, s33, 1
	v_lshl_add_u32 v1, v6, 4, v8
	v_mov_b32_e32 v7, 0
	s_and_b32 s30, ttmp6, 15
	s_mul_i32 s29, ttmp9, s29
	s_mul_i32 s33, s34, s33
	s_bfe_u32 s35, ttmp6, 0x40004
	s_add_co_i32 s30, s30, s29
	s_add_co_i32 s35, s35, s33
	s_cmp_eq_u32 s28, 0
	v_dual_mov_b32 v11, v7 :: v_dual_bitop2_b32 v9, 31, v1 bitop3:0x40
	v_lshrrev_b32_e32 v10, 5, v1
	s_cselect_b32 s28, ttmp9, s30
	s_cselect_b32 s30, s34, s35
	s_ashr_i32 s29, s28, 31
	v_dual_mov_b32 v13, v7 :: v_dual_lshrrev_b32 v12, 3, v1
	s_lshl_b32 s36, s30, 5
	s_mov_b32 s37, s3
	s_lshl_b64 s[34:35], s[28:29], 5
	s_wait_kmcnt 0x0
	v_add_nc_u64_e32 v[2:3], s[8:9], v[10:11]
	v_add_nc_u64_e32 v[4:5], s[36:37], v[6:7]
	v_dual_lshlrev_b32 v17, 2, v9 :: v_dual_bitop2_b32 v11, s34, v9 bitop3:0x54
	s_load_b96 s[28:30], s[0:1], 0x10
	v_add_nc_u64_e32 v[14:15], s[26:27], v[12:13]
	v_dual_mov_b32 v9, v7 :: v_dual_bitop2_b32 v13, 7, v0 bitop3:0x40
	s_delay_alu instid0(VALU_DEP_3)
	v_mad_nc_u64_u32 v[0:1], s6, v11, v[2:3]
	v_mul_u64_e32 v[2:3], s[14:15], v[4:5]
	v_mul_u64_e32 v[4:5], s[20:21], v[4:5]
	s_load_b32 s33, s[0:1], 0x50
	v_mad_nc_u64_u32 v[14:15], s24, v13, v[14:15]
	v_dual_lshlrev_b32 v16, 2, v13 :: v_dual_lshlrev_b32 v20, 2, v8
	v_add_nc_u64_e32 v[8:9], s[34:35], v[8:9]
	v_lshl_or_b32 v18, v10, 7, v17
	v_lshl_add_u32 v21, v6, 5, 0x400
	s_delay_alu instid0(VALU_DEP_4)
	v_lshl_or_b32 v12, v12, 5, v16
	v_mad_u32 v1, s7, v11, v1
	s_lshl_b64 s[8:9], s[24:25], 3
	v_lshlrev_b64_e32 v[8:9], 2, v[8:9]
	v_mad_u32 v15, s25, v13, v15
	s_wait_kmcnt 0x0
	v_cmp_gt_i64_e64 s0, s[28:29], 0
	v_add_nc_u32_e32 v19, 0x400, v12
	v_mad_u32 v1, s6, s35, v1
	s_delay_alu instid0(VALU_DEP_3) | instskip(SKIP_3) | instid1(VALU_DEP_2)
	v_cndmask_b32_e64 v10, 0, 1, s0
	s_cmp_lg_u32 s33, 0
	v_add_nc_u64_e32 v[6:7], s[36:37], v[14:15]
	s_cselect_b32 s1, -1, 0
	v_cmp_ne_u32_e64 s0, 1, v10
	s_lshl_b64 s[6:7], s[14:15], 4
	s_lshl_b64 s[14:15], s[20:21], 4
	;; [unrolled: 1-line block ×4, first 2 shown]
	s_branch .LBB210_3
.LBB210_2:                              ;   in Loop: Header=BB210_3 Depth=1
	s_add_co_i32 s2, s2, 0x10000
	s_delay_alu instid0(SALU_CYCLE_1)
	s_cmp_lt_i32 s2, s31
	s_cbranch_scc0 .LBB210_10
.LBB210_3:                              ; =>This Loop Header: Depth=1
                                        ;     Child Loop BB210_5 Depth 2
	s_wait_xcnt 0x0
	v_dual_mov_b32 v14, s2 :: v_dual_mov_b32 v24, 0
	v_dual_mov_b32 v23, 0 :: v_dual_mov_b32 v25, 0
	v_mov_b32_e32 v22, 0
	s_clause 0x1
	global_load_b64 v[10:11], v14, s[12:13] scale_offset
	global_load_b64 v[12:13], v14, s[18:19] scale_offset
	s_and_b32 vcc_lo, exec_lo, s0
	s_cbranch_vccnz .LBB210_6
; %bb.4:                                ;   in Loop: Header=BB210_3 Depth=1
	v_dual_mov_b32 v22, 0 :: v_dual_mov_b32 v25, 0
	s_lshl_b64 s[22:23], s[2:3], 3
	v_dual_mov_b32 v23, 0 :: v_dual_mov_b32 v24, 0
	s_add_nc_u64 s[24:25], s[10:11], s[22:23]
	s_add_nc_u64 s[22:23], s[4:5], s[22:23]
	s_clause 0x1
	global_load_b64 v[14:15], v22, s[24:25]
	global_load_b64 v[16:17], v22, s[22:23]
	s_wait_xcnt 0x0
	s_mov_b64 s[22:23], 0
	s_wait_loadcnt 0x1
	v_add_nc_u64_e32 v[14:15], v[14:15], v[6:7]
	s_wait_loadcnt 0x0
	v_add_nc_u64_e32 v[16:17], v[16:17], v[0:1]
.LBB210_5:                              ;   Parent Loop BB210_3 Depth=1
                                        ; =>  This Inner Loop Header: Depth=2
	s_delay_alu instid0(VALU_DEP_1) | instskip(SKIP_1) | instid1(SALU_CYCLE_1)
	v_add_nc_u64_e32 v[26:27], s[22:23], v[16:17]
	s_add_nc_u64 s[22:23], s[22:23], 8
	v_cmp_lt_i64_e64 s24, s[22:23], s[28:29]
	flat_load_i8 v26, v[26:27]
	s_and_b32 vcc_lo, exec_lo, s24
	s_wait_loadcnt_dscnt 0x0
	ds_store_b32 v18, v26
	flat_load_i8 v26, v[14:15]
	s_wait_xcnt 0x0
	v_add_nc_u64_e32 v[14:15], s[8:9], v[14:15]
	s_wait_loadcnt_dscnt 0x0
	ds_store_b32 v19, v26
	s_wait_dscnt 0x0
	s_barrier_signal -1
	s_barrier_wait -1
	ds_load_2addr_b32 v[42:43], v20 offset1:16
	ds_load_b128 v[26:29], v21
	ds_load_b128 v[30:33], v21 offset:512
	ds_load_2addr_b32 v[44:45], v20 offset0:32 offset1:48
	ds_load_b128 v[34:37], v21 offset:16
	ds_load_b128 v[38:41], v21 offset:528
	s_wait_dscnt 0x4
	v_mad_u32 v25, v26, v42, v25
	s_wait_dscnt 0x3
	v_mad_u32 v42, v30, v42, v23
	v_mad_u32 v24, v26, v43, v24
	v_mad_u32 v26, v30, v43, v22
	ds_load_2addr_b32 v[22:23], v20 offset0:64 offset1:80
	s_wait_dscnt 0x3
	v_mad_u32 v30, v27, v44, v25
	v_mad_u32 v42, v31, v44, v42
	v_mad_u32 v27, v27, v45, v24
	v_mad_u32 v26, v31, v45, v26
	ds_load_2addr_b32 v[24:25], v20 offset0:96 offset1:112
	s_wait_dscnt 0x1
	v_mad_u32 v30, v28, v22, v30
	;; [unrolled: 6-line block ×5, first 2 shown]
	v_mad_u32 v24, v39, v24, v29
	v_mad_u32 v29, v35, v25, v27
	;; [unrolled: 1-line block ×3, first 2 shown]
	ds_load_2addr_b32 v[26:27], v20 offset0:224 offset1:240
	s_wait_dscnt 0x0
	s_barrier_signal -1
	s_barrier_wait -1
	v_mad_u32 v28, v36, v22, v28
	v_mad_u32 v22, v40, v22, v24
	;; [unrolled: 1-line block ×4, first 2 shown]
	s_delay_alu instid0(VALU_DEP_4) | instskip(NEXT) | instid1(VALU_DEP_4)
	v_mad_u32 v25, v37, v26, v28
	v_mad_u32 v23, v41, v26, v22
	s_delay_alu instid0(VALU_DEP_4) | instskip(NEXT) | instid1(VALU_DEP_4)
	v_mad_u32 v24, v37, v27, v24
	v_mad_u32 v22, v41, v27, v29
	s_cbranch_vccnz .LBB210_5
.LBB210_6:                              ;   in Loop: Header=BB210_3 Depth=1
	s_wait_loadcnt 0x0
	v_add_nc_u64_e32 v[12:13], s[20:21], v[12:13]
	v_mul_lo_u32 v16, v25, s30
	s_delay_alu instid0(VALU_DEP_4)
	v_mul_lo_u32 v17, v24, s30
	v_mul_lo_u32 v23, v23, s30
	;; [unrolled: 1-line block ×3, first 2 shown]
	s_and_not1_b32 vcc_lo, exec_lo, s1
	s_wait_xcnt 0x0
	v_lshl_add_u64 v[14:15], v[4:5], 2, v[12:13]
	s_delay_alu instid0(VALU_DEP_1)
	v_add_nc_u64_e32 v[12:13], v[14:15], v[8:9]
	v_lshl_add_u64 v[14:15], s[14:15], 2, v[14:15]
	s_cbranch_vccnz .LBB210_8
; %bb.7:                                ;   in Loop: Header=BB210_3 Depth=1
	v_add_nc_u64_e32 v[10:11], s[16:17], v[10:11]
	s_delay_alu instid0(VALU_DEP_1) | instskip(NEXT) | instid1(VALU_DEP_1)
	v_lshl_add_u64 v[10:11], v[2:3], 2, v[10:11]
	v_add_nc_u64_e32 v[24:25], v[10:11], v[8:9]
	v_lshl_add_u64 v[10:11], s[6:7], 2, v[10:11]
	s_delay_alu instid0(VALU_DEP_1)
	v_add_nc_u64_e32 v[10:11], v[10:11], v[8:9]
	flat_load_b32 v26, v[24:25]
	s_wait_loadcnt_dscnt 0x0
	v_mad_u32 v26, v26, s33, v16
	flat_store_b32 v[12:13], v26
	flat_load_b32 v24, v[24:25] offset:64
	s_wait_loadcnt_dscnt 0x0
	s_wait_xcnt 0x0
	v_mad_u32 v24, v24, s33, v17
	flat_store_b32 v[12:13], v24 offset:64
	flat_load_b32 v24, v[10:11]
	s_wait_loadcnt_dscnt 0x0
	v_mad_u32 v26, v24, s33, v23
	v_add_nc_u64_e32 v[24:25], v[14:15], v[8:9]
	flat_store_b32 v[24:25], v26
	flat_load_b32 v10, v[10:11] offset:64
	s_wait_loadcnt_dscnt 0x0
	s_wait_xcnt 0x0
	v_mad_u32 v10, v10, s33, v22
	flat_store_b32 v[24:25], v10 offset:64
	s_cbranch_execnz .LBB210_2
	s_branch .LBB210_9
.LBB210_8:                              ;   in Loop: Header=BB210_3 Depth=1
.LBB210_9:                              ;   in Loop: Header=BB210_3 Depth=1
	s_wait_xcnt 0x0
	s_delay_alu instid0(VALU_DEP_1)
	v_add_nc_u64_e32 v[10:11], v[14:15], v[8:9]
	s_clause 0x3
	flat_store_b32 v[12:13], v16
	flat_store_b32 v[12:13], v17 offset:64
	flat_store_b32 v[10:11], v23
	flat_store_b32 v[10:11], v22 offset:64
	s_branch .LBB210_2
.LBB210_10:
	s_endpgm
	.section	.rodata,"a",@progbits
	.p2align	6, 0x0
	.amdhsa_kernel _ZN12_GLOBAL__N_127rocblas_gemm_batched_kernelIiLi16ELi16ELi32ELi32ELi8ELi32ELi8ELi8ELi32ELc67ELc84EKPKaKPKiKPiEEvlllT_PT11_llSB_llS9_PT12_llPT13_lli
		.amdhsa_group_segment_fixed_size 2048
		.amdhsa_private_segment_fixed_size 0
		.amdhsa_kernarg_size 140
		.amdhsa_user_sgpr_count 2
		.amdhsa_user_sgpr_dispatch_ptr 0
		.amdhsa_user_sgpr_queue_ptr 0
		.amdhsa_user_sgpr_kernarg_segment_ptr 1
		.amdhsa_user_sgpr_dispatch_id 0
		.amdhsa_user_sgpr_kernarg_preload_length 0
		.amdhsa_user_sgpr_kernarg_preload_offset 0
		.amdhsa_user_sgpr_private_segment_size 0
		.amdhsa_wavefront_size32 1
		.amdhsa_uses_dynamic_stack 0
		.amdhsa_enable_private_segment 0
		.amdhsa_system_sgpr_workgroup_id_x 1
		.amdhsa_system_sgpr_workgroup_id_y 1
		.amdhsa_system_sgpr_workgroup_id_z 1
		.amdhsa_system_sgpr_workgroup_info 0
		.amdhsa_system_vgpr_workitem_id 1
		.amdhsa_next_free_vgpr 46
		.amdhsa_next_free_sgpr 38
		.amdhsa_named_barrier_count 0
		.amdhsa_reserve_vcc 1
		.amdhsa_float_round_mode_32 0
		.amdhsa_float_round_mode_16_64 0
		.amdhsa_float_denorm_mode_32 3
		.amdhsa_float_denorm_mode_16_64 3
		.amdhsa_fp16_overflow 0
		.amdhsa_memory_ordered 1
		.amdhsa_forward_progress 1
		.amdhsa_inst_pref_size 12
		.amdhsa_round_robin_scheduling 0
		.amdhsa_exception_fp_ieee_invalid_op 0
		.amdhsa_exception_fp_denorm_src 0
		.amdhsa_exception_fp_ieee_div_zero 0
		.amdhsa_exception_fp_ieee_overflow 0
		.amdhsa_exception_fp_ieee_underflow 0
		.amdhsa_exception_fp_ieee_inexact 0
		.amdhsa_exception_int_div_zero 0
	.end_amdhsa_kernel
	.section	.text._ZN12_GLOBAL__N_127rocblas_gemm_batched_kernelIiLi16ELi16ELi32ELi32ELi8ELi32ELi8ELi8ELi32ELc67ELc84EKPKaKPKiKPiEEvlllT_PT11_llSB_llS9_PT12_llPT13_lli,"axG",@progbits,_ZN12_GLOBAL__N_127rocblas_gemm_batched_kernelIiLi16ELi16ELi32ELi32ELi8ELi32ELi8ELi8ELi32ELc67ELc84EKPKaKPKiKPiEEvlllT_PT11_llSB_llS9_PT12_llPT13_lli,comdat
.Lfunc_end210:
	.size	_ZN12_GLOBAL__N_127rocblas_gemm_batched_kernelIiLi16ELi16ELi32ELi32ELi8ELi32ELi8ELi8ELi32ELc67ELc84EKPKaKPKiKPiEEvlllT_PT11_llSB_llS9_PT12_llPT13_lli, .Lfunc_end210-_ZN12_GLOBAL__N_127rocblas_gemm_batched_kernelIiLi16ELi16ELi32ELi32ELi8ELi32ELi8ELi8ELi32ELc67ELc84EKPKaKPKiKPiEEvlllT_PT11_llSB_llS9_PT12_llPT13_lli
                                        ; -- End function
	.set _ZN12_GLOBAL__N_127rocblas_gemm_batched_kernelIiLi16ELi16ELi32ELi32ELi8ELi32ELi8ELi8ELi32ELc67ELc84EKPKaKPKiKPiEEvlllT_PT11_llSB_llS9_PT12_llPT13_lli.num_vgpr, 46
	.set _ZN12_GLOBAL__N_127rocblas_gemm_batched_kernelIiLi16ELi16ELi32ELi32ELi8ELi32ELi8ELi8ELi32ELc67ELc84EKPKaKPKiKPiEEvlllT_PT11_llSB_llS9_PT12_llPT13_lli.num_agpr, 0
	.set _ZN12_GLOBAL__N_127rocblas_gemm_batched_kernelIiLi16ELi16ELi32ELi32ELi8ELi32ELi8ELi8ELi32ELc67ELc84EKPKaKPKiKPiEEvlllT_PT11_llSB_llS9_PT12_llPT13_lli.numbered_sgpr, 38
	.set _ZN12_GLOBAL__N_127rocblas_gemm_batched_kernelIiLi16ELi16ELi32ELi32ELi8ELi32ELi8ELi8ELi32ELc67ELc84EKPKaKPKiKPiEEvlllT_PT11_llSB_llS9_PT12_llPT13_lli.num_named_barrier, 0
	.set _ZN12_GLOBAL__N_127rocblas_gemm_batched_kernelIiLi16ELi16ELi32ELi32ELi8ELi32ELi8ELi8ELi32ELc67ELc84EKPKaKPKiKPiEEvlllT_PT11_llSB_llS9_PT12_llPT13_lli.private_seg_size, 0
	.set _ZN12_GLOBAL__N_127rocblas_gemm_batched_kernelIiLi16ELi16ELi32ELi32ELi8ELi32ELi8ELi8ELi32ELc67ELc84EKPKaKPKiKPiEEvlllT_PT11_llSB_llS9_PT12_llPT13_lli.uses_vcc, 1
	.set _ZN12_GLOBAL__N_127rocblas_gemm_batched_kernelIiLi16ELi16ELi32ELi32ELi8ELi32ELi8ELi8ELi32ELc67ELc84EKPKaKPKiKPiEEvlllT_PT11_llSB_llS9_PT12_llPT13_lli.uses_flat_scratch, 1
	.set _ZN12_GLOBAL__N_127rocblas_gemm_batched_kernelIiLi16ELi16ELi32ELi32ELi8ELi32ELi8ELi8ELi32ELc67ELc84EKPKaKPKiKPiEEvlllT_PT11_llSB_llS9_PT12_llPT13_lli.has_dyn_sized_stack, 0
	.set _ZN12_GLOBAL__N_127rocblas_gemm_batched_kernelIiLi16ELi16ELi32ELi32ELi8ELi32ELi8ELi8ELi32ELc67ELc84EKPKaKPKiKPiEEvlllT_PT11_llSB_llS9_PT12_llPT13_lli.has_recursion, 0
	.set _ZN12_GLOBAL__N_127rocblas_gemm_batched_kernelIiLi16ELi16ELi32ELi32ELi8ELi32ELi8ELi8ELi32ELc67ELc84EKPKaKPKiKPiEEvlllT_PT11_llSB_llS9_PT12_llPT13_lli.has_indirect_call, 0
	.section	.AMDGPU.csdata,"",@progbits
; Kernel info:
; codeLenInByte = 1496
; TotalNumSgprs: 40
; NumVgprs: 46
; ScratchSize: 0
; MemoryBound: 0
; FloatMode: 240
; IeeeMode: 1
; LDSByteSize: 2048 bytes/workgroup (compile time only)
; SGPRBlocks: 0
; VGPRBlocks: 2
; NumSGPRsForWavesPerEU: 40
; NumVGPRsForWavesPerEU: 46
; NamedBarCnt: 0
; Occupancy: 16
; WaveLimiterHint : 1
; COMPUTE_PGM_RSRC2:SCRATCH_EN: 0
; COMPUTE_PGM_RSRC2:USER_SGPR: 2
; COMPUTE_PGM_RSRC2:TRAP_HANDLER: 0
; COMPUTE_PGM_RSRC2:TGID_X_EN: 1
; COMPUTE_PGM_RSRC2:TGID_Y_EN: 1
; COMPUTE_PGM_RSRC2:TGID_Z_EN: 1
; COMPUTE_PGM_RSRC2:TIDIG_COMP_CNT: 1
	.section	.text._ZN12_GLOBAL__N_127rocblas_gemm_batched_kernelIiLi16ELi16ELi32ELi32ELi8ELi32ELi8ELi8ELi32ELc78ELc67EKPKaKPKiKPiEEvlllT_PT11_llSB_llS9_PT12_llPT13_lli,"axG",@progbits,_ZN12_GLOBAL__N_127rocblas_gemm_batched_kernelIiLi16ELi16ELi32ELi32ELi8ELi32ELi8ELi8ELi32ELc78ELc67EKPKaKPKiKPiEEvlllT_PT11_llSB_llS9_PT12_llPT13_lli,comdat
	.globl	_ZN12_GLOBAL__N_127rocblas_gemm_batched_kernelIiLi16ELi16ELi32ELi32ELi8ELi32ELi8ELi8ELi32ELc78ELc67EKPKaKPKiKPiEEvlllT_PT11_llSB_llS9_PT12_llPT13_lli ; -- Begin function _ZN12_GLOBAL__N_127rocblas_gemm_batched_kernelIiLi16ELi16ELi32ELi32ELi8ELi32ELi8ELi8ELi32ELc78ELc67EKPKaKPKiKPiEEvlllT_PT11_llSB_llS9_PT12_llPT13_lli
	.p2align	8
	.type	_ZN12_GLOBAL__N_127rocblas_gemm_batched_kernelIiLi16ELi16ELi32ELi32ELi8ELi32ELi8ELi8ELi32ELc78ELc67EKPKaKPKiKPiEEvlllT_PT11_llSB_llS9_PT12_llPT13_lli,@function
_ZN12_GLOBAL__N_127rocblas_gemm_batched_kernelIiLi16ELi16ELi32ELi32ELi8ELi32ELi8ELi8ELi32ELc78ELc67EKPKaKPKiKPiEEvlllT_PT11_llSB_llS9_PT12_llPT13_lli: ; @_ZN12_GLOBAL__N_127rocblas_gemm_batched_kernelIiLi16ELi16ELi32ELi32ELi8ELi32ELi8ELi8ELi32ELc78ELc67EKPKaKPKiKPiEEvlllT_PT11_llSB_llS9_PT12_llPT13_lli
; %bb.0:
	s_load_b32 s31, s[0:1], 0x88
	s_bfe_u32 s2, ttmp6, 0x40014
	s_lshr_b32 s3, ttmp7, 16
	s_add_co_i32 s2, s2, 1
	s_bfe_u32 s4, ttmp6, 0x40008
	s_mul_i32 s2, s3, s2
	s_getreg_b32 s34, hwreg(HW_REG_IB_STS2, 6, 4)
	s_add_co_i32 s4, s4, s2
	s_cmp_eq_u32 s34, 0
	s_cselect_b32 s2, s3, s4
	s_mov_b32 s3, 0
	s_wait_kmcnt 0x0
	s_cmp_ge_i32 s2, s31
	s_cbranch_scc1 .LBB211_10
; %bb.1:
	s_clause 0x5
	s_load_b96 s[28:30], s[0:1], 0x10
	s_load_b256 s[4:11], s[0:1], 0x20
	s_load_b128 s[24:27], s[0:1], 0x40
	s_load_b32 s33, s[0:1], 0x50
	s_load_b128 s[20:23], s[0:1], 0x78
	s_load_b256 s[12:19], s[0:1], 0x58
	s_wait_xcnt 0x0
	s_bfe_u32 s0, ttmp6, 0x4000c
	s_bfe_u32 s35, ttmp6, 0x40010
	v_bfe_u32 v4, v0, 10, 10
	v_and_b32_e32 v6, 0x3ff, v0
	s_add_co_i32 s0, s0, 1
	s_and_b32 s36, ttmp7, 0xffff
	s_add_co_i32 s35, s35, 1
	s_and_b32 s1, ttmp6, 15
	s_mul_i32 s0, ttmp9, s0
	s_mul_i32 s35, s36, s35
	s_bfe_u32 s37, ttmp6, 0x40004
	v_lshl_add_u32 v1, v4, 4, v6
	v_mov_b32_e32 v5, 0
	s_add_co_i32 s1, s1, s0
	s_add_co_i32 s37, s37, s35
	s_cmp_eq_u32 s34, 0
	v_lshrrev_b32_e32 v8, 3, v1
	s_cselect_b32 s34, s36, s37
	v_dual_mov_b32 v9, v5 :: v_dual_bitop2_b32 v10, 31, v1 bitop3:0x40
	s_cselect_b32 s0, ttmp9, s1
	s_lshl_b32 s34, s34, 5
	s_mov_b32 s35, s3
	s_wait_kmcnt 0x0
	v_add_nc_u64_e32 v[12:13], s[26:27], v[8:9]
	v_add_nc_u64_e32 v[2:3], s[34:35], v[4:5]
	s_ashr_i32 s1, s0, 31
	v_dual_lshrrev_b32 v9, 5, v1 :: v_dual_bitop2_b32 v16, 7, v0 bitop3:0x40
	s_lshl_b64 s[0:1], s[0:1], 5
	v_lshlrev_b32_e32 v17, 2, v10
	s_add_nc_u64 s[8:9], s[0:1], s[8:9]
	s_delay_alu instid0(VALU_DEP_3)
	v_mul_u64_e32 v[0:1], s[14:15], v[2:3]
	v_mul_u64_e32 v[2:3], s[20:21], v[2:3]
	v_mad_nc_u64_u32 v[12:13], s24, v16, v[12:13]
	v_mad_nc_u64_u32 v[14:15], s6, v9, s[8:9]
	v_dual_lshlrev_b32 v7, 2, v16 :: v_dual_mov_b32 v11, v5
	v_lshl_or_b32 v18, v9, 7, v17
	v_lshlrev_b32_e32 v20, 2, v6
	v_lshl_add_u32 v21, v4, 5, 0x400
	s_delay_alu instid0(VALU_DEP_4)
	v_lshl_or_b32 v8, v8, 5, v7
	v_mov_b32_e32 v7, v5
	s_lshl_b64 s[8:9], s[24:25], 3
	v_mad_u32 v13, s25, v16, v13
	v_mad_u32 v15, s7, v9, v15
	v_add_nc_u32_e32 v19, 0x400, v8
	v_add_nc_u64_e32 v[8:9], s[0:1], v[6:7]
	v_cmp_gt_i64_e64 s0, s[28:29], 0
	s_lshl_b64 s[6:7], s[6:7], 3
	s_cmp_lg_u32 s33, 0
	s_cselect_b32 s1, -1, 0
	s_lshl_b64 s[14:15], s[14:15], 4
	v_lshlrev_b64_e32 v[8:9], 2, v[8:9]
	v_cndmask_b32_e64 v16, 0, 1, s0
	v_add_nc_u64_e32 v[4:5], s[34:35], v[12:13]
	v_add_nc_u64_e32 v[6:7], v[14:15], v[10:11]
	s_lshl_b64 s[20:21], s[20:21], 4
	s_lshl_b64 s[22:23], s[22:23], 2
	v_cmp_ne_u32_e64 s0, 1, v16
	s_lshl_b64 s[16:17], s[16:17], 2
	s_branch .LBB211_3
.LBB211_2:                              ;   in Loop: Header=BB211_3 Depth=1
	s_add_co_i32 s2, s2, 0x10000
	s_delay_alu instid0(SALU_CYCLE_1)
	s_cmp_lt_i32 s2, s31
	s_cbranch_scc0 .LBB211_10
.LBB211_3:                              ; =>This Loop Header: Depth=1
                                        ;     Child Loop BB211_5 Depth 2
	s_wait_xcnt 0x0
	v_dual_mov_b32 v14, s2 :: v_dual_mov_b32 v24, 0
	v_dual_mov_b32 v23, 0 :: v_dual_mov_b32 v25, 0
	v_mov_b32_e32 v22, 0
	s_clause 0x1
	global_load_b64 v[10:11], v14, s[12:13] scale_offset
	global_load_b64 v[12:13], v14, s[18:19] scale_offset
	s_and_b32 vcc_lo, exec_lo, s0
	s_cbranch_vccnz .LBB211_6
; %bb.4:                                ;   in Loop: Header=BB211_3 Depth=1
	v_dual_mov_b32 v22, 0 :: v_dual_mov_b32 v25, 0
	s_lshl_b64 s[24:25], s[2:3], 3
	v_dual_mov_b32 v23, 0 :: v_dual_mov_b32 v24, 0
	s_add_nc_u64 s[26:27], s[10:11], s[24:25]
	s_add_nc_u64 s[24:25], s[4:5], s[24:25]
	s_clause 0x1
	global_load_b64 v[14:15], v22, s[26:27]
	global_load_b64 v[16:17], v22, s[24:25]
	s_wait_xcnt 0x0
	s_mov_b64 s[24:25], 0
	s_wait_loadcnt 0x1
	v_add_nc_u64_e32 v[14:15], v[14:15], v[4:5]
	s_wait_loadcnt 0x0
	v_add_nc_u64_e32 v[16:17], v[16:17], v[6:7]
.LBB211_5:                              ;   Parent Loop BB211_3 Depth=1
                                        ; =>  This Inner Loop Header: Depth=2
	flat_load_i8 v26, v[16:17]
	s_add_nc_u64 s[24:25], s[24:25], 8
	s_wait_xcnt 0x0
	v_add_nc_u64_e32 v[16:17], s[6:7], v[16:17]
	v_cmp_lt_i64_e64 s26, s[24:25], s[28:29]
	s_and_b32 vcc_lo, exec_lo, s26
	s_wait_loadcnt_dscnt 0x0
	ds_store_b32 v18, v26
	flat_load_i8 v26, v[14:15]
	s_wait_xcnt 0x0
	v_add_nc_u64_e32 v[14:15], s[8:9], v[14:15]
	s_wait_loadcnt_dscnt 0x0
	ds_store_b32 v19, v26
	s_wait_dscnt 0x0
	s_barrier_signal -1
	s_barrier_wait -1
	ds_load_2addr_b32 v[42:43], v20 offset1:16
	ds_load_b128 v[26:29], v21
	ds_load_b128 v[30:33], v21 offset:512
	ds_load_2addr_b32 v[44:45], v20 offset0:32 offset1:48
	ds_load_b128 v[34:37], v21 offset:16
	ds_load_b128 v[38:41], v21 offset:528
	s_wait_dscnt 0x4
	v_mad_u32 v25, v26, v42, v25
	s_wait_dscnt 0x3
	v_mad_u32 v42, v30, v42, v23
	v_mad_u32 v24, v26, v43, v24
	v_mad_u32 v26, v30, v43, v22
	ds_load_2addr_b32 v[22:23], v20 offset0:64 offset1:80
	s_wait_dscnt 0x3
	v_mad_u32 v30, v27, v44, v25
	v_mad_u32 v42, v31, v44, v42
	v_mad_u32 v27, v27, v45, v24
	v_mad_u32 v26, v31, v45, v26
	ds_load_2addr_b32 v[24:25], v20 offset0:96 offset1:112
	s_wait_dscnt 0x1
	v_mad_u32 v30, v28, v22, v30
	;; [unrolled: 6-line block ×5, first 2 shown]
	v_mad_u32 v24, v39, v24, v29
	v_mad_u32 v29, v35, v25, v27
	;; [unrolled: 1-line block ×3, first 2 shown]
	ds_load_2addr_b32 v[26:27], v20 offset0:224 offset1:240
	s_wait_dscnt 0x0
	s_barrier_signal -1
	s_barrier_wait -1
	v_mad_u32 v28, v36, v22, v28
	v_mad_u32 v22, v40, v22, v24
	;; [unrolled: 1-line block ×4, first 2 shown]
	s_delay_alu instid0(VALU_DEP_4) | instskip(NEXT) | instid1(VALU_DEP_4)
	v_mad_u32 v25, v37, v26, v28
	v_mad_u32 v23, v41, v26, v22
	s_delay_alu instid0(VALU_DEP_4) | instskip(NEXT) | instid1(VALU_DEP_4)
	v_mad_u32 v24, v37, v27, v24
	v_mad_u32 v22, v41, v27, v29
	s_cbranch_vccnz .LBB211_5
.LBB211_6:                              ;   in Loop: Header=BB211_3 Depth=1
	s_wait_loadcnt 0x0
	v_add_nc_u64_e32 v[12:13], s[22:23], v[12:13]
	v_mul_lo_u32 v16, v25, s30
	s_delay_alu instid0(VALU_DEP_4)
	v_mul_lo_u32 v17, v24, s30
	v_mul_lo_u32 v23, v23, s30
	;; [unrolled: 1-line block ×3, first 2 shown]
	s_and_not1_b32 vcc_lo, exec_lo, s1
	s_wait_xcnt 0x0
	v_lshl_add_u64 v[14:15], v[2:3], 2, v[12:13]
	s_delay_alu instid0(VALU_DEP_1)
	v_add_nc_u64_e32 v[12:13], v[14:15], v[8:9]
	v_lshl_add_u64 v[14:15], s[20:21], 2, v[14:15]
	s_cbranch_vccnz .LBB211_8
; %bb.7:                                ;   in Loop: Header=BB211_3 Depth=1
	v_add_nc_u64_e32 v[10:11], s[16:17], v[10:11]
	s_delay_alu instid0(VALU_DEP_1) | instskip(NEXT) | instid1(VALU_DEP_1)
	v_lshl_add_u64 v[10:11], v[0:1], 2, v[10:11]
	v_add_nc_u64_e32 v[24:25], v[10:11], v[8:9]
	v_lshl_add_u64 v[10:11], s[14:15], 2, v[10:11]
	s_delay_alu instid0(VALU_DEP_1)
	v_add_nc_u64_e32 v[10:11], v[10:11], v[8:9]
	flat_load_b32 v26, v[24:25]
	s_wait_loadcnt_dscnt 0x0
	v_mad_u32 v26, v26, s33, v16
	flat_store_b32 v[12:13], v26
	flat_load_b32 v24, v[24:25] offset:64
	s_wait_loadcnt_dscnt 0x0
	s_wait_xcnt 0x0
	v_mad_u32 v24, v24, s33, v17
	flat_store_b32 v[12:13], v24 offset:64
	flat_load_b32 v24, v[10:11]
	s_wait_loadcnt_dscnt 0x0
	v_mad_u32 v26, v24, s33, v23
	v_add_nc_u64_e32 v[24:25], v[14:15], v[8:9]
	flat_store_b32 v[24:25], v26
	flat_load_b32 v10, v[10:11] offset:64
	s_wait_loadcnt_dscnt 0x0
	s_wait_xcnt 0x0
	v_mad_u32 v10, v10, s33, v22
	flat_store_b32 v[24:25], v10 offset:64
	s_cbranch_execnz .LBB211_2
	s_branch .LBB211_9
.LBB211_8:                              ;   in Loop: Header=BB211_3 Depth=1
.LBB211_9:                              ;   in Loop: Header=BB211_3 Depth=1
	s_wait_xcnt 0x0
	s_delay_alu instid0(VALU_DEP_1)
	v_add_nc_u64_e32 v[10:11], v[14:15], v[8:9]
	s_clause 0x3
	flat_store_b32 v[12:13], v16
	flat_store_b32 v[12:13], v17 offset:64
	flat_store_b32 v[10:11], v23
	flat_store_b32 v[10:11], v22 offset:64
	s_branch .LBB211_2
.LBB211_10:
	s_endpgm
	.section	.rodata,"a",@progbits
	.p2align	6, 0x0
	.amdhsa_kernel _ZN12_GLOBAL__N_127rocblas_gemm_batched_kernelIiLi16ELi16ELi32ELi32ELi8ELi32ELi8ELi8ELi32ELc78ELc67EKPKaKPKiKPiEEvlllT_PT11_llSB_llS9_PT12_llPT13_lli
		.amdhsa_group_segment_fixed_size 2048
		.amdhsa_private_segment_fixed_size 0
		.amdhsa_kernarg_size 140
		.amdhsa_user_sgpr_count 2
		.amdhsa_user_sgpr_dispatch_ptr 0
		.amdhsa_user_sgpr_queue_ptr 0
		.amdhsa_user_sgpr_kernarg_segment_ptr 1
		.amdhsa_user_sgpr_dispatch_id 0
		.amdhsa_user_sgpr_kernarg_preload_length 0
		.amdhsa_user_sgpr_kernarg_preload_offset 0
		.amdhsa_user_sgpr_private_segment_size 0
		.amdhsa_wavefront_size32 1
		.amdhsa_uses_dynamic_stack 0
		.amdhsa_enable_private_segment 0
		.amdhsa_system_sgpr_workgroup_id_x 1
		.amdhsa_system_sgpr_workgroup_id_y 1
		.amdhsa_system_sgpr_workgroup_id_z 1
		.amdhsa_system_sgpr_workgroup_info 0
		.amdhsa_system_vgpr_workitem_id 1
		.amdhsa_next_free_vgpr 46
		.amdhsa_next_free_sgpr 38
		.amdhsa_named_barrier_count 0
		.amdhsa_reserve_vcc 1
		.amdhsa_float_round_mode_32 0
		.amdhsa_float_round_mode_16_64 0
		.amdhsa_float_denorm_mode_32 3
		.amdhsa_float_denorm_mode_16_64 3
		.amdhsa_fp16_overflow 0
		.amdhsa_memory_ordered 1
		.amdhsa_forward_progress 1
		.amdhsa_inst_pref_size 12
		.amdhsa_round_robin_scheduling 0
		.amdhsa_exception_fp_ieee_invalid_op 0
		.amdhsa_exception_fp_denorm_src 0
		.amdhsa_exception_fp_ieee_div_zero 0
		.amdhsa_exception_fp_ieee_overflow 0
		.amdhsa_exception_fp_ieee_underflow 0
		.amdhsa_exception_fp_ieee_inexact 0
		.amdhsa_exception_int_div_zero 0
	.end_amdhsa_kernel
	.section	.text._ZN12_GLOBAL__N_127rocblas_gemm_batched_kernelIiLi16ELi16ELi32ELi32ELi8ELi32ELi8ELi8ELi32ELc78ELc67EKPKaKPKiKPiEEvlllT_PT11_llSB_llS9_PT12_llPT13_lli,"axG",@progbits,_ZN12_GLOBAL__N_127rocblas_gemm_batched_kernelIiLi16ELi16ELi32ELi32ELi8ELi32ELi8ELi8ELi32ELc78ELc67EKPKaKPKiKPiEEvlllT_PT11_llSB_llS9_PT12_llPT13_lli,comdat
.Lfunc_end211:
	.size	_ZN12_GLOBAL__N_127rocblas_gemm_batched_kernelIiLi16ELi16ELi32ELi32ELi8ELi32ELi8ELi8ELi32ELc78ELc67EKPKaKPKiKPiEEvlllT_PT11_llSB_llS9_PT12_llPT13_lli, .Lfunc_end211-_ZN12_GLOBAL__N_127rocblas_gemm_batched_kernelIiLi16ELi16ELi32ELi32ELi8ELi32ELi8ELi8ELi32ELc78ELc67EKPKaKPKiKPiEEvlllT_PT11_llSB_llS9_PT12_llPT13_lli
                                        ; -- End function
	.set _ZN12_GLOBAL__N_127rocblas_gemm_batched_kernelIiLi16ELi16ELi32ELi32ELi8ELi32ELi8ELi8ELi32ELc78ELc67EKPKaKPKiKPiEEvlllT_PT11_llSB_llS9_PT12_llPT13_lli.num_vgpr, 46
	.set _ZN12_GLOBAL__N_127rocblas_gemm_batched_kernelIiLi16ELi16ELi32ELi32ELi8ELi32ELi8ELi8ELi32ELc78ELc67EKPKaKPKiKPiEEvlllT_PT11_llSB_llS9_PT12_llPT13_lli.num_agpr, 0
	.set _ZN12_GLOBAL__N_127rocblas_gemm_batched_kernelIiLi16ELi16ELi32ELi32ELi8ELi32ELi8ELi8ELi32ELc78ELc67EKPKaKPKiKPiEEvlllT_PT11_llSB_llS9_PT12_llPT13_lli.numbered_sgpr, 38
	.set _ZN12_GLOBAL__N_127rocblas_gemm_batched_kernelIiLi16ELi16ELi32ELi32ELi8ELi32ELi8ELi8ELi32ELc78ELc67EKPKaKPKiKPiEEvlllT_PT11_llSB_llS9_PT12_llPT13_lli.num_named_barrier, 0
	.set _ZN12_GLOBAL__N_127rocblas_gemm_batched_kernelIiLi16ELi16ELi32ELi32ELi8ELi32ELi8ELi8ELi32ELc78ELc67EKPKaKPKiKPiEEvlllT_PT11_llSB_llS9_PT12_llPT13_lli.private_seg_size, 0
	.set _ZN12_GLOBAL__N_127rocblas_gemm_batched_kernelIiLi16ELi16ELi32ELi32ELi8ELi32ELi8ELi8ELi32ELc78ELc67EKPKaKPKiKPiEEvlllT_PT11_llSB_llS9_PT12_llPT13_lli.uses_vcc, 1
	.set _ZN12_GLOBAL__N_127rocblas_gemm_batched_kernelIiLi16ELi16ELi32ELi32ELi8ELi32ELi8ELi8ELi32ELc78ELc67EKPKaKPKiKPiEEvlllT_PT11_llSB_llS9_PT12_llPT13_lli.uses_flat_scratch, 1
	.set _ZN12_GLOBAL__N_127rocblas_gemm_batched_kernelIiLi16ELi16ELi32ELi32ELi8ELi32ELi8ELi8ELi32ELc78ELc67EKPKaKPKiKPiEEvlllT_PT11_llSB_llS9_PT12_llPT13_lli.has_dyn_sized_stack, 0
	.set _ZN12_GLOBAL__N_127rocblas_gemm_batched_kernelIiLi16ELi16ELi32ELi32ELi8ELi32ELi8ELi8ELi32ELc78ELc67EKPKaKPKiKPiEEvlllT_PT11_llSB_llS9_PT12_llPT13_lli.has_recursion, 0
	.set _ZN12_GLOBAL__N_127rocblas_gemm_batched_kernelIiLi16ELi16ELi32ELi32ELi8ELi32ELi8ELi8ELi32ELc78ELc67EKPKaKPKiKPiEEvlllT_PT11_llSB_llS9_PT12_llPT13_lli.has_indirect_call, 0
	.section	.AMDGPU.csdata,"",@progbits
; Kernel info:
; codeLenInByte = 1484
; TotalNumSgprs: 40
; NumVgprs: 46
; ScratchSize: 0
; MemoryBound: 0
; FloatMode: 240
; IeeeMode: 1
; LDSByteSize: 2048 bytes/workgroup (compile time only)
; SGPRBlocks: 0
; VGPRBlocks: 2
; NumSGPRsForWavesPerEU: 40
; NumVGPRsForWavesPerEU: 46
; NamedBarCnt: 0
; Occupancy: 16
; WaveLimiterHint : 1
; COMPUTE_PGM_RSRC2:SCRATCH_EN: 0
; COMPUTE_PGM_RSRC2:USER_SGPR: 2
; COMPUTE_PGM_RSRC2:TRAP_HANDLER: 0
; COMPUTE_PGM_RSRC2:TGID_X_EN: 1
; COMPUTE_PGM_RSRC2:TGID_Y_EN: 1
; COMPUTE_PGM_RSRC2:TGID_Z_EN: 1
; COMPUTE_PGM_RSRC2:TIDIG_COMP_CNT: 1
	.section	.text._ZN12_GLOBAL__N_127rocblas_gemm_batched_kernelIiLi16ELi16ELi32ELi32ELi8ELi32ELi8ELi8ELi32ELc84ELc67EKPKaKPKiKPiEEvlllT_PT11_llSB_llS9_PT12_llPT13_lli,"axG",@progbits,_ZN12_GLOBAL__N_127rocblas_gemm_batched_kernelIiLi16ELi16ELi32ELi32ELi8ELi32ELi8ELi8ELi32ELc84ELc67EKPKaKPKiKPiEEvlllT_PT11_llSB_llS9_PT12_llPT13_lli,comdat
	.globl	_ZN12_GLOBAL__N_127rocblas_gemm_batched_kernelIiLi16ELi16ELi32ELi32ELi8ELi32ELi8ELi8ELi32ELc84ELc67EKPKaKPKiKPiEEvlllT_PT11_llSB_llS9_PT12_llPT13_lli ; -- Begin function _ZN12_GLOBAL__N_127rocblas_gemm_batched_kernelIiLi16ELi16ELi32ELi32ELi8ELi32ELi8ELi8ELi32ELc84ELc67EKPKaKPKiKPiEEvlllT_PT11_llSB_llS9_PT12_llPT13_lli
	.p2align	8
	.type	_ZN12_GLOBAL__N_127rocblas_gemm_batched_kernelIiLi16ELi16ELi32ELi32ELi8ELi32ELi8ELi8ELi32ELc84ELc67EKPKaKPKiKPiEEvlllT_PT11_llSB_llS9_PT12_llPT13_lli,@function
_ZN12_GLOBAL__N_127rocblas_gemm_batched_kernelIiLi16ELi16ELi32ELi32ELi8ELi32ELi8ELi8ELi32ELc84ELc67EKPKaKPKiKPiEEvlllT_PT11_llSB_llS9_PT12_llPT13_lli: ; @_ZN12_GLOBAL__N_127rocblas_gemm_batched_kernelIiLi16ELi16ELi32ELi32ELi8ELi32ELi8ELi8ELi32ELc84ELc67EKPKaKPKiKPiEEvlllT_PT11_llSB_llS9_PT12_llPT13_lli
; %bb.0:
	s_load_b32 s31, s[0:1], 0x88
	s_bfe_u32 s2, ttmp6, 0x40014
	s_lshr_b32 s3, ttmp7, 16
	s_add_co_i32 s2, s2, 1
	s_bfe_u32 s4, ttmp6, 0x40008
	s_mul_i32 s2, s3, s2
	s_getreg_b32 s28, hwreg(HW_REG_IB_STS2, 6, 4)
	s_add_co_i32 s4, s4, s2
	s_cmp_eq_u32 s28, 0
	s_cselect_b32 s2, s3, s4
	s_mov_b32 s3, 0
	s_wait_kmcnt 0x0
	s_cmp_ge_i32 s2, s31
	s_cbranch_scc1 .LBB212_10
; %bb.1:
	s_load_b256 s[4:11], s[0:1], 0x20
	v_bfe_u32 v6, v0, 10, 10
	v_and_b32_e32 v8, 0x3ff, v0
	s_clause 0x2
	s_load_b128 s[24:27], s[0:1], 0x40
	s_load_b128 s[20:23], s[0:1], 0x78
	s_load_b256 s[12:19], s[0:1], 0x58
	s_bfe_u32 s29, ttmp6, 0x4000c
	s_bfe_u32 s33, ttmp6, 0x40010
	s_add_co_i32 s29, s29, 1
	s_and_b32 s34, ttmp7, 0xffff
	s_add_co_i32 s33, s33, 1
	v_lshl_add_u32 v1, v6, 4, v8
	v_mov_b32_e32 v7, 0
	s_and_b32 s30, ttmp6, 15
	s_mul_i32 s29, ttmp9, s29
	s_mul_i32 s33, s34, s33
	s_bfe_u32 s35, ttmp6, 0x40004
	s_add_co_i32 s30, s30, s29
	s_add_co_i32 s35, s35, s33
	s_cmp_eq_u32 s28, 0
	v_dual_mov_b32 v11, v7 :: v_dual_bitop2_b32 v9, 31, v1 bitop3:0x40
	v_lshrrev_b32_e32 v10, 5, v1
	s_cselect_b32 s28, ttmp9, s30
	s_cselect_b32 s30, s34, s35
	s_ashr_i32 s29, s28, 31
	v_dual_mov_b32 v13, v7 :: v_dual_lshrrev_b32 v12, 3, v1
	s_lshl_b32 s36, s30, 5
	s_mov_b32 s37, s3
	s_lshl_b64 s[34:35], s[28:29], 5
	s_wait_kmcnt 0x0
	v_add_nc_u64_e32 v[2:3], s[8:9], v[10:11]
	v_add_nc_u64_e32 v[4:5], s[36:37], v[6:7]
	v_dual_lshlrev_b32 v17, 2, v9 :: v_dual_bitop2_b32 v11, s34, v9 bitop3:0x54
	s_load_b96 s[28:30], s[0:1], 0x10
	v_add_nc_u64_e32 v[14:15], s[26:27], v[12:13]
	v_dual_mov_b32 v9, v7 :: v_dual_bitop2_b32 v13, 7, v0 bitop3:0x40
	s_delay_alu instid0(VALU_DEP_3)
	v_mad_nc_u64_u32 v[0:1], s6, v11, v[2:3]
	v_mul_u64_e32 v[2:3], s[14:15], v[4:5]
	v_mul_u64_e32 v[4:5], s[20:21], v[4:5]
	s_load_b32 s33, s[0:1], 0x50
	v_mad_nc_u64_u32 v[14:15], s24, v13, v[14:15]
	v_dual_lshlrev_b32 v16, 2, v13 :: v_dual_lshlrev_b32 v20, 2, v8
	v_add_nc_u64_e32 v[8:9], s[34:35], v[8:9]
	v_lshl_or_b32 v18, v10, 7, v17
	v_lshl_add_u32 v21, v6, 5, 0x400
	s_delay_alu instid0(VALU_DEP_4)
	v_lshl_or_b32 v12, v12, 5, v16
	v_mad_u32 v1, s7, v11, v1
	s_lshl_b64 s[8:9], s[24:25], 3
	v_lshlrev_b64_e32 v[8:9], 2, v[8:9]
	v_mad_u32 v15, s25, v13, v15
	s_wait_kmcnt 0x0
	v_cmp_gt_i64_e64 s0, s[28:29], 0
	v_add_nc_u32_e32 v19, 0x400, v12
	v_mad_u32 v1, s6, s35, v1
	s_delay_alu instid0(VALU_DEP_3) | instskip(SKIP_3) | instid1(VALU_DEP_2)
	v_cndmask_b32_e64 v10, 0, 1, s0
	s_cmp_lg_u32 s33, 0
	v_add_nc_u64_e32 v[6:7], s[36:37], v[14:15]
	s_cselect_b32 s1, -1, 0
	v_cmp_ne_u32_e64 s0, 1, v10
	s_lshl_b64 s[6:7], s[14:15], 4
	s_lshl_b64 s[14:15], s[20:21], 4
	;; [unrolled: 1-line block ×4, first 2 shown]
	s_branch .LBB212_3
.LBB212_2:                              ;   in Loop: Header=BB212_3 Depth=1
	s_add_co_i32 s2, s2, 0x10000
	s_delay_alu instid0(SALU_CYCLE_1)
	s_cmp_lt_i32 s2, s31
	s_cbranch_scc0 .LBB212_10
.LBB212_3:                              ; =>This Loop Header: Depth=1
                                        ;     Child Loop BB212_5 Depth 2
	s_wait_xcnt 0x0
	v_dual_mov_b32 v14, s2 :: v_dual_mov_b32 v24, 0
	v_dual_mov_b32 v23, 0 :: v_dual_mov_b32 v25, 0
	v_mov_b32_e32 v22, 0
	s_clause 0x1
	global_load_b64 v[10:11], v14, s[12:13] scale_offset
	global_load_b64 v[12:13], v14, s[18:19] scale_offset
	s_and_b32 vcc_lo, exec_lo, s0
	s_cbranch_vccnz .LBB212_6
; %bb.4:                                ;   in Loop: Header=BB212_3 Depth=1
	v_dual_mov_b32 v22, 0 :: v_dual_mov_b32 v25, 0
	s_lshl_b64 s[22:23], s[2:3], 3
	v_dual_mov_b32 v23, 0 :: v_dual_mov_b32 v24, 0
	s_add_nc_u64 s[24:25], s[10:11], s[22:23]
	s_add_nc_u64 s[22:23], s[4:5], s[22:23]
	s_clause 0x1
	global_load_b64 v[14:15], v22, s[24:25]
	global_load_b64 v[16:17], v22, s[22:23]
	s_wait_xcnt 0x0
	s_mov_b64 s[22:23], 0
	s_wait_loadcnt 0x1
	v_add_nc_u64_e32 v[14:15], v[14:15], v[6:7]
	s_wait_loadcnt 0x0
	v_add_nc_u64_e32 v[16:17], v[16:17], v[0:1]
.LBB212_5:                              ;   Parent Loop BB212_3 Depth=1
                                        ; =>  This Inner Loop Header: Depth=2
	s_delay_alu instid0(VALU_DEP_1) | instskip(SKIP_1) | instid1(SALU_CYCLE_1)
	v_add_nc_u64_e32 v[26:27], s[22:23], v[16:17]
	s_add_nc_u64 s[22:23], s[22:23], 8
	v_cmp_lt_i64_e64 s24, s[22:23], s[28:29]
	flat_load_i8 v26, v[26:27]
	s_and_b32 vcc_lo, exec_lo, s24
	s_wait_loadcnt_dscnt 0x0
	ds_store_b32 v18, v26
	flat_load_i8 v26, v[14:15]
	s_wait_xcnt 0x0
	v_add_nc_u64_e32 v[14:15], s[8:9], v[14:15]
	s_wait_loadcnt_dscnt 0x0
	ds_store_b32 v19, v26
	s_wait_dscnt 0x0
	s_barrier_signal -1
	s_barrier_wait -1
	ds_load_2addr_b32 v[42:43], v20 offset1:16
	ds_load_b128 v[26:29], v21
	ds_load_b128 v[30:33], v21 offset:512
	ds_load_2addr_b32 v[44:45], v20 offset0:32 offset1:48
	ds_load_b128 v[34:37], v21 offset:16
	ds_load_b128 v[38:41], v21 offset:528
	s_wait_dscnt 0x4
	v_mad_u32 v25, v26, v42, v25
	s_wait_dscnt 0x3
	v_mad_u32 v42, v30, v42, v23
	v_mad_u32 v24, v26, v43, v24
	v_mad_u32 v26, v30, v43, v22
	ds_load_2addr_b32 v[22:23], v20 offset0:64 offset1:80
	s_wait_dscnt 0x3
	v_mad_u32 v30, v27, v44, v25
	v_mad_u32 v42, v31, v44, v42
	v_mad_u32 v27, v27, v45, v24
	v_mad_u32 v26, v31, v45, v26
	ds_load_2addr_b32 v[24:25], v20 offset0:96 offset1:112
	s_wait_dscnt 0x1
	v_mad_u32 v30, v28, v22, v30
	;; [unrolled: 6-line block ×5, first 2 shown]
	v_mad_u32 v24, v39, v24, v29
	v_mad_u32 v29, v35, v25, v27
	;; [unrolled: 1-line block ×3, first 2 shown]
	ds_load_2addr_b32 v[26:27], v20 offset0:224 offset1:240
	s_wait_dscnt 0x0
	s_barrier_signal -1
	s_barrier_wait -1
	v_mad_u32 v28, v36, v22, v28
	v_mad_u32 v22, v40, v22, v24
	;; [unrolled: 1-line block ×4, first 2 shown]
	s_delay_alu instid0(VALU_DEP_4) | instskip(NEXT) | instid1(VALU_DEP_4)
	v_mad_u32 v25, v37, v26, v28
	v_mad_u32 v23, v41, v26, v22
	s_delay_alu instid0(VALU_DEP_4) | instskip(NEXT) | instid1(VALU_DEP_4)
	v_mad_u32 v24, v37, v27, v24
	v_mad_u32 v22, v41, v27, v29
	s_cbranch_vccnz .LBB212_5
.LBB212_6:                              ;   in Loop: Header=BB212_3 Depth=1
	s_wait_loadcnt 0x0
	v_add_nc_u64_e32 v[12:13], s[20:21], v[12:13]
	v_mul_lo_u32 v16, v25, s30
	s_delay_alu instid0(VALU_DEP_4)
	v_mul_lo_u32 v17, v24, s30
	v_mul_lo_u32 v23, v23, s30
	;; [unrolled: 1-line block ×3, first 2 shown]
	s_and_not1_b32 vcc_lo, exec_lo, s1
	s_wait_xcnt 0x0
	v_lshl_add_u64 v[14:15], v[4:5], 2, v[12:13]
	s_delay_alu instid0(VALU_DEP_1)
	v_add_nc_u64_e32 v[12:13], v[14:15], v[8:9]
	v_lshl_add_u64 v[14:15], s[14:15], 2, v[14:15]
	s_cbranch_vccnz .LBB212_8
; %bb.7:                                ;   in Loop: Header=BB212_3 Depth=1
	v_add_nc_u64_e32 v[10:11], s[16:17], v[10:11]
	s_delay_alu instid0(VALU_DEP_1) | instskip(NEXT) | instid1(VALU_DEP_1)
	v_lshl_add_u64 v[10:11], v[2:3], 2, v[10:11]
	v_add_nc_u64_e32 v[24:25], v[10:11], v[8:9]
	v_lshl_add_u64 v[10:11], s[6:7], 2, v[10:11]
	s_delay_alu instid0(VALU_DEP_1)
	v_add_nc_u64_e32 v[10:11], v[10:11], v[8:9]
	flat_load_b32 v26, v[24:25]
	s_wait_loadcnt_dscnt 0x0
	v_mad_u32 v26, v26, s33, v16
	flat_store_b32 v[12:13], v26
	flat_load_b32 v24, v[24:25] offset:64
	s_wait_loadcnt_dscnt 0x0
	s_wait_xcnt 0x0
	v_mad_u32 v24, v24, s33, v17
	flat_store_b32 v[12:13], v24 offset:64
	flat_load_b32 v24, v[10:11]
	s_wait_loadcnt_dscnt 0x0
	v_mad_u32 v26, v24, s33, v23
	v_add_nc_u64_e32 v[24:25], v[14:15], v[8:9]
	flat_store_b32 v[24:25], v26
	flat_load_b32 v10, v[10:11] offset:64
	s_wait_loadcnt_dscnt 0x0
	s_wait_xcnt 0x0
	v_mad_u32 v10, v10, s33, v22
	flat_store_b32 v[24:25], v10 offset:64
	s_cbranch_execnz .LBB212_2
	s_branch .LBB212_9
.LBB212_8:                              ;   in Loop: Header=BB212_3 Depth=1
.LBB212_9:                              ;   in Loop: Header=BB212_3 Depth=1
	s_wait_xcnt 0x0
	s_delay_alu instid0(VALU_DEP_1)
	v_add_nc_u64_e32 v[10:11], v[14:15], v[8:9]
	s_clause 0x3
	flat_store_b32 v[12:13], v16
	flat_store_b32 v[12:13], v17 offset:64
	flat_store_b32 v[10:11], v23
	flat_store_b32 v[10:11], v22 offset:64
	s_branch .LBB212_2
.LBB212_10:
	s_endpgm
	.section	.rodata,"a",@progbits
	.p2align	6, 0x0
	.amdhsa_kernel _ZN12_GLOBAL__N_127rocblas_gemm_batched_kernelIiLi16ELi16ELi32ELi32ELi8ELi32ELi8ELi8ELi32ELc84ELc67EKPKaKPKiKPiEEvlllT_PT11_llSB_llS9_PT12_llPT13_lli
		.amdhsa_group_segment_fixed_size 2048
		.amdhsa_private_segment_fixed_size 0
		.amdhsa_kernarg_size 140
		.amdhsa_user_sgpr_count 2
		.amdhsa_user_sgpr_dispatch_ptr 0
		.amdhsa_user_sgpr_queue_ptr 0
		.amdhsa_user_sgpr_kernarg_segment_ptr 1
		.amdhsa_user_sgpr_dispatch_id 0
		.amdhsa_user_sgpr_kernarg_preload_length 0
		.amdhsa_user_sgpr_kernarg_preload_offset 0
		.amdhsa_user_sgpr_private_segment_size 0
		.amdhsa_wavefront_size32 1
		.amdhsa_uses_dynamic_stack 0
		.amdhsa_enable_private_segment 0
		.amdhsa_system_sgpr_workgroup_id_x 1
		.amdhsa_system_sgpr_workgroup_id_y 1
		.amdhsa_system_sgpr_workgroup_id_z 1
		.amdhsa_system_sgpr_workgroup_info 0
		.amdhsa_system_vgpr_workitem_id 1
		.amdhsa_next_free_vgpr 46
		.amdhsa_next_free_sgpr 38
		.amdhsa_named_barrier_count 0
		.amdhsa_reserve_vcc 1
		.amdhsa_float_round_mode_32 0
		.amdhsa_float_round_mode_16_64 0
		.amdhsa_float_denorm_mode_32 3
		.amdhsa_float_denorm_mode_16_64 3
		.amdhsa_fp16_overflow 0
		.amdhsa_memory_ordered 1
		.amdhsa_forward_progress 1
		.amdhsa_inst_pref_size 12
		.amdhsa_round_robin_scheduling 0
		.amdhsa_exception_fp_ieee_invalid_op 0
		.amdhsa_exception_fp_denorm_src 0
		.amdhsa_exception_fp_ieee_div_zero 0
		.amdhsa_exception_fp_ieee_overflow 0
		.amdhsa_exception_fp_ieee_underflow 0
		.amdhsa_exception_fp_ieee_inexact 0
		.amdhsa_exception_int_div_zero 0
	.end_amdhsa_kernel
	.section	.text._ZN12_GLOBAL__N_127rocblas_gemm_batched_kernelIiLi16ELi16ELi32ELi32ELi8ELi32ELi8ELi8ELi32ELc84ELc67EKPKaKPKiKPiEEvlllT_PT11_llSB_llS9_PT12_llPT13_lli,"axG",@progbits,_ZN12_GLOBAL__N_127rocblas_gemm_batched_kernelIiLi16ELi16ELi32ELi32ELi8ELi32ELi8ELi8ELi32ELc84ELc67EKPKaKPKiKPiEEvlllT_PT11_llSB_llS9_PT12_llPT13_lli,comdat
.Lfunc_end212:
	.size	_ZN12_GLOBAL__N_127rocblas_gemm_batched_kernelIiLi16ELi16ELi32ELi32ELi8ELi32ELi8ELi8ELi32ELc84ELc67EKPKaKPKiKPiEEvlllT_PT11_llSB_llS9_PT12_llPT13_lli, .Lfunc_end212-_ZN12_GLOBAL__N_127rocblas_gemm_batched_kernelIiLi16ELi16ELi32ELi32ELi8ELi32ELi8ELi8ELi32ELc84ELc67EKPKaKPKiKPiEEvlllT_PT11_llSB_llS9_PT12_llPT13_lli
                                        ; -- End function
	.set _ZN12_GLOBAL__N_127rocblas_gemm_batched_kernelIiLi16ELi16ELi32ELi32ELi8ELi32ELi8ELi8ELi32ELc84ELc67EKPKaKPKiKPiEEvlllT_PT11_llSB_llS9_PT12_llPT13_lli.num_vgpr, 46
	.set _ZN12_GLOBAL__N_127rocblas_gemm_batched_kernelIiLi16ELi16ELi32ELi32ELi8ELi32ELi8ELi8ELi32ELc84ELc67EKPKaKPKiKPiEEvlllT_PT11_llSB_llS9_PT12_llPT13_lli.num_agpr, 0
	.set _ZN12_GLOBAL__N_127rocblas_gemm_batched_kernelIiLi16ELi16ELi32ELi32ELi8ELi32ELi8ELi8ELi32ELc84ELc67EKPKaKPKiKPiEEvlllT_PT11_llSB_llS9_PT12_llPT13_lli.numbered_sgpr, 38
	.set _ZN12_GLOBAL__N_127rocblas_gemm_batched_kernelIiLi16ELi16ELi32ELi32ELi8ELi32ELi8ELi8ELi32ELc84ELc67EKPKaKPKiKPiEEvlllT_PT11_llSB_llS9_PT12_llPT13_lli.num_named_barrier, 0
	.set _ZN12_GLOBAL__N_127rocblas_gemm_batched_kernelIiLi16ELi16ELi32ELi32ELi8ELi32ELi8ELi8ELi32ELc84ELc67EKPKaKPKiKPiEEvlllT_PT11_llSB_llS9_PT12_llPT13_lli.private_seg_size, 0
	.set _ZN12_GLOBAL__N_127rocblas_gemm_batched_kernelIiLi16ELi16ELi32ELi32ELi8ELi32ELi8ELi8ELi32ELc84ELc67EKPKaKPKiKPiEEvlllT_PT11_llSB_llS9_PT12_llPT13_lli.uses_vcc, 1
	.set _ZN12_GLOBAL__N_127rocblas_gemm_batched_kernelIiLi16ELi16ELi32ELi32ELi8ELi32ELi8ELi8ELi32ELc84ELc67EKPKaKPKiKPiEEvlllT_PT11_llSB_llS9_PT12_llPT13_lli.uses_flat_scratch, 1
	.set _ZN12_GLOBAL__N_127rocblas_gemm_batched_kernelIiLi16ELi16ELi32ELi32ELi8ELi32ELi8ELi8ELi32ELc84ELc67EKPKaKPKiKPiEEvlllT_PT11_llSB_llS9_PT12_llPT13_lli.has_dyn_sized_stack, 0
	.set _ZN12_GLOBAL__N_127rocblas_gemm_batched_kernelIiLi16ELi16ELi32ELi32ELi8ELi32ELi8ELi8ELi32ELc84ELc67EKPKaKPKiKPiEEvlllT_PT11_llSB_llS9_PT12_llPT13_lli.has_recursion, 0
	.set _ZN12_GLOBAL__N_127rocblas_gemm_batched_kernelIiLi16ELi16ELi32ELi32ELi8ELi32ELi8ELi8ELi32ELc84ELc67EKPKaKPKiKPiEEvlllT_PT11_llSB_llS9_PT12_llPT13_lli.has_indirect_call, 0
	.section	.AMDGPU.csdata,"",@progbits
; Kernel info:
; codeLenInByte = 1496
; TotalNumSgprs: 40
; NumVgprs: 46
; ScratchSize: 0
; MemoryBound: 0
; FloatMode: 240
; IeeeMode: 1
; LDSByteSize: 2048 bytes/workgroup (compile time only)
; SGPRBlocks: 0
; VGPRBlocks: 2
; NumSGPRsForWavesPerEU: 40
; NumVGPRsForWavesPerEU: 46
; NamedBarCnt: 0
; Occupancy: 16
; WaveLimiterHint : 1
; COMPUTE_PGM_RSRC2:SCRATCH_EN: 0
; COMPUTE_PGM_RSRC2:USER_SGPR: 2
; COMPUTE_PGM_RSRC2:TRAP_HANDLER: 0
; COMPUTE_PGM_RSRC2:TGID_X_EN: 1
; COMPUTE_PGM_RSRC2:TGID_Y_EN: 1
; COMPUTE_PGM_RSRC2:TGID_Z_EN: 1
; COMPUTE_PGM_RSRC2:TIDIG_COMP_CNT: 1
	.section	.text._ZN12_GLOBAL__N_135rocblas_gemm_batched_general_kernelIiLi16ELi16ELi32ELi32ELi8ELi32ELi8ELi8ELi32ELc78ELc78EKPKaKPKiKPiEEvlllT_PT11_llSB_llS9_PT12_llPT13_lli,"axG",@progbits,_ZN12_GLOBAL__N_135rocblas_gemm_batched_general_kernelIiLi16ELi16ELi32ELi32ELi8ELi32ELi8ELi8ELi32ELc78ELc78EKPKaKPKiKPiEEvlllT_PT11_llSB_llS9_PT12_llPT13_lli,comdat
	.globl	_ZN12_GLOBAL__N_135rocblas_gemm_batched_general_kernelIiLi16ELi16ELi32ELi32ELi8ELi32ELi8ELi8ELi32ELc78ELc78EKPKaKPKiKPiEEvlllT_PT11_llSB_llS9_PT12_llPT13_lli ; -- Begin function _ZN12_GLOBAL__N_135rocblas_gemm_batched_general_kernelIiLi16ELi16ELi32ELi32ELi8ELi32ELi8ELi8ELi32ELc78ELc78EKPKaKPKiKPiEEvlllT_PT11_llSB_llS9_PT12_llPT13_lli
	.p2align	8
	.type	_ZN12_GLOBAL__N_135rocblas_gemm_batched_general_kernelIiLi16ELi16ELi32ELi32ELi8ELi32ELi8ELi8ELi32ELc78ELc78EKPKaKPKiKPiEEvlllT_PT11_llSB_llS9_PT12_llPT13_lli,@function
_ZN12_GLOBAL__N_135rocblas_gemm_batched_general_kernelIiLi16ELi16ELi32ELi32ELi8ELi32ELi8ELi8ELi32ELc78ELc78EKPKaKPKiKPiEEvlllT_PT11_llSB_llS9_PT12_llPT13_lli: ; @_ZN12_GLOBAL__N_135rocblas_gemm_batched_general_kernelIiLi16ELi16ELi32ELi32ELi8ELi32ELi8ELi8ELi32ELc78ELc78EKPKaKPKiKPiEEvlllT_PT11_llSB_llS9_PT12_llPT13_lli
; %bb.0:
	s_load_b32 s33, s[0:1], 0x88
	s_bfe_u32 s2, ttmp6, 0x40014
	s_lshr_b32 s3, ttmp7, 16
	s_add_co_i32 s2, s2, 1
	s_bfe_u32 s5, ttmp6, 0x40008
	s_mul_i32 s4, s3, s2
	s_getreg_b32 s2, hwreg(HW_REG_IB_STS2, 6, 4)
	s_add_co_i32 s5, s5, s4
	s_cmp_eq_u32 s2, 0
	s_mov_b32 s35, 0
	s_cselect_b32 s34, s3, s5
	s_wait_kmcnt 0x0
	s_cmp_ge_i32 s34, s33
	s_cbranch_scc1 .LBB213_34
; %bb.1:
	v_bfe_u32 v10, v0, 10, 10
	v_and_b32_e32 v12, 0x3ff, v0
	s_clause 0x6
	s_load_b128 s[4:7], s[0:1], 0x0
	s_load_b96 s[36:38], s[0:1], 0x10
	s_load_b256 s[8:15], s[0:1], 0x20
	s_load_b128 s[28:31], s[0:1], 0x40
	s_load_b32 s39, s[0:1], 0x50
	s_load_b128 s[24:27], s[0:1], 0x78
	s_load_b256 s[16:23], s[0:1], 0x58
	s_wait_xcnt 0x0
	s_bfe_u32 s0, ttmp6, 0x4000c
	s_bfe_u32 s3, ttmp6, 0x40010
	s_add_co_i32 s0, s0, 1
	s_and_b32 s40, ttmp7, 0xffff
	s_add_co_i32 s3, s3, 1
	v_lshl_add_u32 v1, v10, 4, v12
	v_mov_b32_e32 v11, 0
	s_and_b32 s1, ttmp6, 15
	s_mul_i32 s0, ttmp9, s0
	s_mul_i32 s3, s40, s3
	s_bfe_u32 s41, ttmp6, 0x40004
	s_add_co_i32 s1, s1, s0
	s_add_co_i32 s41, s41, s3
	s_cmp_eq_u32 s2, 0
	v_dual_mov_b32 v5, v11 :: v_dual_lshrrev_b32 v4, 3, v1
	v_mov_b32_e32 v13, v11
	s_cselect_b32 s2, s40, s41
	s_cselect_b32 s0, ttmp9, s1
	s_lshl_b32 s2, s2, 5
	s_mov_b32 s3, s35
	v_dual_lshrrev_b32 v2, 5, v1 :: v_dual_bitop2_b32 v0, 7, v0 bitop3:0x40
	v_add_nc_u64_e32 v[14:15], s[2:3], v[4:5]
	v_add_nc_u64_e32 v[20:21], s[2:3], v[10:11]
	v_dual_mov_b32 v17, v11 :: v_dual_bitop2_b32 v16, 31, v1 bitop3:0x40
	s_delay_alu instid0(VALU_DEP_4) | instskip(SKIP_2) | instid1(VALU_DEP_4)
	v_dual_lshlrev_b32 v1, 2, v0 :: v_dual_mov_b32 v3, v11
	s_ashr_i32 s1, s0, 31
	s_wait_kmcnt 0x0
	v_mad_nc_u64_u32 v[18:19], s28, v14, s[30:31]
	s_lshl_b64 s[0:1], s[0:1], 5
	v_lshl_or_b32 v27, v4, 5, v1
	v_mul_u64_e32 v[4:5], s[18:19], v[20:21]
	v_mul_u64_e32 v[6:7], s[24:25], v[20:21]
	s_add_nc_u64 s[2:3], s[0:1], s[12:13]
	v_add_nc_u64_e32 v[8:9], s[0:1], v[12:13]
	v_mad_nc_u64_u32 v[24:25], s10, v2, s[2:3]
	v_dual_mov_b32 v23, s1 :: v_dual_bitop2_b32 v22, s0, v16 bitop3:0x54
	v_lshlrev_b32_e32 v28, 2, v12
	v_mad_u32 v19, s29, v14, v19
	v_dual_mov_b32 v1, v11 :: v_dual_lshlrev_b32 v26, 2, v16
	s_delay_alu instid0(VALU_DEP_4)
	v_cmp_gt_i64_e64 s0, s[4:5], v[22:23]
	v_add_nc_u64_e32 v[12:13], 16, v[8:9]
	v_add_nc_u64_e32 v[22:23], 16, v[20:21]
	v_cmp_gt_i64_e64 s1, s[6:7], v[14:15]
	v_mad_u32 v25, s11, v2, v25
	v_lshl_add_u32 v29, v10, 5, 0x400
	v_cmp_gt_i64_e64 s2, s[6:7], v[20:21]
	v_cmp_gt_i64_e64 s3, s[4:5], v[8:9]
	v_mad_u32 v19, s28, v15, v19
	v_cmp_gt_i64_e64 s4, s[4:5], v[12:13]
	v_cmp_gt_i64_e64 s5, s[6:7], v[22:23]
	;; [unrolled: 1-line block ×3, first 2 shown]
	v_lshl_or_b32 v26, v2, 7, v26
	v_add_nc_u32_e32 v27, 0x400, v27
	s_cmp_lg_u32 s39, 0
	v_add_nc_u64_e32 v[12:13], v[24:25], v[16:17]
	s_cselect_b32 s28, -1, 0
	s_lshl_b64 s[6:7], s[18:19], 4
	s_lshl_b64 s[12:13], s[24:25], 4
	v_add_nc_u64_e32 v[10:11], v[18:19], v[0:1]
	s_lshl_b64 s[10:11], s[10:11], 3
	s_lshl_b64 s[18:19], s[26:27], 2
	;; [unrolled: 1-line block ×3, first 2 shown]
	s_branch .LBB213_4
.LBB213_2:                              ;   in Loop: Header=BB213_4 Depth=1
	s_wait_xcnt 0x0
	s_or_b32 exec_lo, exec_lo, s24
.LBB213_3:                              ;   in Loop: Header=BB213_4 Depth=1
	s_add_co_i32 s34, s34, 0x10000
	s_delay_alu instid0(SALU_CYCLE_1)
	s_cmp_lt_i32 s34, s33
	s_cbranch_scc0 .LBB213_34
.LBB213_4:                              ; =>This Loop Header: Depth=1
                                        ;     Child Loop BB213_7 Depth 2
	s_wait_xcnt 0x0
	v_dual_mov_b32 v18, s34 :: v_dual_mov_b32 v33, 0
	v_dual_mov_b32 v32, 0 :: v_dual_mov_b32 v30, 0
	v_mov_b32_e32 v31, 0
	s_clause 0x1
	global_load_b64 v[14:15], v18, s[16:17] scale_offset
	global_load_b64 v[16:17], v18, s[22:23] scale_offset
	s_and_not1_b32 vcc_lo, exec_lo, s29
	s_cbranch_vccnz .LBB213_11
; %bb.5:                                ;   in Loop: Header=BB213_4 Depth=1
	v_dual_mov_b32 v32, 0 :: v_dual_mov_b32 v33, 0
	s_lshl_b64 s[24:25], s[34:35], 3
	v_dual_mov_b32 v31, 0 :: v_dual_mov_b32 v30, 0
	s_add_nc_u64 s[26:27], s[14:15], s[24:25]
	s_add_nc_u64 s[24:25], s[8:9], s[24:25]
	s_clause 0x1
	global_load_b64 v[18:19], v32, s[26:27]
	global_load_b64 v[20:21], v32, s[24:25]
	s_wait_xcnt 0x0
	s_mov_b64 s[24:25], 0
	s_wait_loadcnt 0x1
	v_add_nc_u64_e32 v[18:19], v[18:19], v[10:11]
	s_wait_loadcnt 0x0
	v_add_nc_u64_e32 v[20:21], v[20:21], v[12:13]
	s_branch .LBB213_7
.LBB213_6:                              ;   in Loop: Header=BB213_7 Depth=2
	s_wait_xcnt 0x0
	s_or_b32 exec_lo, exec_lo, s26
	s_wait_loadcnt_dscnt 0x0
	ds_store_b32 v27, v23
	s_wait_dscnt 0x0
	s_barrier_signal -1
	s_barrier_wait -1
	ds_load_b128 v[22:25], v29
	ds_load_2addr_b32 v[46:47], v28 offset1:16
	ds_load_b128 v[34:37], v29 offset:512
	ds_load_2addr_b32 v[48:49], v28 offset0:32 offset1:48
	ds_load_b128 v[38:41], v29 offset:16
	ds_load_2addr_b32 v[50:51], v28 offset0:64 offset1:80
	ds_load_b128 v[42:45], v29 offset:528
	s_add_nc_u64 s[24:25], s[24:25], 8
	v_add_nc_u64_e32 v[20:21], s[10:11], v[20:21]
	v_cmp_lt_i64_e64 s26, s[24:25], s[36:37]
	s_and_b32 vcc_lo, exec_lo, s26
	s_wait_dscnt 0x5
	v_mad_u32 v32, v22, v46, v32
	v_mad_u32 v22, v22, v47, v33
	s_wait_dscnt 0x4
	v_mad_u32 v33, v34, v46, v31
	v_mad_u32 v34, v34, v47, v30
	ds_load_2addr_b32 v[30:31], v28 offset0:96 offset1:112
	s_wait_dscnt 0x4
	v_mad_u32 v32, v23, v48, v32
	v_mad_u32 v46, v23, v49, v22
	v_mad_u32 v33, v35, v48, v33
	v_mad_u32 v34, v35, v49, v34
	ds_load_2addr_b32 v[22:23], v28 offset0:128 offset1:144
	s_wait_dscnt 0x3
	v_mad_u32 v35, v24, v50, v32
	v_mad_u32 v24, v24, v51, v46
	;; [unrolled: 6-line block ×4, first 2 shown]
	v_mad_u32 v30, v42, v22, v30
	v_mad_u32 v31, v42, v23, v31
	ds_load_2addr_b32 v[22:23], v28 offset0:224 offset1:240
	s_wait_dscnt 0x0
	s_barrier_signal -1
	s_barrier_wait -1
	v_mad_u32 v34, v39, v32, v34
	v_mad_u32 v35, v39, v33, v35
	;; [unrolled: 1-line block ×4, first 2 shown]
	s_delay_alu instid0(VALU_DEP_4) | instskip(NEXT) | instid1(VALU_DEP_4)
	v_mad_u32 v32, v40, v24, v34
	v_mad_u32 v33, v40, v25, v35
	s_delay_alu instid0(VALU_DEP_4) | instskip(NEXT) | instid1(VALU_DEP_4)
	v_mad_u32 v24, v44, v24, v30
	v_mad_u32 v25, v44, v25, v31
	;; [unrolled: 3-line block ×4, first 2 shown]
	s_cbranch_vccz .LBB213_11
.LBB213_7:                              ;   Parent Loop BB213_4 Depth=1
                                        ; =>  This Inner Loop Header: Depth=2
	v_add_nc_u64_e32 v[22:23], s[24:25], v[2:3]
	s_delay_alu instid0(VALU_DEP_1) | instskip(SKIP_2) | instid1(SALU_CYCLE_1)
	v_cmp_gt_i64_e32 vcc_lo, s[36:37], v[22:23]
	v_mov_b32_e32 v22, 0
	s_and_b32 s27, s0, vcc_lo
	s_and_saveexec_b32 s26, s27
	s_cbranch_execz .LBB213_9
; %bb.8:                                ;   in Loop: Header=BB213_7 Depth=2
	flat_load_i8 v22, v[20:21]
.LBB213_9:                              ;   in Loop: Header=BB213_7 Depth=2
	s_wait_xcnt 0x0
	s_or_b32 exec_lo, exec_lo, s26
	v_add_nc_u64_e32 v[24:25], s[24:25], v[0:1]
	v_mov_b32_e32 v23, 0
	s_wait_loadcnt_dscnt 0x0
	ds_store_b32 v26, v22
	v_cmp_gt_i64_e32 vcc_lo, s[36:37], v[24:25]
	s_and_b32 s27, vcc_lo, s1
	s_delay_alu instid0(SALU_CYCLE_1)
	s_and_saveexec_b32 s26, s27
	s_cbranch_execz .LBB213_6
; %bb.10:                               ;   in Loop: Header=BB213_7 Depth=2
	v_add_nc_u64_e32 v[22:23], s[24:25], v[18:19]
	flat_load_i8 v23, v[22:23]
	s_branch .LBB213_6
.LBB213_11:                             ;   in Loop: Header=BB213_4 Depth=1
	s_wait_loadcnt 0x0
	v_add_nc_u64_e32 v[16:17], s[18:19], v[16:17]
	s_and_not1_b32 vcc_lo, exec_lo, s28
	s_cbranch_vccnz .LBB213_16
; %bb.12:                               ;   in Loop: Header=BB213_4 Depth=1
	s_wait_xcnt 0x0
	s_and_saveexec_b32 s24, s2
	s_cbranch_execz .LBB213_23
; %bb.13:                               ;   in Loop: Header=BB213_4 Depth=1
	v_add_nc_u64_e32 v[18:19], s[20:21], v[14:15]
	v_lshlrev_b64_e32 v[14:15], 2, v[8:9]
	v_lshl_add_u64 v[20:21], v[6:7], 2, v[16:17]
	s_delay_alu instid0(VALU_DEP_3) | instskip(NEXT) | instid1(VALU_DEP_2)
	v_lshl_add_u64 v[18:19], v[4:5], 2, v[18:19]
	v_add_nc_u64_e32 v[22:23], v[20:21], v[14:15]
	s_delay_alu instid0(VALU_DEP_2)
	v_add_nc_u64_e32 v[24:25], v[18:19], v[14:15]
	s_and_saveexec_b32 s25, s3
	s_cbranch_execnz .LBB213_17
; %bb.14:                               ;   in Loop: Header=BB213_4 Depth=1
	s_or_b32 exec_lo, exec_lo, s25
	s_and_saveexec_b32 s25, s4
	s_cbranch_execnz .LBB213_18
.LBB213_15:                             ;   in Loop: Header=BB213_4 Depth=1
	s_or_b32 exec_lo, exec_lo, s25
	s_delay_alu instid0(SALU_CYCLE_1)
	s_and_b32 exec_lo, exec_lo, s5
	s_cbranch_execnz .LBB213_19
	s_branch .LBB213_23
.LBB213_16:                             ;   in Loop: Header=BB213_4 Depth=1
	s_branch .LBB213_24
.LBB213_17:                             ;   in Loop: Header=BB213_4 Depth=1
	flat_load_b32 v34, v[24:25]
	v_mul_lo_u32 v35, v32, s38
	s_wait_loadcnt_dscnt 0x0
	s_delay_alu instid0(VALU_DEP_1)
	v_mad_u32 v34, v34, s39, v35
	flat_store_b32 v[22:23], v34
	s_wait_xcnt 0x0
	s_or_b32 exec_lo, exec_lo, s25
	s_and_saveexec_b32 s25, s4
	s_cbranch_execz .LBB213_15
.LBB213_18:                             ;   in Loop: Header=BB213_4 Depth=1
	flat_load_b32 v24, v[24:25] offset:64
	s_wait_xcnt 0x0
	v_mul_lo_u32 v25, v33, s38
	s_wait_loadcnt_dscnt 0x0
	s_delay_alu instid0(VALU_DEP_1) | instskip(SKIP_3) | instid1(SALU_CYCLE_1)
	v_mad_u32 v24, v24, s39, v25
	flat_store_b32 v[22:23], v24 offset:64
	s_wait_xcnt 0x0
	s_or_b32 exec_lo, exec_lo, s25
	s_and_b32 exec_lo, exec_lo, s5
	s_cbranch_execz .LBB213_23
.LBB213_19:                             ;   in Loop: Header=BB213_4 Depth=1
	v_lshl_add_u64 v[18:19], s[6:7], 2, v[18:19]
	v_lshl_add_u64 v[20:21], s[12:13], 2, v[20:21]
	s_delay_alu instid0(VALU_DEP_2) | instskip(NEXT) | instid1(VALU_DEP_2)
	v_add_nc_u64_e32 v[18:19], v[18:19], v[14:15]
	v_add_nc_u64_e32 v[14:15], v[20:21], v[14:15]
	s_and_saveexec_b32 s25, s3
	s_cbranch_execz .LBB213_21
; %bb.20:                               ;   in Loop: Header=BB213_4 Depth=1
	flat_load_b32 v20, v[18:19]
	v_mul_lo_u32 v21, v31, s38
	s_wait_loadcnt_dscnt 0x0
	s_delay_alu instid0(VALU_DEP_1)
	v_mad_u32 v20, v20, s39, v21
	flat_store_b32 v[14:15], v20
.LBB213_21:                             ;   in Loop: Header=BB213_4 Depth=1
	s_wait_xcnt 0x0
	s_or_b32 exec_lo, exec_lo, s25
	s_delay_alu instid0(SALU_CYCLE_1)
	s_and_b32 exec_lo, exec_lo, s4
	s_cbranch_execz .LBB213_23
; %bb.22:                               ;   in Loop: Header=BB213_4 Depth=1
	flat_load_b32 v18, v[18:19] offset:64
	s_wait_xcnt 0x0
	v_mul_lo_u32 v19, v30, s38
	s_wait_loadcnt_dscnt 0x0
	s_delay_alu instid0(VALU_DEP_1)
	v_mad_u32 v18, v18, s39, v19
	flat_store_b32 v[14:15], v18 offset:64
.LBB213_23:                             ;   in Loop: Header=BB213_4 Depth=1
	s_wait_xcnt 0x0
	s_or_b32 exec_lo, exec_lo, s24
	s_cbranch_execnz .LBB213_3
.LBB213_24:                             ;   in Loop: Header=BB213_4 Depth=1
	s_wait_xcnt 0x0
	s_and_saveexec_b32 s24, s2
	s_cbranch_execz .LBB213_2
; %bb.25:                               ;   in Loop: Header=BB213_4 Depth=1
	v_lshl_add_u64 v[14:15], v[6:7], 2, v[16:17]
	s_delay_alu instid0(VALU_DEP_1)
	v_lshl_add_u64 v[16:17], v[8:9], 2, v[14:15]
	s_and_saveexec_b32 s25, s3
	s_cbranch_execnz .LBB213_28
; %bb.26:                               ;   in Loop: Header=BB213_4 Depth=1
	s_or_b32 exec_lo, exec_lo, s25
	s_and_saveexec_b32 s25, s4
	s_cbranch_execnz .LBB213_29
.LBB213_27:                             ;   in Loop: Header=BB213_4 Depth=1
	s_or_b32 exec_lo, exec_lo, s25
	s_delay_alu instid0(SALU_CYCLE_1)
	s_and_b32 exec_lo, exec_lo, s5
	s_cbranch_execz .LBB213_2
	s_branch .LBB213_30
.LBB213_28:                             ;   in Loop: Header=BB213_4 Depth=1
	v_mul_lo_u32 v18, v32, s38
	flat_store_b32 v[16:17], v18
	s_wait_xcnt 0x0
	s_or_b32 exec_lo, exec_lo, s25
	s_and_saveexec_b32 s25, s4
	s_cbranch_execz .LBB213_27
.LBB213_29:                             ;   in Loop: Header=BB213_4 Depth=1
	v_mul_lo_u32 v18, v33, s38
	flat_store_b32 v[16:17], v18 offset:64
	s_wait_xcnt 0x0
	s_or_b32 exec_lo, exec_lo, s25
	s_delay_alu instid0(SALU_CYCLE_1)
	s_and_b32 exec_lo, exec_lo, s5
	s_cbranch_execz .LBB213_2
.LBB213_30:                             ;   in Loop: Header=BB213_4 Depth=1
	v_lshl_add_u64 v[14:15], s[12:13], 2, v[14:15]
	s_delay_alu instid0(VALU_DEP_1)
	v_lshl_add_u64 v[14:15], v[8:9], 2, v[14:15]
	s_and_saveexec_b32 s25, s3
	s_cbranch_execz .LBB213_32
; %bb.31:                               ;   in Loop: Header=BB213_4 Depth=1
	v_mul_lo_u32 v16, v31, s38
	flat_store_b32 v[14:15], v16
.LBB213_32:                             ;   in Loop: Header=BB213_4 Depth=1
	s_wait_xcnt 0x0
	s_or_b32 exec_lo, exec_lo, s25
	s_delay_alu instid0(SALU_CYCLE_1)
	s_and_b32 exec_lo, exec_lo, s4
	s_cbranch_execz .LBB213_2
; %bb.33:                               ;   in Loop: Header=BB213_4 Depth=1
	v_mul_lo_u32 v16, v30, s38
	flat_store_b32 v[14:15], v16 offset:64
	s_branch .LBB213_2
.LBB213_34:
	s_endpgm
	.section	.rodata,"a",@progbits
	.p2align	6, 0x0
	.amdhsa_kernel _ZN12_GLOBAL__N_135rocblas_gemm_batched_general_kernelIiLi16ELi16ELi32ELi32ELi8ELi32ELi8ELi8ELi32ELc78ELc78EKPKaKPKiKPiEEvlllT_PT11_llSB_llS9_PT12_llPT13_lli
		.amdhsa_group_segment_fixed_size 2048
		.amdhsa_private_segment_fixed_size 0
		.amdhsa_kernarg_size 140
		.amdhsa_user_sgpr_count 2
		.amdhsa_user_sgpr_dispatch_ptr 0
		.amdhsa_user_sgpr_queue_ptr 0
		.amdhsa_user_sgpr_kernarg_segment_ptr 1
		.amdhsa_user_sgpr_dispatch_id 0
		.amdhsa_user_sgpr_kernarg_preload_length 0
		.amdhsa_user_sgpr_kernarg_preload_offset 0
		.amdhsa_user_sgpr_private_segment_size 0
		.amdhsa_wavefront_size32 1
		.amdhsa_uses_dynamic_stack 0
		.amdhsa_enable_private_segment 0
		.amdhsa_system_sgpr_workgroup_id_x 1
		.amdhsa_system_sgpr_workgroup_id_y 1
		.amdhsa_system_sgpr_workgroup_id_z 1
		.amdhsa_system_sgpr_workgroup_info 0
		.amdhsa_system_vgpr_workitem_id 1
		.amdhsa_next_free_vgpr 52
		.amdhsa_next_free_sgpr 42
		.amdhsa_named_barrier_count 0
		.amdhsa_reserve_vcc 1
		.amdhsa_float_round_mode_32 0
		.amdhsa_float_round_mode_16_64 0
		.amdhsa_float_denorm_mode_32 3
		.amdhsa_float_denorm_mode_16_64 3
		.amdhsa_fp16_overflow 0
		.amdhsa_memory_ordered 1
		.amdhsa_forward_progress 1
		.amdhsa_inst_pref_size 16
		.amdhsa_round_robin_scheduling 0
		.amdhsa_exception_fp_ieee_invalid_op 0
		.amdhsa_exception_fp_denorm_src 0
		.amdhsa_exception_fp_ieee_div_zero 0
		.amdhsa_exception_fp_ieee_overflow 0
		.amdhsa_exception_fp_ieee_underflow 0
		.amdhsa_exception_fp_ieee_inexact 0
		.amdhsa_exception_int_div_zero 0
	.end_amdhsa_kernel
	.section	.text._ZN12_GLOBAL__N_135rocblas_gemm_batched_general_kernelIiLi16ELi16ELi32ELi32ELi8ELi32ELi8ELi8ELi32ELc78ELc78EKPKaKPKiKPiEEvlllT_PT11_llSB_llS9_PT12_llPT13_lli,"axG",@progbits,_ZN12_GLOBAL__N_135rocblas_gemm_batched_general_kernelIiLi16ELi16ELi32ELi32ELi8ELi32ELi8ELi8ELi32ELc78ELc78EKPKaKPKiKPiEEvlllT_PT11_llSB_llS9_PT12_llPT13_lli,comdat
.Lfunc_end213:
	.size	_ZN12_GLOBAL__N_135rocblas_gemm_batched_general_kernelIiLi16ELi16ELi32ELi32ELi8ELi32ELi8ELi8ELi32ELc78ELc78EKPKaKPKiKPiEEvlllT_PT11_llSB_llS9_PT12_llPT13_lli, .Lfunc_end213-_ZN12_GLOBAL__N_135rocblas_gemm_batched_general_kernelIiLi16ELi16ELi32ELi32ELi8ELi32ELi8ELi8ELi32ELc78ELc78EKPKaKPKiKPiEEvlllT_PT11_llSB_llS9_PT12_llPT13_lli
                                        ; -- End function
	.set _ZN12_GLOBAL__N_135rocblas_gemm_batched_general_kernelIiLi16ELi16ELi32ELi32ELi8ELi32ELi8ELi8ELi32ELc78ELc78EKPKaKPKiKPiEEvlllT_PT11_llSB_llS9_PT12_llPT13_lli.num_vgpr, 52
	.set _ZN12_GLOBAL__N_135rocblas_gemm_batched_general_kernelIiLi16ELi16ELi32ELi32ELi8ELi32ELi8ELi8ELi32ELc78ELc78EKPKaKPKiKPiEEvlllT_PT11_llSB_llS9_PT12_llPT13_lli.num_agpr, 0
	.set _ZN12_GLOBAL__N_135rocblas_gemm_batched_general_kernelIiLi16ELi16ELi32ELi32ELi8ELi32ELi8ELi8ELi32ELc78ELc78EKPKaKPKiKPiEEvlllT_PT11_llSB_llS9_PT12_llPT13_lli.numbered_sgpr, 42
	.set _ZN12_GLOBAL__N_135rocblas_gemm_batched_general_kernelIiLi16ELi16ELi32ELi32ELi8ELi32ELi8ELi8ELi32ELc78ELc78EKPKaKPKiKPiEEvlllT_PT11_llSB_llS9_PT12_llPT13_lli.num_named_barrier, 0
	.set _ZN12_GLOBAL__N_135rocblas_gemm_batched_general_kernelIiLi16ELi16ELi32ELi32ELi8ELi32ELi8ELi8ELi32ELc78ELc78EKPKaKPKiKPiEEvlllT_PT11_llSB_llS9_PT12_llPT13_lli.private_seg_size, 0
	.set _ZN12_GLOBAL__N_135rocblas_gemm_batched_general_kernelIiLi16ELi16ELi32ELi32ELi8ELi32ELi8ELi8ELi32ELc78ELc78EKPKaKPKiKPiEEvlllT_PT11_llSB_llS9_PT12_llPT13_lli.uses_vcc, 1
	.set _ZN12_GLOBAL__N_135rocblas_gemm_batched_general_kernelIiLi16ELi16ELi32ELi32ELi8ELi32ELi8ELi8ELi32ELc78ELc78EKPKaKPKiKPiEEvlllT_PT11_llSB_llS9_PT12_llPT13_lli.uses_flat_scratch, 0
	.set _ZN12_GLOBAL__N_135rocblas_gemm_batched_general_kernelIiLi16ELi16ELi32ELi32ELi8ELi32ELi8ELi8ELi32ELc78ELc78EKPKaKPKiKPiEEvlllT_PT11_llSB_llS9_PT12_llPT13_lli.has_dyn_sized_stack, 0
	.set _ZN12_GLOBAL__N_135rocblas_gemm_batched_general_kernelIiLi16ELi16ELi32ELi32ELi8ELi32ELi8ELi8ELi32ELc78ELc78EKPKaKPKiKPiEEvlllT_PT11_llSB_llS9_PT12_llPT13_lli.has_recursion, 0
	.set _ZN12_GLOBAL__N_135rocblas_gemm_batched_general_kernelIiLi16ELi16ELi32ELi32ELi8ELi32ELi8ELi8ELi32ELc78ELc78EKPKaKPKiKPiEEvlllT_PT11_llSB_llS9_PT12_llPT13_lli.has_indirect_call, 0
	.section	.AMDGPU.csdata,"",@progbits
; Kernel info:
; codeLenInByte = 1936
; TotalNumSgprs: 44
; NumVgprs: 52
; ScratchSize: 0
; MemoryBound: 0
; FloatMode: 240
; IeeeMode: 1
; LDSByteSize: 2048 bytes/workgroup (compile time only)
; SGPRBlocks: 0
; VGPRBlocks: 3
; NumSGPRsForWavesPerEU: 44
; NumVGPRsForWavesPerEU: 52
; NamedBarCnt: 0
; Occupancy: 16
; WaveLimiterHint : 1
; COMPUTE_PGM_RSRC2:SCRATCH_EN: 0
; COMPUTE_PGM_RSRC2:USER_SGPR: 2
; COMPUTE_PGM_RSRC2:TRAP_HANDLER: 0
; COMPUTE_PGM_RSRC2:TGID_X_EN: 1
; COMPUTE_PGM_RSRC2:TGID_Y_EN: 1
; COMPUTE_PGM_RSRC2:TGID_Z_EN: 1
; COMPUTE_PGM_RSRC2:TIDIG_COMP_CNT: 1
	.section	.text._ZN12_GLOBAL__N_135rocblas_gemm_batched_general_kernelIiLi16ELi16ELi32ELi32ELi8ELi32ELi8ELi8ELi32ELc84ELc78EKPKaKPKiKPiEEvlllT_PT11_llSB_llS9_PT12_llPT13_lli,"axG",@progbits,_ZN12_GLOBAL__N_135rocblas_gemm_batched_general_kernelIiLi16ELi16ELi32ELi32ELi8ELi32ELi8ELi8ELi32ELc84ELc78EKPKaKPKiKPiEEvlllT_PT11_llSB_llS9_PT12_llPT13_lli,comdat
	.globl	_ZN12_GLOBAL__N_135rocblas_gemm_batched_general_kernelIiLi16ELi16ELi32ELi32ELi8ELi32ELi8ELi8ELi32ELc84ELc78EKPKaKPKiKPiEEvlllT_PT11_llSB_llS9_PT12_llPT13_lli ; -- Begin function _ZN12_GLOBAL__N_135rocblas_gemm_batched_general_kernelIiLi16ELi16ELi32ELi32ELi8ELi32ELi8ELi8ELi32ELc84ELc78EKPKaKPKiKPiEEvlllT_PT11_llSB_llS9_PT12_llPT13_lli
	.p2align	8
	.type	_ZN12_GLOBAL__N_135rocblas_gemm_batched_general_kernelIiLi16ELi16ELi32ELi32ELi8ELi32ELi8ELi8ELi32ELc84ELc78EKPKaKPKiKPiEEvlllT_PT11_llSB_llS9_PT12_llPT13_lli,@function
_ZN12_GLOBAL__N_135rocblas_gemm_batched_general_kernelIiLi16ELi16ELi32ELi32ELi8ELi32ELi8ELi8ELi32ELc84ELc78EKPKaKPKiKPiEEvlllT_PT11_llSB_llS9_PT12_llPT13_lli: ; @_ZN12_GLOBAL__N_135rocblas_gemm_batched_general_kernelIiLi16ELi16ELi32ELi32ELi8ELi32ELi8ELi8ELi32ELc84ELc78EKPKaKPKiKPiEEvlllT_PT11_llSB_llS9_PT12_llPT13_lli
; %bb.0:
	s_load_b32 s33, s[0:1], 0x88
	s_bfe_u32 s2, ttmp6, 0x40014
	s_lshr_b32 s3, ttmp7, 16
	s_add_co_i32 s2, s2, 1
	s_bfe_u32 s5, ttmp6, 0x40008
	s_mul_i32 s4, s3, s2
	s_getreg_b32 s2, hwreg(HW_REG_IB_STS2, 6, 4)
	s_add_co_i32 s5, s5, s4
	s_cmp_eq_u32 s2, 0
	s_mov_b32 s35, 0
	s_cselect_b32 s34, s3, s5
	s_wait_kmcnt 0x0
	s_cmp_ge_i32 s34, s33
	s_cbranch_scc1 .LBB214_34
; %bb.1:
	v_bfe_u32 v12, v0, 10, 10
	v_and_b32_e32 v14, 0x3ff, v0
	s_clause 0x2
	s_load_b128 s[4:7], s[0:1], 0x0
	s_load_b256 s[8:15], s[0:1], 0x20
	s_load_b128 s[28:31], s[0:1], 0x40
	s_bfe_u32 s3, ttmp6, 0x4000c
	s_bfe_u32 s37, ttmp6, 0x40010
	s_add_co_i32 s3, s3, 1
	s_and_b32 s38, ttmp7, 0xffff
	s_add_co_i32 s37, s37, 1
	v_lshl_add_u32 v1, v12, 4, v14
	v_mov_b32_e32 v13, 0
	s_and_b32 s36, ttmp6, 15
	s_mul_i32 s3, ttmp9, s3
	s_mul_i32 s37, s38, s37
	s_bfe_u32 s39, ttmp6, 0x40004
	s_add_co_i32 s36, s36, s3
	s_add_co_i32 s39, s39, s37
	s_cmp_eq_u32 s2, 0
	s_clause 0x1
	s_load_b128 s[24:27], s[0:1], 0x78
	s_load_b256 s[16:23], s[0:1], 0x58
	v_dual_mov_b32 v11, v13 :: v_dual_lshrrev_b32 v10, 3, v1
	v_lshrrev_b32_e32 v2, 5, v1
	s_cselect_b32 s3, s38, s39
	s_cselect_b32 s2, ttmp9, s36
	s_lshl_b32 s36, s3, 5
	s_mov_b32 s37, s35
	v_dual_mov_b32 v3, v13 :: v_dual_bitop2_b32 v1, 31, v1 bitop3:0x40
	v_add_nc_u64_e32 v[16:17], s[36:37], v[10:11]
	s_ashr_i32 s3, s2, 31
	v_add_nc_u64_e32 v[18:19], s[36:37], v[12:13]
	s_lshl_b64 s[40:41], s[2:3], 5
	s_wait_kmcnt 0x0
	v_add_nc_u64_e32 v[6:7], s[12:13], v[2:3]
	v_dual_mov_b32 v15, v13 :: v_dual_bitop2_b32 v22, s40, v1 bitop3:0x54
	v_mad_nc_u64_u32 v[20:21], s28, v16, s[30:31]
	v_dual_mov_b32 v23, s41 :: v_dual_bitop2_b32 v0, 7, v0 bitop3:0x40
	v_mul_u64_e32 v[4:5], s[18:19], v[18:19]
	s_delay_alu instid0(VALU_DEP_4)
	v_mad_nc_u64_u32 v[6:7], s10, v22, v[6:7]
	v_mul_u64_e32 v[8:9], s[24:25], v[18:19]
	s_clause 0x1
	s_load_b32 s39, s[0:1], 0x50
	s_load_b96 s[36:38], s[0:1], 0x10
	v_dual_lshlrev_b32 v11, 2, v0 :: v_dual_lshlrev_b32 v24, 2, v1
	v_dual_mov_b32 v1, v13 :: v_dual_lshlrev_b32 v28, 2, v14
	v_mad_u32 v21, s29, v16, v21
	s_delay_alu instid0(VALU_DEP_3)
	v_lshl_or_b32 v13, v10, 5, v11
	v_add_nc_u64_e32 v[10:11], s[40:41], v[14:15]
	v_mad_u32 v7, s11, v22, v7
	s_wait_xcnt 0x0
	v_cmp_gt_i64_e64 s1, s[6:7], v[16:17]
	v_cmp_gt_i64_e64 s0, s[4:5], v[22:23]
	v_add_nc_u32_e32 v27, 0x400, v13
	v_lshl_add_u32 v29, v12, 5, 0x400
	v_cmp_gt_i64_e64 s2, s[6:7], v[18:19]
	v_add_nc_u64_e32 v[14:15], 16, v[10:11]
	v_cmp_gt_i64_e64 s3, s[4:5], v[10:11]
	v_mad_u32 v21, s28, v17, v21
	v_add_nc_u64_e32 v[16:17], 16, v[18:19]
	v_lshl_or_b32 v26, v2, 7, v24
	v_mad_u32 v7, s10, s41, v7
	s_wait_kmcnt 0x0
	v_cmp_gt_i64_e64 s29, s[36:37], 0
	v_cmp_gt_i64_e64 s4, s[4:5], v[14:15]
	s_cmp_lg_u32 s39, 0
	v_cmp_gt_i64_e64 s5, s[6:7], v[16:17]
	s_cselect_b32 s28, -1, 0
	s_lshl_b64 s[6:7], s[18:19], 4
	v_add_nc_u64_e32 v[12:13], v[20:21], v[0:1]
	s_lshl_b64 s[10:11], s[24:25], 4
	s_lshl_b64 s[12:13], s[26:27], 2
	;; [unrolled: 1-line block ×3, first 2 shown]
	s_branch .LBB214_4
.LBB214_2:                              ;   in Loop: Header=BB214_4 Depth=1
	s_wait_xcnt 0x0
	s_or_b32 exec_lo, exec_lo, s20
.LBB214_3:                              ;   in Loop: Header=BB214_4 Depth=1
	s_add_co_i32 s34, s34, 0x10000
	s_delay_alu instid0(SALU_CYCLE_1)
	s_cmp_lt_i32 s34, s33
	s_cbranch_scc0 .LBB214_34
.LBB214_4:                              ; =>This Loop Header: Depth=1
                                        ;     Child Loop BB214_7 Depth 2
	s_wait_xcnt 0x0
	v_dual_mov_b32 v18, s34 :: v_dual_mov_b32 v33, 0
	v_dual_mov_b32 v32, 0 :: v_dual_mov_b32 v30, 0
	v_mov_b32_e32 v31, 0
	s_clause 0x1
	global_load_b64 v[14:15], v18, s[16:17] scale_offset
	global_load_b64 v[16:17], v18, s[22:23] scale_offset
	s_and_not1_b32 vcc_lo, exec_lo, s29
	s_cbranch_vccnz .LBB214_11
; %bb.5:                                ;   in Loop: Header=BB214_4 Depth=1
	v_dual_mov_b32 v32, 0 :: v_dual_mov_b32 v33, 0
	s_lshl_b64 s[20:21], s[34:35], 3
	v_dual_mov_b32 v31, 0 :: v_dual_mov_b32 v30, 0
	s_add_nc_u64 s[24:25], s[14:15], s[20:21]
	s_add_nc_u64 s[20:21], s[8:9], s[20:21]
	s_clause 0x1
	global_load_b64 v[18:19], v32, s[24:25]
	global_load_b64 v[20:21], v32, s[20:21]
	s_wait_xcnt 0x0
	s_mov_b64 s[20:21], 0
	s_wait_loadcnt 0x1
	v_add_nc_u64_e32 v[18:19], v[18:19], v[12:13]
	s_wait_loadcnt 0x0
	v_add_nc_u64_e32 v[20:21], v[20:21], v[6:7]
	s_branch .LBB214_7
.LBB214_6:                              ;   in Loop: Header=BB214_7 Depth=2
	s_wait_xcnt 0x0
	s_or_b32 exec_lo, exec_lo, s24
	s_wait_loadcnt_dscnt 0x0
	ds_store_b32 v27, v23
	s_wait_dscnt 0x0
	s_barrier_signal -1
	s_barrier_wait -1
	ds_load_b128 v[22:25], v29
	ds_load_2addr_b32 v[46:47], v28 offset1:16
	ds_load_b128 v[34:37], v29 offset:512
	ds_load_2addr_b32 v[48:49], v28 offset0:32 offset1:48
	ds_load_b128 v[38:41], v29 offset:16
	ds_load_2addr_b32 v[50:51], v28 offset0:64 offset1:80
	ds_load_b128 v[42:45], v29 offset:528
	s_add_nc_u64 s[20:21], s[20:21], 8
	s_delay_alu instid0(SALU_CYCLE_1)
	v_cmp_lt_i64_e64 s24, s[20:21], s[36:37]
	s_and_b32 vcc_lo, exec_lo, s24
	s_wait_dscnt 0x5
	v_mad_u32 v32, v22, v46, v32
	v_mad_u32 v22, v22, v47, v33
	s_wait_dscnt 0x4
	v_mad_u32 v33, v34, v46, v31
	v_mad_u32 v34, v34, v47, v30
	ds_load_2addr_b32 v[30:31], v28 offset0:96 offset1:112
	s_wait_dscnt 0x4
	v_mad_u32 v32, v23, v48, v32
	v_mad_u32 v46, v23, v49, v22
	v_mad_u32 v33, v35, v48, v33
	v_mad_u32 v34, v35, v49, v34
	ds_load_2addr_b32 v[22:23], v28 offset0:128 offset1:144
	s_wait_dscnt 0x3
	v_mad_u32 v35, v24, v50, v32
	v_mad_u32 v24, v24, v51, v46
	;; [unrolled: 6-line block ×4, first 2 shown]
	v_mad_u32 v30, v42, v22, v30
	v_mad_u32 v31, v42, v23, v31
	ds_load_2addr_b32 v[22:23], v28 offset0:224 offset1:240
	s_wait_dscnt 0x0
	s_barrier_signal -1
	s_barrier_wait -1
	v_mad_u32 v34, v39, v32, v34
	v_mad_u32 v35, v39, v33, v35
	;; [unrolled: 1-line block ×4, first 2 shown]
	s_delay_alu instid0(VALU_DEP_4) | instskip(NEXT) | instid1(VALU_DEP_4)
	v_mad_u32 v32, v40, v24, v34
	v_mad_u32 v33, v40, v25, v35
	s_delay_alu instid0(VALU_DEP_4) | instskip(NEXT) | instid1(VALU_DEP_4)
	v_mad_u32 v24, v44, v24, v30
	v_mad_u32 v25, v44, v25, v31
	;; [unrolled: 3-line block ×4, first 2 shown]
	s_cbranch_vccz .LBB214_11
.LBB214_7:                              ;   Parent Loop BB214_4 Depth=1
                                        ; =>  This Inner Loop Header: Depth=2
	v_add_nc_u64_e32 v[22:23], s[20:21], v[2:3]
	s_delay_alu instid0(VALU_DEP_1) | instskip(SKIP_2) | instid1(SALU_CYCLE_1)
	v_cmp_gt_i64_e32 vcc_lo, s[36:37], v[22:23]
	v_mov_b32_e32 v22, 0
	s_and_b32 s25, s0, vcc_lo
	s_and_saveexec_b32 s24, s25
	s_cbranch_execz .LBB214_9
; %bb.8:                                ;   in Loop: Header=BB214_7 Depth=2
	v_add_nc_u64_e32 v[22:23], s[20:21], v[20:21]
	flat_load_i8 v22, v[22:23]
.LBB214_9:                              ;   in Loop: Header=BB214_7 Depth=2
	s_wait_xcnt 0x0
	s_or_b32 exec_lo, exec_lo, s24
	v_add_nc_u64_e32 v[24:25], s[20:21], v[0:1]
	v_mov_b32_e32 v23, 0
	s_wait_loadcnt_dscnt 0x0
	ds_store_b32 v26, v22
	v_cmp_gt_i64_e32 vcc_lo, s[36:37], v[24:25]
	s_and_b32 s25, vcc_lo, s1
	s_delay_alu instid0(SALU_CYCLE_1)
	s_and_saveexec_b32 s24, s25
	s_cbranch_execz .LBB214_6
; %bb.10:                               ;   in Loop: Header=BB214_7 Depth=2
	v_add_nc_u64_e32 v[22:23], s[20:21], v[18:19]
	flat_load_i8 v23, v[22:23]
	s_branch .LBB214_6
.LBB214_11:                             ;   in Loop: Header=BB214_4 Depth=1
	s_wait_loadcnt 0x0
	v_add_nc_u64_e32 v[16:17], s[12:13], v[16:17]
	s_and_not1_b32 vcc_lo, exec_lo, s28
	s_cbranch_vccnz .LBB214_16
; %bb.12:                               ;   in Loop: Header=BB214_4 Depth=1
	s_wait_xcnt 0x0
	s_and_saveexec_b32 s20, s2
	s_cbranch_execz .LBB214_23
; %bb.13:                               ;   in Loop: Header=BB214_4 Depth=1
	v_add_nc_u64_e32 v[18:19], s[18:19], v[14:15]
	v_lshlrev_b64_e32 v[14:15], 2, v[10:11]
	v_lshl_add_u64 v[20:21], v[8:9], 2, v[16:17]
	s_delay_alu instid0(VALU_DEP_3) | instskip(NEXT) | instid1(VALU_DEP_2)
	v_lshl_add_u64 v[18:19], v[4:5], 2, v[18:19]
	v_add_nc_u64_e32 v[22:23], v[20:21], v[14:15]
	s_delay_alu instid0(VALU_DEP_2)
	v_add_nc_u64_e32 v[24:25], v[18:19], v[14:15]
	s_and_saveexec_b32 s21, s3
	s_cbranch_execnz .LBB214_17
; %bb.14:                               ;   in Loop: Header=BB214_4 Depth=1
	s_or_b32 exec_lo, exec_lo, s21
	s_and_saveexec_b32 s21, s4
	s_cbranch_execnz .LBB214_18
.LBB214_15:                             ;   in Loop: Header=BB214_4 Depth=1
	s_or_b32 exec_lo, exec_lo, s21
	s_delay_alu instid0(SALU_CYCLE_1)
	s_and_b32 exec_lo, exec_lo, s5
	s_cbranch_execnz .LBB214_19
	s_branch .LBB214_23
.LBB214_16:                             ;   in Loop: Header=BB214_4 Depth=1
	s_branch .LBB214_24
.LBB214_17:                             ;   in Loop: Header=BB214_4 Depth=1
	flat_load_b32 v34, v[24:25]
	v_mul_lo_u32 v35, v32, s38
	s_wait_loadcnt_dscnt 0x0
	s_delay_alu instid0(VALU_DEP_1)
	v_mad_u32 v34, v34, s39, v35
	flat_store_b32 v[22:23], v34
	s_wait_xcnt 0x0
	s_or_b32 exec_lo, exec_lo, s21
	s_and_saveexec_b32 s21, s4
	s_cbranch_execz .LBB214_15
.LBB214_18:                             ;   in Loop: Header=BB214_4 Depth=1
	flat_load_b32 v24, v[24:25] offset:64
	s_wait_xcnt 0x0
	v_mul_lo_u32 v25, v33, s38
	s_wait_loadcnt_dscnt 0x0
	s_delay_alu instid0(VALU_DEP_1) | instskip(SKIP_3) | instid1(SALU_CYCLE_1)
	v_mad_u32 v24, v24, s39, v25
	flat_store_b32 v[22:23], v24 offset:64
	s_wait_xcnt 0x0
	s_or_b32 exec_lo, exec_lo, s21
	s_and_b32 exec_lo, exec_lo, s5
	s_cbranch_execz .LBB214_23
.LBB214_19:                             ;   in Loop: Header=BB214_4 Depth=1
	v_lshl_add_u64 v[18:19], s[6:7], 2, v[18:19]
	v_lshl_add_u64 v[20:21], s[10:11], 2, v[20:21]
	s_delay_alu instid0(VALU_DEP_2) | instskip(NEXT) | instid1(VALU_DEP_2)
	v_add_nc_u64_e32 v[18:19], v[18:19], v[14:15]
	v_add_nc_u64_e32 v[14:15], v[20:21], v[14:15]
	s_and_saveexec_b32 s21, s3
	s_cbranch_execz .LBB214_21
; %bb.20:                               ;   in Loop: Header=BB214_4 Depth=1
	flat_load_b32 v20, v[18:19]
	v_mul_lo_u32 v21, v31, s38
	s_wait_loadcnt_dscnt 0x0
	s_delay_alu instid0(VALU_DEP_1)
	v_mad_u32 v20, v20, s39, v21
	flat_store_b32 v[14:15], v20
.LBB214_21:                             ;   in Loop: Header=BB214_4 Depth=1
	s_wait_xcnt 0x0
	s_or_b32 exec_lo, exec_lo, s21
	s_delay_alu instid0(SALU_CYCLE_1)
	s_and_b32 exec_lo, exec_lo, s4
	s_cbranch_execz .LBB214_23
; %bb.22:                               ;   in Loop: Header=BB214_4 Depth=1
	flat_load_b32 v18, v[18:19] offset:64
	s_wait_xcnt 0x0
	v_mul_lo_u32 v19, v30, s38
	s_wait_loadcnt_dscnt 0x0
	s_delay_alu instid0(VALU_DEP_1)
	v_mad_u32 v18, v18, s39, v19
	flat_store_b32 v[14:15], v18 offset:64
.LBB214_23:                             ;   in Loop: Header=BB214_4 Depth=1
	s_wait_xcnt 0x0
	s_or_b32 exec_lo, exec_lo, s20
	s_cbranch_execnz .LBB214_3
.LBB214_24:                             ;   in Loop: Header=BB214_4 Depth=1
	s_wait_xcnt 0x0
	s_and_saveexec_b32 s20, s2
	s_cbranch_execz .LBB214_2
; %bb.25:                               ;   in Loop: Header=BB214_4 Depth=1
	v_lshl_add_u64 v[14:15], v[8:9], 2, v[16:17]
	s_delay_alu instid0(VALU_DEP_1)
	v_lshl_add_u64 v[16:17], v[10:11], 2, v[14:15]
	s_and_saveexec_b32 s21, s3
	s_cbranch_execnz .LBB214_28
; %bb.26:                               ;   in Loop: Header=BB214_4 Depth=1
	s_or_b32 exec_lo, exec_lo, s21
	s_and_saveexec_b32 s21, s4
	s_cbranch_execnz .LBB214_29
.LBB214_27:                             ;   in Loop: Header=BB214_4 Depth=1
	s_or_b32 exec_lo, exec_lo, s21
	s_delay_alu instid0(SALU_CYCLE_1)
	s_and_b32 exec_lo, exec_lo, s5
	s_cbranch_execz .LBB214_2
	s_branch .LBB214_30
.LBB214_28:                             ;   in Loop: Header=BB214_4 Depth=1
	v_mul_lo_u32 v18, v32, s38
	flat_store_b32 v[16:17], v18
	s_wait_xcnt 0x0
	s_or_b32 exec_lo, exec_lo, s21
	s_and_saveexec_b32 s21, s4
	s_cbranch_execz .LBB214_27
.LBB214_29:                             ;   in Loop: Header=BB214_4 Depth=1
	v_mul_lo_u32 v18, v33, s38
	flat_store_b32 v[16:17], v18 offset:64
	s_wait_xcnt 0x0
	s_or_b32 exec_lo, exec_lo, s21
	s_delay_alu instid0(SALU_CYCLE_1)
	s_and_b32 exec_lo, exec_lo, s5
	s_cbranch_execz .LBB214_2
.LBB214_30:                             ;   in Loop: Header=BB214_4 Depth=1
	v_lshl_add_u64 v[14:15], s[10:11], 2, v[14:15]
	s_delay_alu instid0(VALU_DEP_1)
	v_lshl_add_u64 v[14:15], v[10:11], 2, v[14:15]
	s_and_saveexec_b32 s21, s3
	s_cbranch_execz .LBB214_32
; %bb.31:                               ;   in Loop: Header=BB214_4 Depth=1
	v_mul_lo_u32 v16, v31, s38
	flat_store_b32 v[14:15], v16
.LBB214_32:                             ;   in Loop: Header=BB214_4 Depth=1
	s_wait_xcnt 0x0
	s_or_b32 exec_lo, exec_lo, s21
	s_delay_alu instid0(SALU_CYCLE_1)
	s_and_b32 exec_lo, exec_lo, s4
	s_cbranch_execz .LBB214_2
; %bb.33:                               ;   in Loop: Header=BB214_4 Depth=1
	v_mul_lo_u32 v16, v30, s38
	flat_store_b32 v[14:15], v16 offset:64
	s_branch .LBB214_2
.LBB214_34:
	s_endpgm
	.section	.rodata,"a",@progbits
	.p2align	6, 0x0
	.amdhsa_kernel _ZN12_GLOBAL__N_135rocblas_gemm_batched_general_kernelIiLi16ELi16ELi32ELi32ELi8ELi32ELi8ELi8ELi32ELc84ELc78EKPKaKPKiKPiEEvlllT_PT11_llSB_llS9_PT12_llPT13_lli
		.amdhsa_group_segment_fixed_size 2048
		.amdhsa_private_segment_fixed_size 0
		.amdhsa_kernarg_size 140
		.amdhsa_user_sgpr_count 2
		.amdhsa_user_sgpr_dispatch_ptr 0
		.amdhsa_user_sgpr_queue_ptr 0
		.amdhsa_user_sgpr_kernarg_segment_ptr 1
		.amdhsa_user_sgpr_dispatch_id 0
		.amdhsa_user_sgpr_kernarg_preload_length 0
		.amdhsa_user_sgpr_kernarg_preload_offset 0
		.amdhsa_user_sgpr_private_segment_size 0
		.amdhsa_wavefront_size32 1
		.amdhsa_uses_dynamic_stack 0
		.amdhsa_enable_private_segment 0
		.amdhsa_system_sgpr_workgroup_id_x 1
		.amdhsa_system_sgpr_workgroup_id_y 1
		.amdhsa_system_sgpr_workgroup_id_z 1
		.amdhsa_system_sgpr_workgroup_info 0
		.amdhsa_system_vgpr_workitem_id 1
		.amdhsa_next_free_vgpr 52
		.amdhsa_next_free_sgpr 42
		.amdhsa_named_barrier_count 0
		.amdhsa_reserve_vcc 1
		.amdhsa_float_round_mode_32 0
		.amdhsa_float_round_mode_16_64 0
		.amdhsa_float_denorm_mode_32 3
		.amdhsa_float_denorm_mode_16_64 3
		.amdhsa_fp16_overflow 0
		.amdhsa_memory_ordered 1
		.amdhsa_forward_progress 1
		.amdhsa_inst_pref_size 16
		.amdhsa_round_robin_scheduling 0
		.amdhsa_exception_fp_ieee_invalid_op 0
		.amdhsa_exception_fp_denorm_src 0
		.amdhsa_exception_fp_ieee_div_zero 0
		.amdhsa_exception_fp_ieee_overflow 0
		.amdhsa_exception_fp_ieee_underflow 0
		.amdhsa_exception_fp_ieee_inexact 0
		.amdhsa_exception_int_div_zero 0
	.end_amdhsa_kernel
	.section	.text._ZN12_GLOBAL__N_135rocblas_gemm_batched_general_kernelIiLi16ELi16ELi32ELi32ELi8ELi32ELi8ELi8ELi32ELc84ELc78EKPKaKPKiKPiEEvlllT_PT11_llSB_llS9_PT12_llPT13_lli,"axG",@progbits,_ZN12_GLOBAL__N_135rocblas_gemm_batched_general_kernelIiLi16ELi16ELi32ELi32ELi8ELi32ELi8ELi8ELi32ELc84ELc78EKPKaKPKiKPiEEvlllT_PT11_llSB_llS9_PT12_llPT13_lli,comdat
.Lfunc_end214:
	.size	_ZN12_GLOBAL__N_135rocblas_gemm_batched_general_kernelIiLi16ELi16ELi32ELi32ELi8ELi32ELi8ELi8ELi32ELc84ELc78EKPKaKPKiKPiEEvlllT_PT11_llSB_llS9_PT12_llPT13_lli, .Lfunc_end214-_ZN12_GLOBAL__N_135rocblas_gemm_batched_general_kernelIiLi16ELi16ELi32ELi32ELi8ELi32ELi8ELi8ELi32ELc84ELc78EKPKaKPKiKPiEEvlllT_PT11_llSB_llS9_PT12_llPT13_lli
                                        ; -- End function
	.set _ZN12_GLOBAL__N_135rocblas_gemm_batched_general_kernelIiLi16ELi16ELi32ELi32ELi8ELi32ELi8ELi8ELi32ELc84ELc78EKPKaKPKiKPiEEvlllT_PT11_llSB_llS9_PT12_llPT13_lli.num_vgpr, 52
	.set _ZN12_GLOBAL__N_135rocblas_gemm_batched_general_kernelIiLi16ELi16ELi32ELi32ELi8ELi32ELi8ELi8ELi32ELc84ELc78EKPKaKPKiKPiEEvlllT_PT11_llSB_llS9_PT12_llPT13_lli.num_agpr, 0
	.set _ZN12_GLOBAL__N_135rocblas_gemm_batched_general_kernelIiLi16ELi16ELi32ELi32ELi8ELi32ELi8ELi8ELi32ELc84ELc78EKPKaKPKiKPiEEvlllT_PT11_llSB_llS9_PT12_llPT13_lli.numbered_sgpr, 42
	.set _ZN12_GLOBAL__N_135rocblas_gemm_batched_general_kernelIiLi16ELi16ELi32ELi32ELi8ELi32ELi8ELi8ELi32ELc84ELc78EKPKaKPKiKPiEEvlllT_PT11_llSB_llS9_PT12_llPT13_lli.num_named_barrier, 0
	.set _ZN12_GLOBAL__N_135rocblas_gemm_batched_general_kernelIiLi16ELi16ELi32ELi32ELi8ELi32ELi8ELi8ELi32ELc84ELc78EKPKaKPKiKPiEEvlllT_PT11_llSB_llS9_PT12_llPT13_lli.private_seg_size, 0
	.set _ZN12_GLOBAL__N_135rocblas_gemm_batched_general_kernelIiLi16ELi16ELi32ELi32ELi8ELi32ELi8ELi8ELi32ELc84ELc78EKPKaKPKiKPiEEvlllT_PT11_llSB_llS9_PT12_llPT13_lli.uses_vcc, 1
	.set _ZN12_GLOBAL__N_135rocblas_gemm_batched_general_kernelIiLi16ELi16ELi32ELi32ELi8ELi32ELi8ELi8ELi32ELc84ELc78EKPKaKPKiKPiEEvlllT_PT11_llSB_llS9_PT12_llPT13_lli.uses_flat_scratch, 0
	.set _ZN12_GLOBAL__N_135rocblas_gemm_batched_general_kernelIiLi16ELi16ELi32ELi32ELi8ELi32ELi8ELi8ELi32ELc84ELc78EKPKaKPKiKPiEEvlllT_PT11_llSB_llS9_PT12_llPT13_lli.has_dyn_sized_stack, 0
	.set _ZN12_GLOBAL__N_135rocblas_gemm_batched_general_kernelIiLi16ELi16ELi32ELi32ELi8ELi32ELi8ELi8ELi32ELc84ELc78EKPKaKPKiKPiEEvlllT_PT11_llSB_llS9_PT12_llPT13_lli.has_recursion, 0
	.set _ZN12_GLOBAL__N_135rocblas_gemm_batched_general_kernelIiLi16ELi16ELi32ELi32ELi8ELi32ELi8ELi8ELi32ELc84ELc78EKPKaKPKiKPiEEvlllT_PT11_llSB_llS9_PT12_llPT13_lli.has_indirect_call, 0
	.section	.AMDGPU.csdata,"",@progbits
; Kernel info:
; codeLenInByte = 1948
; TotalNumSgprs: 44
; NumVgprs: 52
; ScratchSize: 0
; MemoryBound: 0
; FloatMode: 240
; IeeeMode: 1
; LDSByteSize: 2048 bytes/workgroup (compile time only)
; SGPRBlocks: 0
; VGPRBlocks: 3
; NumSGPRsForWavesPerEU: 44
; NumVGPRsForWavesPerEU: 52
; NamedBarCnt: 0
; Occupancy: 16
; WaveLimiterHint : 1
; COMPUTE_PGM_RSRC2:SCRATCH_EN: 0
; COMPUTE_PGM_RSRC2:USER_SGPR: 2
; COMPUTE_PGM_RSRC2:TRAP_HANDLER: 0
; COMPUTE_PGM_RSRC2:TGID_X_EN: 1
; COMPUTE_PGM_RSRC2:TGID_Y_EN: 1
; COMPUTE_PGM_RSRC2:TGID_Z_EN: 1
; COMPUTE_PGM_RSRC2:TIDIG_COMP_CNT: 1
	.section	.text._ZN12_GLOBAL__N_135rocblas_gemm_batched_general_kernelIiLi16ELi16ELi32ELi32ELi8ELi32ELi8ELi8ELi32ELc78ELc84EKPKaKPKiKPiEEvlllT_PT11_llSB_llS9_PT12_llPT13_lli,"axG",@progbits,_ZN12_GLOBAL__N_135rocblas_gemm_batched_general_kernelIiLi16ELi16ELi32ELi32ELi8ELi32ELi8ELi8ELi32ELc78ELc84EKPKaKPKiKPiEEvlllT_PT11_llSB_llS9_PT12_llPT13_lli,comdat
	.globl	_ZN12_GLOBAL__N_135rocblas_gemm_batched_general_kernelIiLi16ELi16ELi32ELi32ELi8ELi32ELi8ELi8ELi32ELc78ELc84EKPKaKPKiKPiEEvlllT_PT11_llSB_llS9_PT12_llPT13_lli ; -- Begin function _ZN12_GLOBAL__N_135rocblas_gemm_batched_general_kernelIiLi16ELi16ELi32ELi32ELi8ELi32ELi8ELi8ELi32ELc78ELc84EKPKaKPKiKPiEEvlllT_PT11_llSB_llS9_PT12_llPT13_lli
	.p2align	8
	.type	_ZN12_GLOBAL__N_135rocblas_gemm_batched_general_kernelIiLi16ELi16ELi32ELi32ELi8ELi32ELi8ELi8ELi32ELc78ELc84EKPKaKPKiKPiEEvlllT_PT11_llSB_llS9_PT12_llPT13_lli,@function
_ZN12_GLOBAL__N_135rocblas_gemm_batched_general_kernelIiLi16ELi16ELi32ELi32ELi8ELi32ELi8ELi8ELi32ELc78ELc84EKPKaKPKiKPiEEvlllT_PT11_llSB_llS9_PT12_llPT13_lli: ; @_ZN12_GLOBAL__N_135rocblas_gemm_batched_general_kernelIiLi16ELi16ELi32ELi32ELi8ELi32ELi8ELi8ELi32ELc78ELc84EKPKaKPKiKPiEEvlllT_PT11_llSB_llS9_PT12_llPT13_lli
; %bb.0:
	s_load_b32 s33, s[0:1], 0x88
	s_bfe_u32 s2, ttmp6, 0x40014
	s_lshr_b32 s3, ttmp7, 16
	s_add_co_i32 s2, s2, 1
	s_bfe_u32 s5, ttmp6, 0x40008
	s_mul_i32 s4, s3, s2
	s_getreg_b32 s2, hwreg(HW_REG_IB_STS2, 6, 4)
	s_add_co_i32 s5, s5, s4
	s_cmp_eq_u32 s2, 0
	s_mov_b32 s35, 0
	s_cselect_b32 s34, s3, s5
	s_wait_kmcnt 0x0
	s_cmp_ge_i32 s34, s33
	s_cbranch_scc1 .LBB215_34
; %bb.1:
	s_clause 0x6
	s_load_b128 s[4:7], s[0:1], 0x0
	s_load_b96 s[36:38], s[0:1], 0x10
	s_load_b256 s[8:15], s[0:1], 0x20
	s_load_b128 s[28:31], s[0:1], 0x40
	s_load_b32 s39, s[0:1], 0x50
	s_load_b128 s[24:27], s[0:1], 0x78
	s_load_b256 s[16:23], s[0:1], 0x58
	s_wait_xcnt 0x0
	s_bfe_u32 s0, ttmp6, 0x4000c
	s_bfe_u32 s3, ttmp6, 0x40010
	s_add_co_i32 s0, s0, 1
	s_and_b32 s40, ttmp7, 0xffff
	s_add_co_i32 s3, s3, 1
	v_bfe_u32 v10, v0, 10, 10
	v_and_b32_e32 v12, 0x3ff, v0
	s_and_b32 s1, ttmp6, 15
	s_mul_i32 s0, ttmp9, s0
	s_mul_i32 s3, s40, s3
	s_bfe_u32 s41, ttmp6, 0x40004
	s_add_co_i32 s1, s1, s0
	s_add_co_i32 s41, s41, s3
	s_cmp_eq_u32 s2, 0
	v_lshl_add_u32 v1, v10, 4, v12
	v_mov_b32_e32 v11, 0
	s_cselect_b32 s0, ttmp9, s1
	s_cselect_b32 s2, s40, s41
	s_ashr_i32 s1, s0, 31
	v_and_b32_e32 v14, 31, v1
	v_dual_lshrrev_b32 v8, 3, v1 :: v_dual_bitop2_b32 v0, 7, v0 bitop3:0x40
	s_lshl_b64 s[0:1], s[0:1], 5
	s_delay_alu instid0(VALU_DEP_2) | instid1(SALU_CYCLE_1)
	v_dual_mov_b32 v9, v11 :: v_dual_bitop2_b32 v16, s0, v14 bitop3:0x54
	s_lshl_b32 s40, s2, 5
	s_mov_b32 s41, s35
	v_dual_mov_b32 v3, v11 :: v_dual_lshrrev_b32 v2, 5, v1
	v_add_nc_u64_e32 v[18:19], s[40:41], v[10:11]
	s_wait_kmcnt 0x0
	v_add_nc_u64_e32 v[20:21], s[30:31], v[8:9]
	s_add_nc_u64 s[2:3], s[0:1], s[12:13]
	v_dual_mov_b32 v13, v11 :: v_dual_mov_b32 v15, v11
	v_mad_nc_u64_u32 v[24:25], s10, v2, s[2:3]
	v_dual_mov_b32 v17, s1 :: v_dual_mov_b32 v1, v11
	v_mul_u64_e32 v[4:5], s[18:19], v[18:19]
	v_mul_u64_e32 v[6:7], s[24:25], v[18:19]
	v_mad_nc_u64_u32 v[20:21], s28, v0, v[20:21]
	v_add_nc_u64_e32 v[22:23], s[40:41], v[8:9]
	v_dual_lshlrev_b32 v11, 2, v14 :: v_dual_lshlrev_b32 v9, 2, v0
	v_lshlrev_b32_e32 v28, 2, v12
	s_cmp_lg_u32 s39, 0
	v_mad_u32 v25, s11, v2, v25
	s_delay_alu instid0(VALU_DEP_3)
	v_lshl_or_b32 v26, v2, 7, v11
	v_lshl_or_b32 v27, v8, 5, v9
	v_add_nc_u64_e32 v[8:9], s[0:1], v[12:13]
	v_cmp_gt_i64_e64 s0, s[4:5], v[16:17]
	v_mad_u32 v21, s29, v0, v21
	v_add_nc_u64_e32 v[16:17], 16, v[18:19]
	v_cmp_gt_i64_e64 s1, s[6:7], v[22:23]
	v_lshl_add_u32 v29, v10, 5, 0x400
	s_cselect_b32 s30, -1, 0
	v_add_nc_u64_e32 v[12:13], 16, v[8:9]
	v_cmp_gt_i64_e64 s2, s[6:7], v[18:19]
	v_cmp_gt_i64_e64 s3, s[4:5], v[8:9]
	v_add_nc_u32_e32 v27, 0x400, v27
	s_lshl_b64 s[12:13], s[24:25], 4
	s_lshl_b64 s[10:11], s[10:11], 3
	v_add_nc_u64_e32 v[10:11], s[40:41], v[20:21]
	v_cmp_gt_i64_e64 s4, s[4:5], v[12:13]
	v_cmp_gt_i64_e64 s5, s[6:7], v[16:17]
	s_lshl_b64 s[6:7], s[18:19], 4
	s_lshl_b64 s[18:19], s[28:29], 3
	v_add_nc_u64_e32 v[12:13], v[24:25], v[14:15]
	v_cmp_gt_i64_e64 s28, s[36:37], 0
	s_lshl_b64 s[24:25], s[26:27], 2
	s_lshl_b64 s[20:21], s[20:21], 2
	s_branch .LBB215_4
.LBB215_2:                              ;   in Loop: Header=BB215_4 Depth=1
	s_wait_xcnt 0x0
	s_or_b32 exec_lo, exec_lo, s26
.LBB215_3:                              ;   in Loop: Header=BB215_4 Depth=1
	s_add_co_i32 s34, s34, 0x10000
	s_delay_alu instid0(SALU_CYCLE_1)
	s_cmp_lt_i32 s34, s33
	s_cbranch_scc0 .LBB215_34
.LBB215_4:                              ; =>This Loop Header: Depth=1
                                        ;     Child Loop BB215_7 Depth 2
	s_wait_xcnt 0x0
	v_dual_mov_b32 v18, s34 :: v_dual_mov_b32 v33, 0
	v_dual_mov_b32 v32, 0 :: v_dual_mov_b32 v30, 0
	v_mov_b32_e32 v31, 0
	s_clause 0x1
	global_load_b64 v[14:15], v18, s[16:17] scale_offset
	global_load_b64 v[16:17], v18, s[22:23] scale_offset
	s_and_not1_b32 vcc_lo, exec_lo, s28
	s_cbranch_vccnz .LBB215_11
; %bb.5:                                ;   in Loop: Header=BB215_4 Depth=1
	v_dual_mov_b32 v32, 0 :: v_dual_mov_b32 v33, 0
	s_lshl_b64 s[26:27], s[34:35], 3
	v_dual_mov_b32 v31, 0 :: v_dual_mov_b32 v30, 0
	s_add_nc_u64 s[40:41], s[14:15], s[26:27]
	s_add_nc_u64 s[26:27], s[8:9], s[26:27]
	s_clause 0x1
	global_load_b64 v[18:19], v32, s[40:41]
	global_load_b64 v[20:21], v32, s[26:27]
	s_wait_xcnt 0x0
	s_mov_b64 s[26:27], 0
	s_wait_loadcnt 0x1
	v_add_nc_u64_e32 v[18:19], v[18:19], v[10:11]
	s_wait_loadcnt 0x0
	v_add_nc_u64_e32 v[20:21], v[20:21], v[12:13]
	s_branch .LBB215_7
.LBB215_6:                              ;   in Loop: Header=BB215_7 Depth=2
	s_wait_xcnt 0x0
	s_or_b32 exec_lo, exec_lo, s29
	s_wait_loadcnt_dscnt 0x0
	ds_store_b32 v27, v23
	s_wait_dscnt 0x0
	s_barrier_signal -1
	s_barrier_wait -1
	ds_load_b128 v[22:25], v29
	ds_load_2addr_b32 v[46:47], v28 offset1:16
	ds_load_b128 v[34:37], v29 offset:512
	ds_load_2addr_b32 v[48:49], v28 offset0:32 offset1:48
	ds_load_b128 v[38:41], v29 offset:16
	ds_load_2addr_b32 v[50:51], v28 offset0:64 offset1:80
	ds_load_b128 v[42:45], v29 offset:528
	s_add_nc_u64 s[26:27], s[26:27], 8
	v_add_nc_u64_e32 v[18:19], s[18:19], v[18:19]
	v_cmp_lt_i64_e64 s29, s[26:27], s[36:37]
	v_add_nc_u64_e32 v[20:21], s[10:11], v[20:21]
	s_and_b32 vcc_lo, exec_lo, s29
	s_wait_dscnt 0x5
	v_mad_u32 v32, v22, v46, v32
	v_mad_u32 v22, v22, v47, v33
	s_wait_dscnt 0x4
	v_mad_u32 v33, v34, v46, v31
	v_mad_u32 v34, v34, v47, v30
	ds_load_2addr_b32 v[30:31], v28 offset0:96 offset1:112
	s_wait_dscnt 0x4
	v_mad_u32 v32, v23, v48, v32
	v_mad_u32 v46, v23, v49, v22
	v_mad_u32 v33, v35, v48, v33
	v_mad_u32 v34, v35, v49, v34
	ds_load_2addr_b32 v[22:23], v28 offset0:128 offset1:144
	s_wait_dscnt 0x3
	v_mad_u32 v35, v24, v50, v32
	v_mad_u32 v24, v24, v51, v46
	;; [unrolled: 6-line block ×4, first 2 shown]
	v_mad_u32 v30, v42, v22, v30
	v_mad_u32 v31, v42, v23, v31
	ds_load_2addr_b32 v[22:23], v28 offset0:224 offset1:240
	s_wait_dscnt 0x0
	s_barrier_signal -1
	s_barrier_wait -1
	v_mad_u32 v34, v39, v32, v34
	v_mad_u32 v35, v39, v33, v35
	;; [unrolled: 1-line block ×4, first 2 shown]
	s_delay_alu instid0(VALU_DEP_4) | instskip(NEXT) | instid1(VALU_DEP_4)
	v_mad_u32 v32, v40, v24, v34
	v_mad_u32 v33, v40, v25, v35
	s_delay_alu instid0(VALU_DEP_4) | instskip(NEXT) | instid1(VALU_DEP_4)
	v_mad_u32 v24, v44, v24, v30
	v_mad_u32 v25, v44, v25, v31
	;; [unrolled: 3-line block ×4, first 2 shown]
	s_cbranch_vccz .LBB215_11
.LBB215_7:                              ;   Parent Loop BB215_4 Depth=1
                                        ; =>  This Inner Loop Header: Depth=2
	v_add_nc_u64_e32 v[22:23], s[26:27], v[2:3]
	s_delay_alu instid0(VALU_DEP_1) | instskip(SKIP_2) | instid1(SALU_CYCLE_1)
	v_cmp_gt_i64_e32 vcc_lo, s[36:37], v[22:23]
	v_mov_b32_e32 v22, 0
	s_and_b32 s31, s0, vcc_lo
	s_and_saveexec_b32 s29, s31
	s_cbranch_execz .LBB215_9
; %bb.8:                                ;   in Loop: Header=BB215_7 Depth=2
	flat_load_i8 v22, v[20:21]
.LBB215_9:                              ;   in Loop: Header=BB215_7 Depth=2
	s_wait_xcnt 0x0
	s_or_b32 exec_lo, exec_lo, s29
	v_add_nc_u64_e32 v[24:25], s[26:27], v[0:1]
	v_mov_b32_e32 v23, 0
	s_wait_loadcnt_dscnt 0x0
	ds_store_b32 v26, v22
	v_cmp_gt_i64_e32 vcc_lo, s[36:37], v[24:25]
	s_and_b32 s31, vcc_lo, s1
	s_delay_alu instid0(SALU_CYCLE_1)
	s_and_saveexec_b32 s29, s31
	s_cbranch_execz .LBB215_6
; %bb.10:                               ;   in Loop: Header=BB215_7 Depth=2
	flat_load_i8 v23, v[18:19]
	s_branch .LBB215_6
.LBB215_11:                             ;   in Loop: Header=BB215_4 Depth=1
	s_wait_loadcnt 0x0
	v_add_nc_u64_e32 v[16:17], s[24:25], v[16:17]
	s_and_not1_b32 vcc_lo, exec_lo, s30
	s_cbranch_vccnz .LBB215_16
; %bb.12:                               ;   in Loop: Header=BB215_4 Depth=1
	s_wait_xcnt 0x0
	s_and_saveexec_b32 s26, s2
	s_cbranch_execz .LBB215_23
; %bb.13:                               ;   in Loop: Header=BB215_4 Depth=1
	v_add_nc_u64_e32 v[18:19], s[20:21], v[14:15]
	v_lshlrev_b64_e32 v[14:15], 2, v[8:9]
	v_lshl_add_u64 v[20:21], v[6:7], 2, v[16:17]
	s_delay_alu instid0(VALU_DEP_3) | instskip(NEXT) | instid1(VALU_DEP_2)
	v_lshl_add_u64 v[18:19], v[4:5], 2, v[18:19]
	v_add_nc_u64_e32 v[22:23], v[20:21], v[14:15]
	s_delay_alu instid0(VALU_DEP_2)
	v_add_nc_u64_e32 v[24:25], v[18:19], v[14:15]
	s_and_saveexec_b32 s27, s3
	s_cbranch_execnz .LBB215_17
; %bb.14:                               ;   in Loop: Header=BB215_4 Depth=1
	s_or_b32 exec_lo, exec_lo, s27
	s_and_saveexec_b32 s27, s4
	s_cbranch_execnz .LBB215_18
.LBB215_15:                             ;   in Loop: Header=BB215_4 Depth=1
	s_or_b32 exec_lo, exec_lo, s27
	s_delay_alu instid0(SALU_CYCLE_1)
	s_and_b32 exec_lo, exec_lo, s5
	s_cbranch_execnz .LBB215_19
	s_branch .LBB215_23
.LBB215_16:                             ;   in Loop: Header=BB215_4 Depth=1
	s_branch .LBB215_24
.LBB215_17:                             ;   in Loop: Header=BB215_4 Depth=1
	flat_load_b32 v34, v[24:25]
	v_mul_lo_u32 v35, v32, s38
	s_wait_loadcnt_dscnt 0x0
	s_delay_alu instid0(VALU_DEP_1)
	v_mad_u32 v34, v34, s39, v35
	flat_store_b32 v[22:23], v34
	s_wait_xcnt 0x0
	s_or_b32 exec_lo, exec_lo, s27
	s_and_saveexec_b32 s27, s4
	s_cbranch_execz .LBB215_15
.LBB215_18:                             ;   in Loop: Header=BB215_4 Depth=1
	flat_load_b32 v24, v[24:25] offset:64
	s_wait_xcnt 0x0
	v_mul_lo_u32 v25, v33, s38
	s_wait_loadcnt_dscnt 0x0
	s_delay_alu instid0(VALU_DEP_1) | instskip(SKIP_3) | instid1(SALU_CYCLE_1)
	v_mad_u32 v24, v24, s39, v25
	flat_store_b32 v[22:23], v24 offset:64
	s_wait_xcnt 0x0
	s_or_b32 exec_lo, exec_lo, s27
	s_and_b32 exec_lo, exec_lo, s5
	s_cbranch_execz .LBB215_23
.LBB215_19:                             ;   in Loop: Header=BB215_4 Depth=1
	v_lshl_add_u64 v[18:19], s[6:7], 2, v[18:19]
	v_lshl_add_u64 v[20:21], s[12:13], 2, v[20:21]
	s_delay_alu instid0(VALU_DEP_2) | instskip(NEXT) | instid1(VALU_DEP_2)
	v_add_nc_u64_e32 v[18:19], v[18:19], v[14:15]
	v_add_nc_u64_e32 v[14:15], v[20:21], v[14:15]
	s_and_saveexec_b32 s27, s3
	s_cbranch_execz .LBB215_21
; %bb.20:                               ;   in Loop: Header=BB215_4 Depth=1
	flat_load_b32 v20, v[18:19]
	v_mul_lo_u32 v21, v31, s38
	s_wait_loadcnt_dscnt 0x0
	s_delay_alu instid0(VALU_DEP_1)
	v_mad_u32 v20, v20, s39, v21
	flat_store_b32 v[14:15], v20
.LBB215_21:                             ;   in Loop: Header=BB215_4 Depth=1
	s_wait_xcnt 0x0
	s_or_b32 exec_lo, exec_lo, s27
	s_delay_alu instid0(SALU_CYCLE_1)
	s_and_b32 exec_lo, exec_lo, s4
	s_cbranch_execz .LBB215_23
; %bb.22:                               ;   in Loop: Header=BB215_4 Depth=1
	flat_load_b32 v18, v[18:19] offset:64
	s_wait_xcnt 0x0
	v_mul_lo_u32 v19, v30, s38
	s_wait_loadcnt_dscnt 0x0
	s_delay_alu instid0(VALU_DEP_1)
	v_mad_u32 v18, v18, s39, v19
	flat_store_b32 v[14:15], v18 offset:64
.LBB215_23:                             ;   in Loop: Header=BB215_4 Depth=1
	s_wait_xcnt 0x0
	s_or_b32 exec_lo, exec_lo, s26
	s_cbranch_execnz .LBB215_3
.LBB215_24:                             ;   in Loop: Header=BB215_4 Depth=1
	s_wait_xcnt 0x0
	s_and_saveexec_b32 s26, s2
	s_cbranch_execz .LBB215_2
; %bb.25:                               ;   in Loop: Header=BB215_4 Depth=1
	v_lshl_add_u64 v[14:15], v[6:7], 2, v[16:17]
	s_delay_alu instid0(VALU_DEP_1)
	v_lshl_add_u64 v[16:17], v[8:9], 2, v[14:15]
	s_and_saveexec_b32 s27, s3
	s_cbranch_execnz .LBB215_28
; %bb.26:                               ;   in Loop: Header=BB215_4 Depth=1
	s_or_b32 exec_lo, exec_lo, s27
	s_and_saveexec_b32 s27, s4
	s_cbranch_execnz .LBB215_29
.LBB215_27:                             ;   in Loop: Header=BB215_4 Depth=1
	s_or_b32 exec_lo, exec_lo, s27
	s_delay_alu instid0(SALU_CYCLE_1)
	s_and_b32 exec_lo, exec_lo, s5
	s_cbranch_execz .LBB215_2
	s_branch .LBB215_30
.LBB215_28:                             ;   in Loop: Header=BB215_4 Depth=1
	v_mul_lo_u32 v18, v32, s38
	flat_store_b32 v[16:17], v18
	s_wait_xcnt 0x0
	s_or_b32 exec_lo, exec_lo, s27
	s_and_saveexec_b32 s27, s4
	s_cbranch_execz .LBB215_27
.LBB215_29:                             ;   in Loop: Header=BB215_4 Depth=1
	v_mul_lo_u32 v18, v33, s38
	flat_store_b32 v[16:17], v18 offset:64
	s_wait_xcnt 0x0
	s_or_b32 exec_lo, exec_lo, s27
	s_delay_alu instid0(SALU_CYCLE_1)
	s_and_b32 exec_lo, exec_lo, s5
	s_cbranch_execz .LBB215_2
.LBB215_30:                             ;   in Loop: Header=BB215_4 Depth=1
	v_lshl_add_u64 v[14:15], s[12:13], 2, v[14:15]
	s_delay_alu instid0(VALU_DEP_1)
	v_lshl_add_u64 v[14:15], v[8:9], 2, v[14:15]
	s_and_saveexec_b32 s27, s3
	s_cbranch_execz .LBB215_32
; %bb.31:                               ;   in Loop: Header=BB215_4 Depth=1
	v_mul_lo_u32 v16, v31, s38
	flat_store_b32 v[14:15], v16
.LBB215_32:                             ;   in Loop: Header=BB215_4 Depth=1
	s_wait_xcnt 0x0
	s_or_b32 exec_lo, exec_lo, s27
	s_delay_alu instid0(SALU_CYCLE_1)
	s_and_b32 exec_lo, exec_lo, s4
	s_cbranch_execz .LBB215_2
; %bb.33:                               ;   in Loop: Header=BB215_4 Depth=1
	v_mul_lo_u32 v16, v30, s38
	flat_store_b32 v[14:15], v16 offset:64
	s_branch .LBB215_2
.LBB215_34:
	s_endpgm
	.section	.rodata,"a",@progbits
	.p2align	6, 0x0
	.amdhsa_kernel _ZN12_GLOBAL__N_135rocblas_gemm_batched_general_kernelIiLi16ELi16ELi32ELi32ELi8ELi32ELi8ELi8ELi32ELc78ELc84EKPKaKPKiKPiEEvlllT_PT11_llSB_llS9_PT12_llPT13_lli
		.amdhsa_group_segment_fixed_size 2048
		.amdhsa_private_segment_fixed_size 0
		.amdhsa_kernarg_size 140
		.amdhsa_user_sgpr_count 2
		.amdhsa_user_sgpr_dispatch_ptr 0
		.amdhsa_user_sgpr_queue_ptr 0
		.amdhsa_user_sgpr_kernarg_segment_ptr 1
		.amdhsa_user_sgpr_dispatch_id 0
		.amdhsa_user_sgpr_kernarg_preload_length 0
		.amdhsa_user_sgpr_kernarg_preload_offset 0
		.amdhsa_user_sgpr_private_segment_size 0
		.amdhsa_wavefront_size32 1
		.amdhsa_uses_dynamic_stack 0
		.amdhsa_enable_private_segment 0
		.amdhsa_system_sgpr_workgroup_id_x 1
		.amdhsa_system_sgpr_workgroup_id_y 1
		.amdhsa_system_sgpr_workgroup_id_z 1
		.amdhsa_system_sgpr_workgroup_info 0
		.amdhsa_system_vgpr_workitem_id 1
		.amdhsa_next_free_vgpr 52
		.amdhsa_next_free_sgpr 42
		.amdhsa_named_barrier_count 0
		.amdhsa_reserve_vcc 1
		.amdhsa_float_round_mode_32 0
		.amdhsa_float_round_mode_16_64 0
		.amdhsa_float_denorm_mode_32 3
		.amdhsa_float_denorm_mode_16_64 3
		.amdhsa_fp16_overflow 0
		.amdhsa_memory_ordered 1
		.amdhsa_forward_progress 1
		.amdhsa_inst_pref_size 16
		.amdhsa_round_robin_scheduling 0
		.amdhsa_exception_fp_ieee_invalid_op 0
		.amdhsa_exception_fp_denorm_src 0
		.amdhsa_exception_fp_ieee_div_zero 0
		.amdhsa_exception_fp_ieee_overflow 0
		.amdhsa_exception_fp_ieee_underflow 0
		.amdhsa_exception_fp_ieee_inexact 0
		.amdhsa_exception_int_div_zero 0
	.end_amdhsa_kernel
	.section	.text._ZN12_GLOBAL__N_135rocblas_gemm_batched_general_kernelIiLi16ELi16ELi32ELi32ELi8ELi32ELi8ELi8ELi32ELc78ELc84EKPKaKPKiKPiEEvlllT_PT11_llSB_llS9_PT12_llPT13_lli,"axG",@progbits,_ZN12_GLOBAL__N_135rocblas_gemm_batched_general_kernelIiLi16ELi16ELi32ELi32ELi8ELi32ELi8ELi8ELi32ELc78ELc84EKPKaKPKiKPiEEvlllT_PT11_llSB_llS9_PT12_llPT13_lli,comdat
.Lfunc_end215:
	.size	_ZN12_GLOBAL__N_135rocblas_gemm_batched_general_kernelIiLi16ELi16ELi32ELi32ELi8ELi32ELi8ELi8ELi32ELc78ELc84EKPKaKPKiKPiEEvlllT_PT11_llSB_llS9_PT12_llPT13_lli, .Lfunc_end215-_ZN12_GLOBAL__N_135rocblas_gemm_batched_general_kernelIiLi16ELi16ELi32ELi32ELi8ELi32ELi8ELi8ELi32ELc78ELc84EKPKaKPKiKPiEEvlllT_PT11_llSB_llS9_PT12_llPT13_lli
                                        ; -- End function
	.set _ZN12_GLOBAL__N_135rocblas_gemm_batched_general_kernelIiLi16ELi16ELi32ELi32ELi8ELi32ELi8ELi8ELi32ELc78ELc84EKPKaKPKiKPiEEvlllT_PT11_llSB_llS9_PT12_llPT13_lli.num_vgpr, 52
	.set _ZN12_GLOBAL__N_135rocblas_gemm_batched_general_kernelIiLi16ELi16ELi32ELi32ELi8ELi32ELi8ELi8ELi32ELc78ELc84EKPKaKPKiKPiEEvlllT_PT11_llSB_llS9_PT12_llPT13_lli.num_agpr, 0
	.set _ZN12_GLOBAL__N_135rocblas_gemm_batched_general_kernelIiLi16ELi16ELi32ELi32ELi8ELi32ELi8ELi8ELi32ELc78ELc84EKPKaKPKiKPiEEvlllT_PT11_llSB_llS9_PT12_llPT13_lli.numbered_sgpr, 42
	.set _ZN12_GLOBAL__N_135rocblas_gemm_batched_general_kernelIiLi16ELi16ELi32ELi32ELi8ELi32ELi8ELi8ELi32ELc78ELc84EKPKaKPKiKPiEEvlllT_PT11_llSB_llS9_PT12_llPT13_lli.num_named_barrier, 0
	.set _ZN12_GLOBAL__N_135rocblas_gemm_batched_general_kernelIiLi16ELi16ELi32ELi32ELi8ELi32ELi8ELi8ELi32ELc78ELc84EKPKaKPKiKPiEEvlllT_PT11_llSB_llS9_PT12_llPT13_lli.private_seg_size, 0
	.set _ZN12_GLOBAL__N_135rocblas_gemm_batched_general_kernelIiLi16ELi16ELi32ELi32ELi8ELi32ELi8ELi8ELi32ELc78ELc84EKPKaKPKiKPiEEvlllT_PT11_llSB_llS9_PT12_llPT13_lli.uses_vcc, 1
	.set _ZN12_GLOBAL__N_135rocblas_gemm_batched_general_kernelIiLi16ELi16ELi32ELi32ELi8ELi32ELi8ELi8ELi32ELc78ELc84EKPKaKPKiKPiEEvlllT_PT11_llSB_llS9_PT12_llPT13_lli.uses_flat_scratch, 0
	.set _ZN12_GLOBAL__N_135rocblas_gemm_batched_general_kernelIiLi16ELi16ELi32ELi32ELi8ELi32ELi8ELi8ELi32ELc78ELc84EKPKaKPKiKPiEEvlllT_PT11_llSB_llS9_PT12_llPT13_lli.has_dyn_sized_stack, 0
	.set _ZN12_GLOBAL__N_135rocblas_gemm_batched_general_kernelIiLi16ELi16ELi32ELi32ELi8ELi32ELi8ELi8ELi32ELc78ELc84EKPKaKPKiKPiEEvlllT_PT11_llSB_llS9_PT12_llPT13_lli.has_recursion, 0
	.set _ZN12_GLOBAL__N_135rocblas_gemm_batched_general_kernelIiLi16ELi16ELi32ELi32ELi8ELi32ELi8ELi8ELi32ELc78ELc84EKPKaKPKiKPiEEvlllT_PT11_llSB_llS9_PT12_llPT13_lli.has_indirect_call, 0
	.section	.AMDGPU.csdata,"",@progbits
; Kernel info:
; codeLenInByte = 1940
; TotalNumSgprs: 44
; NumVgprs: 52
; ScratchSize: 0
; MemoryBound: 0
; FloatMode: 240
; IeeeMode: 1
; LDSByteSize: 2048 bytes/workgroup (compile time only)
; SGPRBlocks: 0
; VGPRBlocks: 3
; NumSGPRsForWavesPerEU: 44
; NumVGPRsForWavesPerEU: 52
; NamedBarCnt: 0
; Occupancy: 16
; WaveLimiterHint : 1
; COMPUTE_PGM_RSRC2:SCRATCH_EN: 0
; COMPUTE_PGM_RSRC2:USER_SGPR: 2
; COMPUTE_PGM_RSRC2:TRAP_HANDLER: 0
; COMPUTE_PGM_RSRC2:TGID_X_EN: 1
; COMPUTE_PGM_RSRC2:TGID_Y_EN: 1
; COMPUTE_PGM_RSRC2:TGID_Z_EN: 1
; COMPUTE_PGM_RSRC2:TIDIG_COMP_CNT: 1
	.section	.text._ZN12_GLOBAL__N_135rocblas_gemm_batched_general_kernelIiLi16ELi16ELi32ELi32ELi8ELi32ELi8ELi8ELi32ELc84ELc84EKPKaKPKiKPiEEvlllT_PT11_llSB_llS9_PT12_llPT13_lli,"axG",@progbits,_ZN12_GLOBAL__N_135rocblas_gemm_batched_general_kernelIiLi16ELi16ELi32ELi32ELi8ELi32ELi8ELi8ELi32ELc84ELc84EKPKaKPKiKPiEEvlllT_PT11_llSB_llS9_PT12_llPT13_lli,comdat
	.globl	_ZN12_GLOBAL__N_135rocblas_gemm_batched_general_kernelIiLi16ELi16ELi32ELi32ELi8ELi32ELi8ELi8ELi32ELc84ELc84EKPKaKPKiKPiEEvlllT_PT11_llSB_llS9_PT12_llPT13_lli ; -- Begin function _ZN12_GLOBAL__N_135rocblas_gemm_batched_general_kernelIiLi16ELi16ELi32ELi32ELi8ELi32ELi8ELi8ELi32ELc84ELc84EKPKaKPKiKPiEEvlllT_PT11_llSB_llS9_PT12_llPT13_lli
	.p2align	8
	.type	_ZN12_GLOBAL__N_135rocblas_gemm_batched_general_kernelIiLi16ELi16ELi32ELi32ELi8ELi32ELi8ELi8ELi32ELc84ELc84EKPKaKPKiKPiEEvlllT_PT11_llSB_llS9_PT12_llPT13_lli,@function
_ZN12_GLOBAL__N_135rocblas_gemm_batched_general_kernelIiLi16ELi16ELi32ELi32ELi8ELi32ELi8ELi8ELi32ELc84ELc84EKPKaKPKiKPiEEvlllT_PT11_llSB_llS9_PT12_llPT13_lli: ; @_ZN12_GLOBAL__N_135rocblas_gemm_batched_general_kernelIiLi16ELi16ELi32ELi32ELi8ELi32ELi8ELi8ELi32ELc84ELc84EKPKaKPKiKPiEEvlllT_PT11_llSB_llS9_PT12_llPT13_lli
; %bb.0:
	s_load_b32 s33, s[0:1], 0x88
	s_bfe_u32 s2, ttmp6, 0x40014
	s_lshr_b32 s3, ttmp7, 16
	s_add_co_i32 s2, s2, 1
	s_bfe_u32 s5, ttmp6, 0x40008
	s_mul_i32 s4, s3, s2
	s_getreg_b32 s2, hwreg(HW_REG_IB_STS2, 6, 4)
	s_add_co_i32 s5, s5, s4
	s_cmp_eq_u32 s2, 0
	s_mov_b32 s35, 0
	s_cselect_b32 s34, s3, s5
	s_wait_kmcnt 0x0
	s_cmp_ge_i32 s34, s33
	s_cbranch_scc1 .LBB216_34
; %bb.1:
	s_clause 0x2
	s_load_b128 s[4:7], s[0:1], 0x0
	s_load_b96 s[36:38], s[0:1], 0x10
	s_load_b256 s[8:15], s[0:1], 0x20
	v_bfe_u32 v12, v0, 10, 10
	v_and_b32_e32 v14, 0x3ff, v0
	s_clause 0x3
	s_load_b128 s[24:27], s[0:1], 0x40
	s_load_b32 s39, s[0:1], 0x50
	s_load_b128 s[28:31], s[0:1], 0x78
	s_load_b256 s[16:23], s[0:1], 0x58
	s_wait_xcnt 0x0
	s_bfe_u32 s0, ttmp6, 0x4000c
	s_bfe_u32 s3, ttmp6, 0x40010
	s_add_co_i32 s0, s0, 1
	s_and_b32 s40, ttmp7, 0xffff
	s_add_co_i32 s3, s3, 1
	v_lshl_add_u32 v1, v12, 4, v14
	v_mov_b32_e32 v13, 0
	s_and_b32 s1, ttmp6, 15
	s_mul_i32 s0, ttmp9, s0
	s_mul_i32 s3, s40, s3
	s_bfe_u32 s41, ttmp6, 0x40004
	s_add_co_i32 s1, s1, s0
	s_add_co_i32 s41, s41, s3
	s_cmp_eq_u32 s2, 0
	v_dual_mov_b32 v15, v13 :: v_dual_bitop2_b32 v24, 31, v1 bitop3:0x40
	v_dual_mov_b32 v3, v13 :: v_dual_lshrrev_b32 v2, 5, v1
	v_and_b32_e32 v0, 7, v0
	s_cselect_b32 s0, ttmp9, s1
	s_cselect_b32 s2, s40, s41
	s_ashr_i32 s1, s0, 31
	v_dual_mov_b32 v11, v13 :: v_dual_lshrrev_b32 v10, 3, v1
	s_lshl_b32 s40, s2, 5
	s_mov_b32 s41, s35
	s_lshl_b64 s[42:43], s[0:1], 5
	s_wait_kmcnt 0x0
	v_add_nc_u64_e32 v[6:7], s[12:13], v[2:3]
	v_add_nc_u64_e32 v[16:17], s[40:41], v[12:13]
	v_dual_mov_b32 v19, s43 :: v_dual_bitop2_b32 v18, s42, v24 bitop3:0x54
	v_add_nc_u64_e32 v[20:21], s[26:27], v[10:11]
	v_dual_mov_b32 v1, v13 :: v_dual_lshlrev_b32 v13, 2, v0
	s_delay_alu instid0(VALU_DEP_3)
	v_mad_nc_u64_u32 v[6:7], s10, v18, v[6:7]
	v_mul_u64_e32 v[4:5], s[18:19], v[16:17]
	v_mul_u64_e32 v[8:9], s[28:29], v[16:17]
	v_add_nc_u64_e32 v[22:23], s[40:41], v[10:11]
	v_mad_nc_u64_u32 v[20:21], s24, v0, v[20:21]
	v_lshl_or_b32 v13, v10, 5, v13
	v_add_nc_u64_e32 v[10:11], s[42:43], v[14:15]
	v_dual_lshlrev_b32 v24, 2, v24 :: v_dual_lshlrev_b32 v28, 2, v14
	v_cmp_gt_i64_e64 s0, s[4:5], v[18:19]
	v_cmp_gt_i64_e64 s1, s[6:7], v[22:23]
	v_mad_u32 v7, s11, v18, v7
	v_add_nc_u64_e32 v[18:19], 16, v[16:17]
	v_add_nc_u64_e32 v[14:15], 16, v[10:11]
	v_add_nc_u32_e32 v27, 0x400, v13
	v_mad_u32 v21, s25, v0, v21
	v_lshl_add_u32 v29, v12, 5, 0x400
	v_cmp_gt_i64_e64 s2, s[6:7], v[16:17]
	v_cmp_gt_i64_e64 s3, s[4:5], v[10:11]
	;; [unrolled: 1-line block ×5, first 2 shown]
	v_mad_u32 v7, s10, s43, v7
	v_lshl_or_b32 v26, v2, 7, v24
	s_cmp_lg_u32 s39, 0
	v_add_nc_u64_e32 v[12:13], s[40:41], v[20:21]
	s_cselect_b32 s26, -1, 0
	s_lshl_b64 s[6:7], s[18:19], 4
	s_lshl_b64 s[10:11], s[28:29], 4
	;; [unrolled: 1-line block ×5, first 2 shown]
	s_branch .LBB216_4
.LBB216_2:                              ;   in Loop: Header=BB216_4 Depth=1
	s_wait_xcnt 0x0
	s_or_b32 exec_lo, exec_lo, s24
.LBB216_3:                              ;   in Loop: Header=BB216_4 Depth=1
	s_add_co_i32 s34, s34, 0x10000
	s_delay_alu instid0(SALU_CYCLE_1)
	s_cmp_lt_i32 s34, s33
	s_cbranch_scc0 .LBB216_34
.LBB216_4:                              ; =>This Loop Header: Depth=1
                                        ;     Child Loop BB216_7 Depth 2
	s_wait_xcnt 0x0
	v_dual_mov_b32 v18, s34 :: v_dual_mov_b32 v33, 0
	v_dual_mov_b32 v32, 0 :: v_dual_mov_b32 v30, 0
	v_mov_b32_e32 v31, 0
	s_clause 0x1
	global_load_b64 v[14:15], v18, s[16:17] scale_offset
	global_load_b64 v[16:17], v18, s[22:23] scale_offset
	s_and_not1_b32 vcc_lo, exec_lo, s27
	s_cbranch_vccnz .LBB216_11
; %bb.5:                                ;   in Loop: Header=BB216_4 Depth=1
	v_dual_mov_b32 v32, 0 :: v_dual_mov_b32 v33, 0
	s_lshl_b64 s[24:25], s[34:35], 3
	v_dual_mov_b32 v31, 0 :: v_dual_mov_b32 v30, 0
	s_add_nc_u64 s[28:29], s[14:15], s[24:25]
	s_add_nc_u64 s[24:25], s[8:9], s[24:25]
	s_clause 0x1
	global_load_b64 v[18:19], v32, s[28:29]
	global_load_b64 v[20:21], v32, s[24:25]
	s_wait_xcnt 0x0
	s_mov_b64 s[24:25], 0
	s_wait_loadcnt 0x1
	v_add_nc_u64_e32 v[18:19], v[18:19], v[12:13]
	s_wait_loadcnt 0x0
	v_add_nc_u64_e32 v[20:21], v[20:21], v[6:7]
	s_branch .LBB216_7
.LBB216_6:                              ;   in Loop: Header=BB216_7 Depth=2
	s_wait_xcnt 0x0
	s_or_b32 exec_lo, exec_lo, s28
	s_wait_loadcnt_dscnt 0x0
	ds_store_b32 v27, v23
	s_wait_dscnt 0x0
	s_barrier_signal -1
	s_barrier_wait -1
	ds_load_b128 v[22:25], v29
	ds_load_2addr_b32 v[46:47], v28 offset1:16
	ds_load_b128 v[34:37], v29 offset:512
	ds_load_2addr_b32 v[48:49], v28 offset0:32 offset1:48
	ds_load_b128 v[38:41], v29 offset:16
	ds_load_2addr_b32 v[50:51], v28 offset0:64 offset1:80
	ds_load_b128 v[42:45], v29 offset:528
	s_add_nc_u64 s[24:25], s[24:25], 8
	v_add_nc_u64_e32 v[18:19], s[12:13], v[18:19]
	v_cmp_lt_i64_e64 s28, s[24:25], s[36:37]
	s_and_b32 vcc_lo, exec_lo, s28
	s_wait_dscnt 0x5
	v_mad_u32 v32, v22, v46, v32
	v_mad_u32 v22, v22, v47, v33
	s_wait_dscnt 0x4
	v_mad_u32 v33, v34, v46, v31
	v_mad_u32 v34, v34, v47, v30
	ds_load_2addr_b32 v[30:31], v28 offset0:96 offset1:112
	s_wait_dscnt 0x4
	v_mad_u32 v32, v23, v48, v32
	v_mad_u32 v46, v23, v49, v22
	v_mad_u32 v33, v35, v48, v33
	v_mad_u32 v34, v35, v49, v34
	ds_load_2addr_b32 v[22:23], v28 offset0:128 offset1:144
	s_wait_dscnt 0x3
	v_mad_u32 v35, v24, v50, v32
	v_mad_u32 v24, v24, v51, v46
	;; [unrolled: 6-line block ×4, first 2 shown]
	v_mad_u32 v30, v42, v22, v30
	v_mad_u32 v31, v42, v23, v31
	ds_load_2addr_b32 v[22:23], v28 offset0:224 offset1:240
	s_wait_dscnt 0x0
	s_barrier_signal -1
	s_barrier_wait -1
	v_mad_u32 v34, v39, v32, v34
	v_mad_u32 v35, v39, v33, v35
	;; [unrolled: 1-line block ×4, first 2 shown]
	s_delay_alu instid0(VALU_DEP_4) | instskip(NEXT) | instid1(VALU_DEP_4)
	v_mad_u32 v32, v40, v24, v34
	v_mad_u32 v33, v40, v25, v35
	s_delay_alu instid0(VALU_DEP_4) | instskip(NEXT) | instid1(VALU_DEP_4)
	v_mad_u32 v24, v44, v24, v30
	v_mad_u32 v25, v44, v25, v31
	;; [unrolled: 3-line block ×4, first 2 shown]
	s_cbranch_vccz .LBB216_11
.LBB216_7:                              ;   Parent Loop BB216_4 Depth=1
                                        ; =>  This Inner Loop Header: Depth=2
	v_add_nc_u64_e32 v[22:23], s[24:25], v[2:3]
	s_delay_alu instid0(VALU_DEP_1) | instskip(SKIP_2) | instid1(SALU_CYCLE_1)
	v_cmp_gt_i64_e32 vcc_lo, s[36:37], v[22:23]
	v_mov_b32_e32 v22, 0
	s_and_b32 s29, s0, vcc_lo
	s_and_saveexec_b32 s28, s29
	s_cbranch_execz .LBB216_9
; %bb.8:                                ;   in Loop: Header=BB216_7 Depth=2
	v_add_nc_u64_e32 v[22:23], s[24:25], v[20:21]
	flat_load_i8 v22, v[22:23]
.LBB216_9:                              ;   in Loop: Header=BB216_7 Depth=2
	s_wait_xcnt 0x0
	s_or_b32 exec_lo, exec_lo, s28
	v_add_nc_u64_e32 v[24:25], s[24:25], v[0:1]
	v_mov_b32_e32 v23, 0
	s_wait_loadcnt_dscnt 0x0
	ds_store_b32 v26, v22
	v_cmp_gt_i64_e32 vcc_lo, s[36:37], v[24:25]
	s_and_b32 s29, vcc_lo, s1
	s_delay_alu instid0(SALU_CYCLE_1)
	s_and_saveexec_b32 s28, s29
	s_cbranch_execz .LBB216_6
; %bb.10:                               ;   in Loop: Header=BB216_7 Depth=2
	flat_load_i8 v23, v[18:19]
	s_branch .LBB216_6
.LBB216_11:                             ;   in Loop: Header=BB216_4 Depth=1
	s_wait_loadcnt 0x0
	v_add_nc_u64_e32 v[16:17], s[18:19], v[16:17]
	s_and_not1_b32 vcc_lo, exec_lo, s26
	s_cbranch_vccnz .LBB216_16
; %bb.12:                               ;   in Loop: Header=BB216_4 Depth=1
	s_wait_xcnt 0x0
	s_and_saveexec_b32 s24, s2
	s_cbranch_execz .LBB216_23
; %bb.13:                               ;   in Loop: Header=BB216_4 Depth=1
	v_add_nc_u64_e32 v[18:19], s[20:21], v[14:15]
	v_lshlrev_b64_e32 v[14:15], 2, v[10:11]
	v_lshl_add_u64 v[20:21], v[8:9], 2, v[16:17]
	s_delay_alu instid0(VALU_DEP_3) | instskip(NEXT) | instid1(VALU_DEP_2)
	v_lshl_add_u64 v[18:19], v[4:5], 2, v[18:19]
	v_add_nc_u64_e32 v[22:23], v[20:21], v[14:15]
	s_delay_alu instid0(VALU_DEP_2)
	v_add_nc_u64_e32 v[24:25], v[18:19], v[14:15]
	s_and_saveexec_b32 s25, s3
	s_cbranch_execnz .LBB216_17
; %bb.14:                               ;   in Loop: Header=BB216_4 Depth=1
	s_or_b32 exec_lo, exec_lo, s25
	s_and_saveexec_b32 s25, s4
	s_cbranch_execnz .LBB216_18
.LBB216_15:                             ;   in Loop: Header=BB216_4 Depth=1
	s_or_b32 exec_lo, exec_lo, s25
	s_delay_alu instid0(SALU_CYCLE_1)
	s_and_b32 exec_lo, exec_lo, s5
	s_cbranch_execnz .LBB216_19
	s_branch .LBB216_23
.LBB216_16:                             ;   in Loop: Header=BB216_4 Depth=1
	s_branch .LBB216_24
.LBB216_17:                             ;   in Loop: Header=BB216_4 Depth=1
	flat_load_b32 v34, v[24:25]
	v_mul_lo_u32 v35, v32, s38
	s_wait_loadcnt_dscnt 0x0
	s_delay_alu instid0(VALU_DEP_1)
	v_mad_u32 v34, v34, s39, v35
	flat_store_b32 v[22:23], v34
	s_wait_xcnt 0x0
	s_or_b32 exec_lo, exec_lo, s25
	s_and_saveexec_b32 s25, s4
	s_cbranch_execz .LBB216_15
.LBB216_18:                             ;   in Loop: Header=BB216_4 Depth=1
	flat_load_b32 v24, v[24:25] offset:64
	s_wait_xcnt 0x0
	v_mul_lo_u32 v25, v33, s38
	s_wait_loadcnt_dscnt 0x0
	s_delay_alu instid0(VALU_DEP_1) | instskip(SKIP_3) | instid1(SALU_CYCLE_1)
	v_mad_u32 v24, v24, s39, v25
	flat_store_b32 v[22:23], v24 offset:64
	s_wait_xcnt 0x0
	s_or_b32 exec_lo, exec_lo, s25
	s_and_b32 exec_lo, exec_lo, s5
	s_cbranch_execz .LBB216_23
.LBB216_19:                             ;   in Loop: Header=BB216_4 Depth=1
	v_lshl_add_u64 v[18:19], s[6:7], 2, v[18:19]
	v_lshl_add_u64 v[20:21], s[10:11], 2, v[20:21]
	s_delay_alu instid0(VALU_DEP_2) | instskip(NEXT) | instid1(VALU_DEP_2)
	v_add_nc_u64_e32 v[18:19], v[18:19], v[14:15]
	v_add_nc_u64_e32 v[14:15], v[20:21], v[14:15]
	s_and_saveexec_b32 s25, s3
	s_cbranch_execz .LBB216_21
; %bb.20:                               ;   in Loop: Header=BB216_4 Depth=1
	flat_load_b32 v20, v[18:19]
	v_mul_lo_u32 v21, v31, s38
	s_wait_loadcnt_dscnt 0x0
	s_delay_alu instid0(VALU_DEP_1)
	v_mad_u32 v20, v20, s39, v21
	flat_store_b32 v[14:15], v20
.LBB216_21:                             ;   in Loop: Header=BB216_4 Depth=1
	s_wait_xcnt 0x0
	s_or_b32 exec_lo, exec_lo, s25
	s_delay_alu instid0(SALU_CYCLE_1)
	s_and_b32 exec_lo, exec_lo, s4
	s_cbranch_execz .LBB216_23
; %bb.22:                               ;   in Loop: Header=BB216_4 Depth=1
	flat_load_b32 v18, v[18:19] offset:64
	s_wait_xcnt 0x0
	v_mul_lo_u32 v19, v30, s38
	s_wait_loadcnt_dscnt 0x0
	s_delay_alu instid0(VALU_DEP_1)
	v_mad_u32 v18, v18, s39, v19
	flat_store_b32 v[14:15], v18 offset:64
.LBB216_23:                             ;   in Loop: Header=BB216_4 Depth=1
	s_wait_xcnt 0x0
	s_or_b32 exec_lo, exec_lo, s24
	s_cbranch_execnz .LBB216_3
.LBB216_24:                             ;   in Loop: Header=BB216_4 Depth=1
	s_wait_xcnt 0x0
	s_and_saveexec_b32 s24, s2
	s_cbranch_execz .LBB216_2
; %bb.25:                               ;   in Loop: Header=BB216_4 Depth=1
	v_lshl_add_u64 v[14:15], v[8:9], 2, v[16:17]
	s_delay_alu instid0(VALU_DEP_1)
	v_lshl_add_u64 v[16:17], v[10:11], 2, v[14:15]
	s_and_saveexec_b32 s25, s3
	s_cbranch_execnz .LBB216_28
; %bb.26:                               ;   in Loop: Header=BB216_4 Depth=1
	s_or_b32 exec_lo, exec_lo, s25
	s_and_saveexec_b32 s25, s4
	s_cbranch_execnz .LBB216_29
.LBB216_27:                             ;   in Loop: Header=BB216_4 Depth=1
	s_or_b32 exec_lo, exec_lo, s25
	s_delay_alu instid0(SALU_CYCLE_1)
	s_and_b32 exec_lo, exec_lo, s5
	s_cbranch_execz .LBB216_2
	s_branch .LBB216_30
.LBB216_28:                             ;   in Loop: Header=BB216_4 Depth=1
	v_mul_lo_u32 v18, v32, s38
	flat_store_b32 v[16:17], v18
	s_wait_xcnt 0x0
	s_or_b32 exec_lo, exec_lo, s25
	s_and_saveexec_b32 s25, s4
	s_cbranch_execz .LBB216_27
.LBB216_29:                             ;   in Loop: Header=BB216_4 Depth=1
	v_mul_lo_u32 v18, v33, s38
	flat_store_b32 v[16:17], v18 offset:64
	s_wait_xcnt 0x0
	s_or_b32 exec_lo, exec_lo, s25
	s_delay_alu instid0(SALU_CYCLE_1)
	s_and_b32 exec_lo, exec_lo, s5
	s_cbranch_execz .LBB216_2
.LBB216_30:                             ;   in Loop: Header=BB216_4 Depth=1
	v_lshl_add_u64 v[14:15], s[10:11], 2, v[14:15]
	s_delay_alu instid0(VALU_DEP_1)
	v_lshl_add_u64 v[14:15], v[10:11], 2, v[14:15]
	s_and_saveexec_b32 s25, s3
	s_cbranch_execz .LBB216_32
; %bb.31:                               ;   in Loop: Header=BB216_4 Depth=1
	v_mul_lo_u32 v16, v31, s38
	flat_store_b32 v[14:15], v16
.LBB216_32:                             ;   in Loop: Header=BB216_4 Depth=1
	s_wait_xcnt 0x0
	s_or_b32 exec_lo, exec_lo, s25
	s_delay_alu instid0(SALU_CYCLE_1)
	s_and_b32 exec_lo, exec_lo, s4
	s_cbranch_execz .LBB216_2
; %bb.33:                               ;   in Loop: Header=BB216_4 Depth=1
	v_mul_lo_u32 v16, v30, s38
	flat_store_b32 v[14:15], v16 offset:64
	s_branch .LBB216_2
.LBB216_34:
	s_endpgm
	.section	.rodata,"a",@progbits
	.p2align	6, 0x0
	.amdhsa_kernel _ZN12_GLOBAL__N_135rocblas_gemm_batched_general_kernelIiLi16ELi16ELi32ELi32ELi8ELi32ELi8ELi8ELi32ELc84ELc84EKPKaKPKiKPiEEvlllT_PT11_llSB_llS9_PT12_llPT13_lli
		.amdhsa_group_segment_fixed_size 2048
		.amdhsa_private_segment_fixed_size 0
		.amdhsa_kernarg_size 140
		.amdhsa_user_sgpr_count 2
		.amdhsa_user_sgpr_dispatch_ptr 0
		.amdhsa_user_sgpr_queue_ptr 0
		.amdhsa_user_sgpr_kernarg_segment_ptr 1
		.amdhsa_user_sgpr_dispatch_id 0
		.amdhsa_user_sgpr_kernarg_preload_length 0
		.amdhsa_user_sgpr_kernarg_preload_offset 0
		.amdhsa_user_sgpr_private_segment_size 0
		.amdhsa_wavefront_size32 1
		.amdhsa_uses_dynamic_stack 0
		.amdhsa_enable_private_segment 0
		.amdhsa_system_sgpr_workgroup_id_x 1
		.amdhsa_system_sgpr_workgroup_id_y 1
		.amdhsa_system_sgpr_workgroup_id_z 1
		.amdhsa_system_sgpr_workgroup_info 0
		.amdhsa_system_vgpr_workitem_id 1
		.amdhsa_next_free_vgpr 52
		.amdhsa_next_free_sgpr 44
		.amdhsa_named_barrier_count 0
		.amdhsa_reserve_vcc 1
		.amdhsa_float_round_mode_32 0
		.amdhsa_float_round_mode_16_64 0
		.amdhsa_float_denorm_mode_32 3
		.amdhsa_float_denorm_mode_16_64 3
		.amdhsa_fp16_overflow 0
		.amdhsa_memory_ordered 1
		.amdhsa_forward_progress 1
		.amdhsa_inst_pref_size 16
		.amdhsa_round_robin_scheduling 0
		.amdhsa_exception_fp_ieee_invalid_op 0
		.amdhsa_exception_fp_denorm_src 0
		.amdhsa_exception_fp_ieee_div_zero 0
		.amdhsa_exception_fp_ieee_overflow 0
		.amdhsa_exception_fp_ieee_underflow 0
		.amdhsa_exception_fp_ieee_inexact 0
		.amdhsa_exception_int_div_zero 0
	.end_amdhsa_kernel
	.section	.text._ZN12_GLOBAL__N_135rocblas_gemm_batched_general_kernelIiLi16ELi16ELi32ELi32ELi8ELi32ELi8ELi8ELi32ELc84ELc84EKPKaKPKiKPiEEvlllT_PT11_llSB_llS9_PT12_llPT13_lli,"axG",@progbits,_ZN12_GLOBAL__N_135rocblas_gemm_batched_general_kernelIiLi16ELi16ELi32ELi32ELi8ELi32ELi8ELi8ELi32ELc84ELc84EKPKaKPKiKPiEEvlllT_PT11_llSB_llS9_PT12_llPT13_lli,comdat
.Lfunc_end216:
	.size	_ZN12_GLOBAL__N_135rocblas_gemm_batched_general_kernelIiLi16ELi16ELi32ELi32ELi8ELi32ELi8ELi8ELi32ELc84ELc84EKPKaKPKiKPiEEvlllT_PT11_llSB_llS9_PT12_llPT13_lli, .Lfunc_end216-_ZN12_GLOBAL__N_135rocblas_gemm_batched_general_kernelIiLi16ELi16ELi32ELi32ELi8ELi32ELi8ELi8ELi32ELc84ELc84EKPKaKPKiKPiEEvlllT_PT11_llSB_llS9_PT12_llPT13_lli
                                        ; -- End function
	.set _ZN12_GLOBAL__N_135rocblas_gemm_batched_general_kernelIiLi16ELi16ELi32ELi32ELi8ELi32ELi8ELi8ELi32ELc84ELc84EKPKaKPKiKPiEEvlllT_PT11_llSB_llS9_PT12_llPT13_lli.num_vgpr, 52
	.set _ZN12_GLOBAL__N_135rocblas_gemm_batched_general_kernelIiLi16ELi16ELi32ELi32ELi8ELi32ELi8ELi8ELi32ELc84ELc84EKPKaKPKiKPiEEvlllT_PT11_llSB_llS9_PT12_llPT13_lli.num_agpr, 0
	.set _ZN12_GLOBAL__N_135rocblas_gemm_batched_general_kernelIiLi16ELi16ELi32ELi32ELi8ELi32ELi8ELi8ELi32ELc84ELc84EKPKaKPKiKPiEEvlllT_PT11_llSB_llS9_PT12_llPT13_lli.numbered_sgpr, 44
	.set _ZN12_GLOBAL__N_135rocblas_gemm_batched_general_kernelIiLi16ELi16ELi32ELi32ELi8ELi32ELi8ELi8ELi32ELc84ELc84EKPKaKPKiKPiEEvlllT_PT11_llSB_llS9_PT12_llPT13_lli.num_named_barrier, 0
	.set _ZN12_GLOBAL__N_135rocblas_gemm_batched_general_kernelIiLi16ELi16ELi32ELi32ELi8ELi32ELi8ELi8ELi32ELc84ELc84EKPKaKPKiKPiEEvlllT_PT11_llSB_llS9_PT12_llPT13_lli.private_seg_size, 0
	.set _ZN12_GLOBAL__N_135rocblas_gemm_batched_general_kernelIiLi16ELi16ELi32ELi32ELi8ELi32ELi8ELi8ELi32ELc84ELc84EKPKaKPKiKPiEEvlllT_PT11_llSB_llS9_PT12_llPT13_lli.uses_vcc, 1
	.set _ZN12_GLOBAL__N_135rocblas_gemm_batched_general_kernelIiLi16ELi16ELi32ELi32ELi8ELi32ELi8ELi8ELi32ELc84ELc84EKPKaKPKiKPiEEvlllT_PT11_llSB_llS9_PT12_llPT13_lli.uses_flat_scratch, 0
	.set _ZN12_GLOBAL__N_135rocblas_gemm_batched_general_kernelIiLi16ELi16ELi32ELi32ELi8ELi32ELi8ELi8ELi32ELc84ELc84EKPKaKPKiKPiEEvlllT_PT11_llSB_llS9_PT12_llPT13_lli.has_dyn_sized_stack, 0
	.set _ZN12_GLOBAL__N_135rocblas_gemm_batched_general_kernelIiLi16ELi16ELi32ELi32ELi8ELi32ELi8ELi8ELi32ELc84ELc84EKPKaKPKiKPiEEvlllT_PT11_llSB_llS9_PT12_llPT13_lli.has_recursion, 0
	.set _ZN12_GLOBAL__N_135rocblas_gemm_batched_general_kernelIiLi16ELi16ELi32ELi32ELi8ELi32ELi8ELi8ELi32ELc84ELc84EKPKaKPKiKPiEEvlllT_PT11_llSB_llS9_PT12_llPT13_lli.has_indirect_call, 0
	.section	.AMDGPU.csdata,"",@progbits
; Kernel info:
; codeLenInByte = 1932
; TotalNumSgprs: 46
; NumVgprs: 52
; ScratchSize: 0
; MemoryBound: 0
; FloatMode: 240
; IeeeMode: 1
; LDSByteSize: 2048 bytes/workgroup (compile time only)
; SGPRBlocks: 0
; VGPRBlocks: 3
; NumSGPRsForWavesPerEU: 46
; NumVGPRsForWavesPerEU: 52
; NamedBarCnt: 0
; Occupancy: 16
; WaveLimiterHint : 1
; COMPUTE_PGM_RSRC2:SCRATCH_EN: 0
; COMPUTE_PGM_RSRC2:USER_SGPR: 2
; COMPUTE_PGM_RSRC2:TRAP_HANDLER: 0
; COMPUTE_PGM_RSRC2:TGID_X_EN: 1
; COMPUTE_PGM_RSRC2:TGID_Y_EN: 1
; COMPUTE_PGM_RSRC2:TGID_Z_EN: 1
; COMPUTE_PGM_RSRC2:TIDIG_COMP_CNT: 1
	.section	.text._ZN12_GLOBAL__N_135rocblas_gemm_batched_general_kernelIiLi16ELi16ELi32ELi32ELi8ELi32ELi8ELi8ELi32ELc67ELc67EKPKaKPKiKPiEEvlllT_PT11_llSB_llS9_PT12_llPT13_lli,"axG",@progbits,_ZN12_GLOBAL__N_135rocblas_gemm_batched_general_kernelIiLi16ELi16ELi32ELi32ELi8ELi32ELi8ELi8ELi32ELc67ELc67EKPKaKPKiKPiEEvlllT_PT11_llSB_llS9_PT12_llPT13_lli,comdat
	.globl	_ZN12_GLOBAL__N_135rocblas_gemm_batched_general_kernelIiLi16ELi16ELi32ELi32ELi8ELi32ELi8ELi8ELi32ELc67ELc67EKPKaKPKiKPiEEvlllT_PT11_llSB_llS9_PT12_llPT13_lli ; -- Begin function _ZN12_GLOBAL__N_135rocblas_gemm_batched_general_kernelIiLi16ELi16ELi32ELi32ELi8ELi32ELi8ELi8ELi32ELc67ELc67EKPKaKPKiKPiEEvlllT_PT11_llSB_llS9_PT12_llPT13_lli
	.p2align	8
	.type	_ZN12_GLOBAL__N_135rocblas_gemm_batched_general_kernelIiLi16ELi16ELi32ELi32ELi8ELi32ELi8ELi8ELi32ELc67ELc67EKPKaKPKiKPiEEvlllT_PT11_llSB_llS9_PT12_llPT13_lli,@function
_ZN12_GLOBAL__N_135rocblas_gemm_batched_general_kernelIiLi16ELi16ELi32ELi32ELi8ELi32ELi8ELi8ELi32ELc67ELc67EKPKaKPKiKPiEEvlllT_PT11_llSB_llS9_PT12_llPT13_lli: ; @_ZN12_GLOBAL__N_135rocblas_gemm_batched_general_kernelIiLi16ELi16ELi32ELi32ELi8ELi32ELi8ELi8ELi32ELc67ELc67EKPKaKPKiKPiEEvlllT_PT11_llSB_llS9_PT12_llPT13_lli
; %bb.0:
	s_load_b32 s33, s[0:1], 0x88
	s_bfe_u32 s2, ttmp6, 0x40014
	s_lshr_b32 s3, ttmp7, 16
	s_add_co_i32 s2, s2, 1
	s_bfe_u32 s5, ttmp6, 0x40008
	s_mul_i32 s4, s3, s2
	s_getreg_b32 s2, hwreg(HW_REG_IB_STS2, 6, 4)
	s_add_co_i32 s5, s5, s4
	s_cmp_eq_u32 s2, 0
	s_mov_b32 s35, 0
	s_cselect_b32 s34, s3, s5
	s_wait_kmcnt 0x0
	s_cmp_ge_i32 s34, s33
	s_cbranch_scc1 .LBB217_34
; %bb.1:
	s_clause 0x2
	s_load_b128 s[4:7], s[0:1], 0x0
	s_load_b96 s[36:38], s[0:1], 0x10
	s_load_b256 s[8:15], s[0:1], 0x20
	v_bfe_u32 v12, v0, 10, 10
	v_and_b32_e32 v14, 0x3ff, v0
	s_clause 0x3
	s_load_b128 s[24:27], s[0:1], 0x40
	s_load_b32 s39, s[0:1], 0x50
	s_load_b128 s[28:31], s[0:1], 0x78
	s_load_b256 s[16:23], s[0:1], 0x58
	s_wait_xcnt 0x0
	s_bfe_u32 s0, ttmp6, 0x4000c
	s_bfe_u32 s3, ttmp6, 0x40010
	s_add_co_i32 s0, s0, 1
	s_and_b32 s40, ttmp7, 0xffff
	s_add_co_i32 s3, s3, 1
	v_lshl_add_u32 v1, v12, 4, v14
	v_mov_b32_e32 v13, 0
	s_and_b32 s1, ttmp6, 15
	s_mul_i32 s0, ttmp9, s0
	s_mul_i32 s3, s40, s3
	s_bfe_u32 s41, ttmp6, 0x40004
	s_add_co_i32 s1, s1, s0
	s_add_co_i32 s41, s41, s3
	s_cmp_eq_u32 s2, 0
	v_dual_mov_b32 v15, v13 :: v_dual_bitop2_b32 v24, 31, v1 bitop3:0x40
	v_dual_mov_b32 v3, v13 :: v_dual_lshrrev_b32 v2, 5, v1
	v_and_b32_e32 v0, 7, v0
	s_cselect_b32 s0, ttmp9, s1
	s_cselect_b32 s2, s40, s41
	s_ashr_i32 s1, s0, 31
	v_dual_mov_b32 v11, v13 :: v_dual_lshrrev_b32 v10, 3, v1
	s_lshl_b32 s40, s2, 5
	s_mov_b32 s41, s35
	s_lshl_b64 s[42:43], s[0:1], 5
	s_wait_kmcnt 0x0
	v_add_nc_u64_e32 v[6:7], s[12:13], v[2:3]
	v_add_nc_u64_e32 v[16:17], s[40:41], v[12:13]
	v_dual_mov_b32 v19, s43 :: v_dual_bitop2_b32 v18, s42, v24 bitop3:0x54
	v_add_nc_u64_e32 v[20:21], s[26:27], v[10:11]
	v_dual_mov_b32 v1, v13 :: v_dual_lshlrev_b32 v13, 2, v0
	s_delay_alu instid0(VALU_DEP_3)
	v_mad_nc_u64_u32 v[6:7], s10, v18, v[6:7]
	v_mul_u64_e32 v[4:5], s[18:19], v[16:17]
	v_mul_u64_e32 v[8:9], s[28:29], v[16:17]
	v_add_nc_u64_e32 v[22:23], s[40:41], v[10:11]
	v_mad_nc_u64_u32 v[20:21], s24, v0, v[20:21]
	v_lshl_or_b32 v13, v10, 5, v13
	v_add_nc_u64_e32 v[10:11], s[42:43], v[14:15]
	v_dual_lshlrev_b32 v24, 2, v24 :: v_dual_lshlrev_b32 v28, 2, v14
	v_cmp_gt_i64_e64 s0, s[4:5], v[18:19]
	v_cmp_gt_i64_e64 s1, s[6:7], v[22:23]
	v_mad_u32 v7, s11, v18, v7
	v_add_nc_u64_e32 v[18:19], 16, v[16:17]
	v_add_nc_u64_e32 v[14:15], 16, v[10:11]
	v_add_nc_u32_e32 v27, 0x400, v13
	v_mad_u32 v21, s25, v0, v21
	v_lshl_add_u32 v29, v12, 5, 0x400
	v_cmp_gt_i64_e64 s2, s[6:7], v[16:17]
	v_cmp_gt_i64_e64 s3, s[4:5], v[10:11]
	;; [unrolled: 1-line block ×5, first 2 shown]
	v_mad_u32 v7, s10, s43, v7
	v_lshl_or_b32 v26, v2, 7, v24
	s_cmp_lg_u32 s39, 0
	v_add_nc_u64_e32 v[12:13], s[40:41], v[20:21]
	s_cselect_b32 s26, -1, 0
	s_lshl_b64 s[6:7], s[18:19], 4
	s_lshl_b64 s[10:11], s[28:29], 4
	;; [unrolled: 1-line block ×5, first 2 shown]
	s_branch .LBB217_4
.LBB217_2:                              ;   in Loop: Header=BB217_4 Depth=1
	s_wait_xcnt 0x0
	s_or_b32 exec_lo, exec_lo, s24
.LBB217_3:                              ;   in Loop: Header=BB217_4 Depth=1
	s_add_co_i32 s34, s34, 0x10000
	s_delay_alu instid0(SALU_CYCLE_1)
	s_cmp_lt_i32 s34, s33
	s_cbranch_scc0 .LBB217_34
.LBB217_4:                              ; =>This Loop Header: Depth=1
                                        ;     Child Loop BB217_7 Depth 2
	s_wait_xcnt 0x0
	v_dual_mov_b32 v18, s34 :: v_dual_mov_b32 v33, 0
	v_dual_mov_b32 v32, 0 :: v_dual_mov_b32 v30, 0
	v_mov_b32_e32 v31, 0
	s_clause 0x1
	global_load_b64 v[14:15], v18, s[16:17] scale_offset
	global_load_b64 v[16:17], v18, s[22:23] scale_offset
	s_and_not1_b32 vcc_lo, exec_lo, s27
	s_cbranch_vccnz .LBB217_11
; %bb.5:                                ;   in Loop: Header=BB217_4 Depth=1
	v_dual_mov_b32 v32, 0 :: v_dual_mov_b32 v33, 0
	s_lshl_b64 s[24:25], s[34:35], 3
	v_dual_mov_b32 v31, 0 :: v_dual_mov_b32 v30, 0
	s_add_nc_u64 s[28:29], s[14:15], s[24:25]
	s_add_nc_u64 s[24:25], s[8:9], s[24:25]
	s_clause 0x1
	global_load_b64 v[18:19], v32, s[28:29]
	global_load_b64 v[20:21], v32, s[24:25]
	s_wait_xcnt 0x0
	s_mov_b64 s[24:25], 0
	s_wait_loadcnt 0x1
	v_add_nc_u64_e32 v[18:19], v[18:19], v[12:13]
	s_wait_loadcnt 0x0
	v_add_nc_u64_e32 v[20:21], v[20:21], v[6:7]
	s_branch .LBB217_7
.LBB217_6:                              ;   in Loop: Header=BB217_7 Depth=2
	s_wait_xcnt 0x0
	s_or_b32 exec_lo, exec_lo, s28
	s_wait_loadcnt_dscnt 0x0
	ds_store_b32 v27, v23
	s_wait_dscnt 0x0
	s_barrier_signal -1
	s_barrier_wait -1
	ds_load_b128 v[22:25], v29
	ds_load_2addr_b32 v[46:47], v28 offset1:16
	ds_load_b128 v[34:37], v29 offset:512
	ds_load_2addr_b32 v[48:49], v28 offset0:32 offset1:48
	ds_load_b128 v[38:41], v29 offset:16
	ds_load_2addr_b32 v[50:51], v28 offset0:64 offset1:80
	ds_load_b128 v[42:45], v29 offset:528
	s_add_nc_u64 s[24:25], s[24:25], 8
	v_add_nc_u64_e32 v[18:19], s[12:13], v[18:19]
	v_cmp_lt_i64_e64 s28, s[24:25], s[36:37]
	s_and_b32 vcc_lo, exec_lo, s28
	s_wait_dscnt 0x5
	v_mad_u32 v32, v22, v46, v32
	v_mad_u32 v22, v22, v47, v33
	s_wait_dscnt 0x4
	v_mad_u32 v33, v34, v46, v31
	v_mad_u32 v34, v34, v47, v30
	ds_load_2addr_b32 v[30:31], v28 offset0:96 offset1:112
	s_wait_dscnt 0x4
	v_mad_u32 v32, v23, v48, v32
	v_mad_u32 v46, v23, v49, v22
	v_mad_u32 v33, v35, v48, v33
	v_mad_u32 v34, v35, v49, v34
	ds_load_2addr_b32 v[22:23], v28 offset0:128 offset1:144
	s_wait_dscnt 0x3
	v_mad_u32 v35, v24, v50, v32
	v_mad_u32 v24, v24, v51, v46
	;; [unrolled: 6-line block ×4, first 2 shown]
	v_mad_u32 v30, v42, v22, v30
	v_mad_u32 v31, v42, v23, v31
	ds_load_2addr_b32 v[22:23], v28 offset0:224 offset1:240
	s_wait_dscnt 0x0
	s_barrier_signal -1
	s_barrier_wait -1
	v_mad_u32 v34, v39, v32, v34
	v_mad_u32 v35, v39, v33, v35
	;; [unrolled: 1-line block ×4, first 2 shown]
	s_delay_alu instid0(VALU_DEP_4) | instskip(NEXT) | instid1(VALU_DEP_4)
	v_mad_u32 v32, v40, v24, v34
	v_mad_u32 v33, v40, v25, v35
	s_delay_alu instid0(VALU_DEP_4) | instskip(NEXT) | instid1(VALU_DEP_4)
	v_mad_u32 v24, v44, v24, v30
	v_mad_u32 v25, v44, v25, v31
	;; [unrolled: 3-line block ×4, first 2 shown]
	s_cbranch_vccz .LBB217_11
.LBB217_7:                              ;   Parent Loop BB217_4 Depth=1
                                        ; =>  This Inner Loop Header: Depth=2
	v_add_nc_u64_e32 v[22:23], s[24:25], v[2:3]
	s_delay_alu instid0(VALU_DEP_1) | instskip(SKIP_2) | instid1(SALU_CYCLE_1)
	v_cmp_gt_i64_e32 vcc_lo, s[36:37], v[22:23]
	v_mov_b32_e32 v22, 0
	s_and_b32 s29, s0, vcc_lo
	s_and_saveexec_b32 s28, s29
	s_cbranch_execz .LBB217_9
; %bb.8:                                ;   in Loop: Header=BB217_7 Depth=2
	v_add_nc_u64_e32 v[22:23], s[24:25], v[20:21]
	flat_load_i8 v22, v[22:23]
.LBB217_9:                              ;   in Loop: Header=BB217_7 Depth=2
	s_wait_xcnt 0x0
	s_or_b32 exec_lo, exec_lo, s28
	v_add_nc_u64_e32 v[24:25], s[24:25], v[0:1]
	v_mov_b32_e32 v23, 0
	s_wait_loadcnt_dscnt 0x0
	ds_store_b32 v26, v22
	v_cmp_gt_i64_e32 vcc_lo, s[36:37], v[24:25]
	s_and_b32 s29, vcc_lo, s1
	s_delay_alu instid0(SALU_CYCLE_1)
	s_and_saveexec_b32 s28, s29
	s_cbranch_execz .LBB217_6
; %bb.10:                               ;   in Loop: Header=BB217_7 Depth=2
	flat_load_i8 v23, v[18:19]
	s_branch .LBB217_6
.LBB217_11:                             ;   in Loop: Header=BB217_4 Depth=1
	s_wait_loadcnt 0x0
	v_add_nc_u64_e32 v[16:17], s[18:19], v[16:17]
	s_and_not1_b32 vcc_lo, exec_lo, s26
	s_cbranch_vccnz .LBB217_16
; %bb.12:                               ;   in Loop: Header=BB217_4 Depth=1
	s_wait_xcnt 0x0
	s_and_saveexec_b32 s24, s2
	s_cbranch_execz .LBB217_23
; %bb.13:                               ;   in Loop: Header=BB217_4 Depth=1
	v_add_nc_u64_e32 v[18:19], s[20:21], v[14:15]
	v_lshlrev_b64_e32 v[14:15], 2, v[10:11]
	v_lshl_add_u64 v[20:21], v[8:9], 2, v[16:17]
	s_delay_alu instid0(VALU_DEP_3) | instskip(NEXT) | instid1(VALU_DEP_2)
	v_lshl_add_u64 v[18:19], v[4:5], 2, v[18:19]
	v_add_nc_u64_e32 v[22:23], v[20:21], v[14:15]
	s_delay_alu instid0(VALU_DEP_2)
	v_add_nc_u64_e32 v[24:25], v[18:19], v[14:15]
	s_and_saveexec_b32 s25, s3
	s_cbranch_execnz .LBB217_17
; %bb.14:                               ;   in Loop: Header=BB217_4 Depth=1
	s_or_b32 exec_lo, exec_lo, s25
	s_and_saveexec_b32 s25, s4
	s_cbranch_execnz .LBB217_18
.LBB217_15:                             ;   in Loop: Header=BB217_4 Depth=1
	s_or_b32 exec_lo, exec_lo, s25
	s_delay_alu instid0(SALU_CYCLE_1)
	s_and_b32 exec_lo, exec_lo, s5
	s_cbranch_execnz .LBB217_19
	s_branch .LBB217_23
.LBB217_16:                             ;   in Loop: Header=BB217_4 Depth=1
	s_branch .LBB217_24
.LBB217_17:                             ;   in Loop: Header=BB217_4 Depth=1
	flat_load_b32 v34, v[24:25]
	v_mul_lo_u32 v35, v32, s38
	s_wait_loadcnt_dscnt 0x0
	s_delay_alu instid0(VALU_DEP_1)
	v_mad_u32 v34, v34, s39, v35
	flat_store_b32 v[22:23], v34
	s_wait_xcnt 0x0
	s_or_b32 exec_lo, exec_lo, s25
	s_and_saveexec_b32 s25, s4
	s_cbranch_execz .LBB217_15
.LBB217_18:                             ;   in Loop: Header=BB217_4 Depth=1
	flat_load_b32 v24, v[24:25] offset:64
	s_wait_xcnt 0x0
	v_mul_lo_u32 v25, v33, s38
	s_wait_loadcnt_dscnt 0x0
	s_delay_alu instid0(VALU_DEP_1) | instskip(SKIP_3) | instid1(SALU_CYCLE_1)
	v_mad_u32 v24, v24, s39, v25
	flat_store_b32 v[22:23], v24 offset:64
	s_wait_xcnt 0x0
	s_or_b32 exec_lo, exec_lo, s25
	s_and_b32 exec_lo, exec_lo, s5
	s_cbranch_execz .LBB217_23
.LBB217_19:                             ;   in Loop: Header=BB217_4 Depth=1
	v_lshl_add_u64 v[18:19], s[6:7], 2, v[18:19]
	v_lshl_add_u64 v[20:21], s[10:11], 2, v[20:21]
	s_delay_alu instid0(VALU_DEP_2) | instskip(NEXT) | instid1(VALU_DEP_2)
	v_add_nc_u64_e32 v[18:19], v[18:19], v[14:15]
	v_add_nc_u64_e32 v[14:15], v[20:21], v[14:15]
	s_and_saveexec_b32 s25, s3
	s_cbranch_execz .LBB217_21
; %bb.20:                               ;   in Loop: Header=BB217_4 Depth=1
	flat_load_b32 v20, v[18:19]
	v_mul_lo_u32 v21, v31, s38
	s_wait_loadcnt_dscnt 0x0
	s_delay_alu instid0(VALU_DEP_1)
	v_mad_u32 v20, v20, s39, v21
	flat_store_b32 v[14:15], v20
.LBB217_21:                             ;   in Loop: Header=BB217_4 Depth=1
	s_wait_xcnt 0x0
	s_or_b32 exec_lo, exec_lo, s25
	s_delay_alu instid0(SALU_CYCLE_1)
	s_and_b32 exec_lo, exec_lo, s4
	s_cbranch_execz .LBB217_23
; %bb.22:                               ;   in Loop: Header=BB217_4 Depth=1
	flat_load_b32 v18, v[18:19] offset:64
	s_wait_xcnt 0x0
	v_mul_lo_u32 v19, v30, s38
	s_wait_loadcnt_dscnt 0x0
	s_delay_alu instid0(VALU_DEP_1)
	v_mad_u32 v18, v18, s39, v19
	flat_store_b32 v[14:15], v18 offset:64
.LBB217_23:                             ;   in Loop: Header=BB217_4 Depth=1
	s_wait_xcnt 0x0
	s_or_b32 exec_lo, exec_lo, s24
	s_cbranch_execnz .LBB217_3
.LBB217_24:                             ;   in Loop: Header=BB217_4 Depth=1
	s_wait_xcnt 0x0
	s_and_saveexec_b32 s24, s2
	s_cbranch_execz .LBB217_2
; %bb.25:                               ;   in Loop: Header=BB217_4 Depth=1
	v_lshl_add_u64 v[14:15], v[8:9], 2, v[16:17]
	s_delay_alu instid0(VALU_DEP_1)
	v_lshl_add_u64 v[16:17], v[10:11], 2, v[14:15]
	s_and_saveexec_b32 s25, s3
	s_cbranch_execnz .LBB217_28
; %bb.26:                               ;   in Loop: Header=BB217_4 Depth=1
	s_or_b32 exec_lo, exec_lo, s25
	s_and_saveexec_b32 s25, s4
	s_cbranch_execnz .LBB217_29
.LBB217_27:                             ;   in Loop: Header=BB217_4 Depth=1
	s_or_b32 exec_lo, exec_lo, s25
	s_delay_alu instid0(SALU_CYCLE_1)
	s_and_b32 exec_lo, exec_lo, s5
	s_cbranch_execz .LBB217_2
	s_branch .LBB217_30
.LBB217_28:                             ;   in Loop: Header=BB217_4 Depth=1
	v_mul_lo_u32 v18, v32, s38
	flat_store_b32 v[16:17], v18
	s_wait_xcnt 0x0
	s_or_b32 exec_lo, exec_lo, s25
	s_and_saveexec_b32 s25, s4
	s_cbranch_execz .LBB217_27
.LBB217_29:                             ;   in Loop: Header=BB217_4 Depth=1
	v_mul_lo_u32 v18, v33, s38
	flat_store_b32 v[16:17], v18 offset:64
	s_wait_xcnt 0x0
	s_or_b32 exec_lo, exec_lo, s25
	s_delay_alu instid0(SALU_CYCLE_1)
	s_and_b32 exec_lo, exec_lo, s5
	s_cbranch_execz .LBB217_2
.LBB217_30:                             ;   in Loop: Header=BB217_4 Depth=1
	v_lshl_add_u64 v[14:15], s[10:11], 2, v[14:15]
	s_delay_alu instid0(VALU_DEP_1)
	v_lshl_add_u64 v[14:15], v[10:11], 2, v[14:15]
	s_and_saveexec_b32 s25, s3
	s_cbranch_execz .LBB217_32
; %bb.31:                               ;   in Loop: Header=BB217_4 Depth=1
	v_mul_lo_u32 v16, v31, s38
	flat_store_b32 v[14:15], v16
.LBB217_32:                             ;   in Loop: Header=BB217_4 Depth=1
	s_wait_xcnt 0x0
	s_or_b32 exec_lo, exec_lo, s25
	s_delay_alu instid0(SALU_CYCLE_1)
	s_and_b32 exec_lo, exec_lo, s4
	s_cbranch_execz .LBB217_2
; %bb.33:                               ;   in Loop: Header=BB217_4 Depth=1
	v_mul_lo_u32 v16, v30, s38
	flat_store_b32 v[14:15], v16 offset:64
	s_branch .LBB217_2
.LBB217_34:
	s_endpgm
	.section	.rodata,"a",@progbits
	.p2align	6, 0x0
	.amdhsa_kernel _ZN12_GLOBAL__N_135rocblas_gemm_batched_general_kernelIiLi16ELi16ELi32ELi32ELi8ELi32ELi8ELi8ELi32ELc67ELc67EKPKaKPKiKPiEEvlllT_PT11_llSB_llS9_PT12_llPT13_lli
		.amdhsa_group_segment_fixed_size 2048
		.amdhsa_private_segment_fixed_size 0
		.amdhsa_kernarg_size 140
		.amdhsa_user_sgpr_count 2
		.amdhsa_user_sgpr_dispatch_ptr 0
		.amdhsa_user_sgpr_queue_ptr 0
		.amdhsa_user_sgpr_kernarg_segment_ptr 1
		.amdhsa_user_sgpr_dispatch_id 0
		.amdhsa_user_sgpr_kernarg_preload_length 0
		.amdhsa_user_sgpr_kernarg_preload_offset 0
		.amdhsa_user_sgpr_private_segment_size 0
		.amdhsa_wavefront_size32 1
		.amdhsa_uses_dynamic_stack 0
		.amdhsa_enable_private_segment 0
		.amdhsa_system_sgpr_workgroup_id_x 1
		.amdhsa_system_sgpr_workgroup_id_y 1
		.amdhsa_system_sgpr_workgroup_id_z 1
		.amdhsa_system_sgpr_workgroup_info 0
		.amdhsa_system_vgpr_workitem_id 1
		.amdhsa_next_free_vgpr 52
		.amdhsa_next_free_sgpr 44
		.amdhsa_named_barrier_count 0
		.amdhsa_reserve_vcc 1
		.amdhsa_float_round_mode_32 0
		.amdhsa_float_round_mode_16_64 0
		.amdhsa_float_denorm_mode_32 3
		.amdhsa_float_denorm_mode_16_64 3
		.amdhsa_fp16_overflow 0
		.amdhsa_memory_ordered 1
		.amdhsa_forward_progress 1
		.amdhsa_inst_pref_size 16
		.amdhsa_round_robin_scheduling 0
		.amdhsa_exception_fp_ieee_invalid_op 0
		.amdhsa_exception_fp_denorm_src 0
		.amdhsa_exception_fp_ieee_div_zero 0
		.amdhsa_exception_fp_ieee_overflow 0
		.amdhsa_exception_fp_ieee_underflow 0
		.amdhsa_exception_fp_ieee_inexact 0
		.amdhsa_exception_int_div_zero 0
	.end_amdhsa_kernel
	.section	.text._ZN12_GLOBAL__N_135rocblas_gemm_batched_general_kernelIiLi16ELi16ELi32ELi32ELi8ELi32ELi8ELi8ELi32ELc67ELc67EKPKaKPKiKPiEEvlllT_PT11_llSB_llS9_PT12_llPT13_lli,"axG",@progbits,_ZN12_GLOBAL__N_135rocblas_gemm_batched_general_kernelIiLi16ELi16ELi32ELi32ELi8ELi32ELi8ELi8ELi32ELc67ELc67EKPKaKPKiKPiEEvlllT_PT11_llSB_llS9_PT12_llPT13_lli,comdat
.Lfunc_end217:
	.size	_ZN12_GLOBAL__N_135rocblas_gemm_batched_general_kernelIiLi16ELi16ELi32ELi32ELi8ELi32ELi8ELi8ELi32ELc67ELc67EKPKaKPKiKPiEEvlllT_PT11_llSB_llS9_PT12_llPT13_lli, .Lfunc_end217-_ZN12_GLOBAL__N_135rocblas_gemm_batched_general_kernelIiLi16ELi16ELi32ELi32ELi8ELi32ELi8ELi8ELi32ELc67ELc67EKPKaKPKiKPiEEvlllT_PT11_llSB_llS9_PT12_llPT13_lli
                                        ; -- End function
	.set _ZN12_GLOBAL__N_135rocblas_gemm_batched_general_kernelIiLi16ELi16ELi32ELi32ELi8ELi32ELi8ELi8ELi32ELc67ELc67EKPKaKPKiKPiEEvlllT_PT11_llSB_llS9_PT12_llPT13_lli.num_vgpr, 52
	.set _ZN12_GLOBAL__N_135rocblas_gemm_batched_general_kernelIiLi16ELi16ELi32ELi32ELi8ELi32ELi8ELi8ELi32ELc67ELc67EKPKaKPKiKPiEEvlllT_PT11_llSB_llS9_PT12_llPT13_lli.num_agpr, 0
	.set _ZN12_GLOBAL__N_135rocblas_gemm_batched_general_kernelIiLi16ELi16ELi32ELi32ELi8ELi32ELi8ELi8ELi32ELc67ELc67EKPKaKPKiKPiEEvlllT_PT11_llSB_llS9_PT12_llPT13_lli.numbered_sgpr, 44
	.set _ZN12_GLOBAL__N_135rocblas_gemm_batched_general_kernelIiLi16ELi16ELi32ELi32ELi8ELi32ELi8ELi8ELi32ELc67ELc67EKPKaKPKiKPiEEvlllT_PT11_llSB_llS9_PT12_llPT13_lli.num_named_barrier, 0
	.set _ZN12_GLOBAL__N_135rocblas_gemm_batched_general_kernelIiLi16ELi16ELi32ELi32ELi8ELi32ELi8ELi8ELi32ELc67ELc67EKPKaKPKiKPiEEvlllT_PT11_llSB_llS9_PT12_llPT13_lli.private_seg_size, 0
	.set _ZN12_GLOBAL__N_135rocblas_gemm_batched_general_kernelIiLi16ELi16ELi32ELi32ELi8ELi32ELi8ELi8ELi32ELc67ELc67EKPKaKPKiKPiEEvlllT_PT11_llSB_llS9_PT12_llPT13_lli.uses_vcc, 1
	.set _ZN12_GLOBAL__N_135rocblas_gemm_batched_general_kernelIiLi16ELi16ELi32ELi32ELi8ELi32ELi8ELi8ELi32ELc67ELc67EKPKaKPKiKPiEEvlllT_PT11_llSB_llS9_PT12_llPT13_lli.uses_flat_scratch, 0
	.set _ZN12_GLOBAL__N_135rocblas_gemm_batched_general_kernelIiLi16ELi16ELi32ELi32ELi8ELi32ELi8ELi8ELi32ELc67ELc67EKPKaKPKiKPiEEvlllT_PT11_llSB_llS9_PT12_llPT13_lli.has_dyn_sized_stack, 0
	.set _ZN12_GLOBAL__N_135rocblas_gemm_batched_general_kernelIiLi16ELi16ELi32ELi32ELi8ELi32ELi8ELi8ELi32ELc67ELc67EKPKaKPKiKPiEEvlllT_PT11_llSB_llS9_PT12_llPT13_lli.has_recursion, 0
	.set _ZN12_GLOBAL__N_135rocblas_gemm_batched_general_kernelIiLi16ELi16ELi32ELi32ELi8ELi32ELi8ELi8ELi32ELc67ELc67EKPKaKPKiKPiEEvlllT_PT11_llSB_llS9_PT12_llPT13_lli.has_indirect_call, 0
	.section	.AMDGPU.csdata,"",@progbits
; Kernel info:
; codeLenInByte = 1932
; TotalNumSgprs: 46
; NumVgprs: 52
; ScratchSize: 0
; MemoryBound: 0
; FloatMode: 240
; IeeeMode: 1
; LDSByteSize: 2048 bytes/workgroup (compile time only)
; SGPRBlocks: 0
; VGPRBlocks: 3
; NumSGPRsForWavesPerEU: 46
; NumVGPRsForWavesPerEU: 52
; NamedBarCnt: 0
; Occupancy: 16
; WaveLimiterHint : 1
; COMPUTE_PGM_RSRC2:SCRATCH_EN: 0
; COMPUTE_PGM_RSRC2:USER_SGPR: 2
; COMPUTE_PGM_RSRC2:TRAP_HANDLER: 0
; COMPUTE_PGM_RSRC2:TGID_X_EN: 1
; COMPUTE_PGM_RSRC2:TGID_Y_EN: 1
; COMPUTE_PGM_RSRC2:TGID_Z_EN: 1
; COMPUTE_PGM_RSRC2:TIDIG_COMP_CNT: 1
	.section	.text._ZN12_GLOBAL__N_135rocblas_gemm_batched_general_kernelIiLi16ELi16ELi32ELi32ELi8ELi32ELi8ELi8ELi32ELc67ELc78EKPKaKPKiKPiEEvlllT_PT11_llSB_llS9_PT12_llPT13_lli,"axG",@progbits,_ZN12_GLOBAL__N_135rocblas_gemm_batched_general_kernelIiLi16ELi16ELi32ELi32ELi8ELi32ELi8ELi8ELi32ELc67ELc78EKPKaKPKiKPiEEvlllT_PT11_llSB_llS9_PT12_llPT13_lli,comdat
	.globl	_ZN12_GLOBAL__N_135rocblas_gemm_batched_general_kernelIiLi16ELi16ELi32ELi32ELi8ELi32ELi8ELi8ELi32ELc67ELc78EKPKaKPKiKPiEEvlllT_PT11_llSB_llS9_PT12_llPT13_lli ; -- Begin function _ZN12_GLOBAL__N_135rocblas_gemm_batched_general_kernelIiLi16ELi16ELi32ELi32ELi8ELi32ELi8ELi8ELi32ELc67ELc78EKPKaKPKiKPiEEvlllT_PT11_llSB_llS9_PT12_llPT13_lli
	.p2align	8
	.type	_ZN12_GLOBAL__N_135rocblas_gemm_batched_general_kernelIiLi16ELi16ELi32ELi32ELi8ELi32ELi8ELi8ELi32ELc67ELc78EKPKaKPKiKPiEEvlllT_PT11_llSB_llS9_PT12_llPT13_lli,@function
_ZN12_GLOBAL__N_135rocblas_gemm_batched_general_kernelIiLi16ELi16ELi32ELi32ELi8ELi32ELi8ELi8ELi32ELc67ELc78EKPKaKPKiKPiEEvlllT_PT11_llSB_llS9_PT12_llPT13_lli: ; @_ZN12_GLOBAL__N_135rocblas_gemm_batched_general_kernelIiLi16ELi16ELi32ELi32ELi8ELi32ELi8ELi8ELi32ELc67ELc78EKPKaKPKiKPiEEvlllT_PT11_llSB_llS9_PT12_llPT13_lli
; %bb.0:
	s_load_b32 s33, s[0:1], 0x88
	s_bfe_u32 s2, ttmp6, 0x40014
	s_lshr_b32 s3, ttmp7, 16
	s_add_co_i32 s2, s2, 1
	s_bfe_u32 s5, ttmp6, 0x40008
	s_mul_i32 s4, s3, s2
	s_getreg_b32 s2, hwreg(HW_REG_IB_STS2, 6, 4)
	s_add_co_i32 s5, s5, s4
	s_cmp_eq_u32 s2, 0
	s_mov_b32 s35, 0
	s_cselect_b32 s34, s3, s5
	s_wait_kmcnt 0x0
	s_cmp_ge_i32 s34, s33
	s_cbranch_scc1 .LBB218_34
; %bb.1:
	v_bfe_u32 v12, v0, 10, 10
	v_and_b32_e32 v14, 0x3ff, v0
	s_clause 0x2
	s_load_b128 s[4:7], s[0:1], 0x0
	s_load_b256 s[8:15], s[0:1], 0x20
	s_load_b128 s[28:31], s[0:1], 0x40
	s_bfe_u32 s3, ttmp6, 0x4000c
	s_bfe_u32 s37, ttmp6, 0x40010
	s_add_co_i32 s3, s3, 1
	s_and_b32 s38, ttmp7, 0xffff
	s_add_co_i32 s37, s37, 1
	v_lshl_add_u32 v1, v12, 4, v14
	v_mov_b32_e32 v13, 0
	s_and_b32 s36, ttmp6, 15
	s_mul_i32 s3, ttmp9, s3
	s_mul_i32 s37, s38, s37
	s_bfe_u32 s39, ttmp6, 0x40004
	s_add_co_i32 s36, s36, s3
	s_add_co_i32 s39, s39, s37
	s_cmp_eq_u32 s2, 0
	s_clause 0x1
	s_load_b128 s[24:27], s[0:1], 0x78
	s_load_b256 s[16:23], s[0:1], 0x58
	v_dual_mov_b32 v11, v13 :: v_dual_lshrrev_b32 v10, 3, v1
	v_lshrrev_b32_e32 v2, 5, v1
	s_cselect_b32 s3, s38, s39
	s_cselect_b32 s2, ttmp9, s36
	s_lshl_b32 s36, s3, 5
	s_mov_b32 s37, s35
	v_dual_mov_b32 v3, v13 :: v_dual_bitop2_b32 v1, 31, v1 bitop3:0x40
	v_add_nc_u64_e32 v[16:17], s[36:37], v[10:11]
	s_ashr_i32 s3, s2, 31
	v_add_nc_u64_e32 v[18:19], s[36:37], v[12:13]
	s_lshl_b64 s[40:41], s[2:3], 5
	s_wait_kmcnt 0x0
	v_add_nc_u64_e32 v[6:7], s[12:13], v[2:3]
	v_dual_mov_b32 v15, v13 :: v_dual_bitop2_b32 v22, s40, v1 bitop3:0x54
	v_mad_nc_u64_u32 v[20:21], s28, v16, s[30:31]
	v_dual_mov_b32 v23, s41 :: v_dual_bitop2_b32 v0, 7, v0 bitop3:0x40
	v_mul_u64_e32 v[4:5], s[18:19], v[18:19]
	s_delay_alu instid0(VALU_DEP_4)
	v_mad_nc_u64_u32 v[6:7], s10, v22, v[6:7]
	v_mul_u64_e32 v[8:9], s[24:25], v[18:19]
	s_clause 0x1
	s_load_b32 s39, s[0:1], 0x50
	s_load_b96 s[36:38], s[0:1], 0x10
	v_dual_lshlrev_b32 v11, 2, v0 :: v_dual_lshlrev_b32 v24, 2, v1
	v_dual_mov_b32 v1, v13 :: v_dual_lshlrev_b32 v28, 2, v14
	v_mad_u32 v21, s29, v16, v21
	s_delay_alu instid0(VALU_DEP_3)
	v_lshl_or_b32 v13, v10, 5, v11
	v_add_nc_u64_e32 v[10:11], s[40:41], v[14:15]
	v_mad_u32 v7, s11, v22, v7
	s_wait_xcnt 0x0
	v_cmp_gt_i64_e64 s1, s[6:7], v[16:17]
	v_cmp_gt_i64_e64 s0, s[4:5], v[22:23]
	v_add_nc_u32_e32 v27, 0x400, v13
	v_lshl_add_u32 v29, v12, 5, 0x400
	v_cmp_gt_i64_e64 s2, s[6:7], v[18:19]
	v_add_nc_u64_e32 v[14:15], 16, v[10:11]
	v_cmp_gt_i64_e64 s3, s[4:5], v[10:11]
	v_mad_u32 v21, s28, v17, v21
	v_add_nc_u64_e32 v[16:17], 16, v[18:19]
	v_lshl_or_b32 v26, v2, 7, v24
	v_mad_u32 v7, s10, s41, v7
	s_wait_kmcnt 0x0
	v_cmp_gt_i64_e64 s29, s[36:37], 0
	v_cmp_gt_i64_e64 s4, s[4:5], v[14:15]
	s_cmp_lg_u32 s39, 0
	v_cmp_gt_i64_e64 s5, s[6:7], v[16:17]
	s_cselect_b32 s28, -1, 0
	s_lshl_b64 s[6:7], s[18:19], 4
	v_add_nc_u64_e32 v[12:13], v[20:21], v[0:1]
	s_lshl_b64 s[10:11], s[24:25], 4
	s_lshl_b64 s[12:13], s[26:27], 2
	;; [unrolled: 1-line block ×3, first 2 shown]
	s_branch .LBB218_4
.LBB218_2:                              ;   in Loop: Header=BB218_4 Depth=1
	s_wait_xcnt 0x0
	s_or_b32 exec_lo, exec_lo, s20
.LBB218_3:                              ;   in Loop: Header=BB218_4 Depth=1
	s_add_co_i32 s34, s34, 0x10000
	s_delay_alu instid0(SALU_CYCLE_1)
	s_cmp_lt_i32 s34, s33
	s_cbranch_scc0 .LBB218_34
.LBB218_4:                              ; =>This Loop Header: Depth=1
                                        ;     Child Loop BB218_7 Depth 2
	s_wait_xcnt 0x0
	v_dual_mov_b32 v18, s34 :: v_dual_mov_b32 v33, 0
	v_dual_mov_b32 v32, 0 :: v_dual_mov_b32 v30, 0
	v_mov_b32_e32 v31, 0
	s_clause 0x1
	global_load_b64 v[14:15], v18, s[16:17] scale_offset
	global_load_b64 v[16:17], v18, s[22:23] scale_offset
	s_and_not1_b32 vcc_lo, exec_lo, s29
	s_cbranch_vccnz .LBB218_11
; %bb.5:                                ;   in Loop: Header=BB218_4 Depth=1
	v_dual_mov_b32 v32, 0 :: v_dual_mov_b32 v33, 0
	s_lshl_b64 s[20:21], s[34:35], 3
	v_dual_mov_b32 v31, 0 :: v_dual_mov_b32 v30, 0
	s_add_nc_u64 s[24:25], s[14:15], s[20:21]
	s_add_nc_u64 s[20:21], s[8:9], s[20:21]
	s_clause 0x1
	global_load_b64 v[18:19], v32, s[24:25]
	global_load_b64 v[20:21], v32, s[20:21]
	s_wait_xcnt 0x0
	s_mov_b64 s[20:21], 0
	s_wait_loadcnt 0x1
	v_add_nc_u64_e32 v[18:19], v[18:19], v[12:13]
	s_wait_loadcnt 0x0
	v_add_nc_u64_e32 v[20:21], v[20:21], v[6:7]
	s_branch .LBB218_7
.LBB218_6:                              ;   in Loop: Header=BB218_7 Depth=2
	s_wait_xcnt 0x0
	s_or_b32 exec_lo, exec_lo, s24
	s_wait_loadcnt_dscnt 0x0
	ds_store_b32 v27, v23
	s_wait_dscnt 0x0
	s_barrier_signal -1
	s_barrier_wait -1
	ds_load_b128 v[22:25], v29
	ds_load_2addr_b32 v[46:47], v28 offset1:16
	ds_load_b128 v[34:37], v29 offset:512
	ds_load_2addr_b32 v[48:49], v28 offset0:32 offset1:48
	ds_load_b128 v[38:41], v29 offset:16
	ds_load_2addr_b32 v[50:51], v28 offset0:64 offset1:80
	ds_load_b128 v[42:45], v29 offset:528
	s_add_nc_u64 s[20:21], s[20:21], 8
	s_delay_alu instid0(SALU_CYCLE_1)
	v_cmp_lt_i64_e64 s24, s[20:21], s[36:37]
	s_and_b32 vcc_lo, exec_lo, s24
	s_wait_dscnt 0x5
	v_mad_u32 v32, v22, v46, v32
	v_mad_u32 v22, v22, v47, v33
	s_wait_dscnt 0x4
	v_mad_u32 v33, v34, v46, v31
	v_mad_u32 v34, v34, v47, v30
	ds_load_2addr_b32 v[30:31], v28 offset0:96 offset1:112
	s_wait_dscnt 0x4
	v_mad_u32 v32, v23, v48, v32
	v_mad_u32 v46, v23, v49, v22
	v_mad_u32 v33, v35, v48, v33
	v_mad_u32 v34, v35, v49, v34
	ds_load_2addr_b32 v[22:23], v28 offset0:128 offset1:144
	s_wait_dscnt 0x3
	v_mad_u32 v35, v24, v50, v32
	v_mad_u32 v24, v24, v51, v46
	;; [unrolled: 6-line block ×4, first 2 shown]
	v_mad_u32 v30, v42, v22, v30
	v_mad_u32 v31, v42, v23, v31
	ds_load_2addr_b32 v[22:23], v28 offset0:224 offset1:240
	s_wait_dscnt 0x0
	s_barrier_signal -1
	s_barrier_wait -1
	v_mad_u32 v34, v39, v32, v34
	v_mad_u32 v35, v39, v33, v35
	;; [unrolled: 1-line block ×4, first 2 shown]
	s_delay_alu instid0(VALU_DEP_4) | instskip(NEXT) | instid1(VALU_DEP_4)
	v_mad_u32 v32, v40, v24, v34
	v_mad_u32 v33, v40, v25, v35
	s_delay_alu instid0(VALU_DEP_4) | instskip(NEXT) | instid1(VALU_DEP_4)
	v_mad_u32 v24, v44, v24, v30
	v_mad_u32 v25, v44, v25, v31
	s_delay_alu instid0(VALU_DEP_4) | instskip(NEXT) | instid1(VALU_DEP_4)
	v_mad_u32 v32, v41, v22, v32
	v_mad_u32 v33, v41, v23, v33
	s_delay_alu instid0(VALU_DEP_4) | instskip(NEXT) | instid1(VALU_DEP_4)
	v_mad_u32 v31, v45, v22, v24
	v_mad_u32 v30, v45, v23, v25
	s_cbranch_vccz .LBB218_11
.LBB218_7:                              ;   Parent Loop BB218_4 Depth=1
                                        ; =>  This Inner Loop Header: Depth=2
	v_add_nc_u64_e32 v[22:23], s[20:21], v[2:3]
	s_delay_alu instid0(VALU_DEP_1) | instskip(SKIP_2) | instid1(SALU_CYCLE_1)
	v_cmp_gt_i64_e32 vcc_lo, s[36:37], v[22:23]
	v_mov_b32_e32 v22, 0
	s_and_b32 s25, s0, vcc_lo
	s_and_saveexec_b32 s24, s25
	s_cbranch_execz .LBB218_9
; %bb.8:                                ;   in Loop: Header=BB218_7 Depth=2
	v_add_nc_u64_e32 v[22:23], s[20:21], v[20:21]
	flat_load_i8 v22, v[22:23]
.LBB218_9:                              ;   in Loop: Header=BB218_7 Depth=2
	s_wait_xcnt 0x0
	s_or_b32 exec_lo, exec_lo, s24
	v_add_nc_u64_e32 v[24:25], s[20:21], v[0:1]
	v_mov_b32_e32 v23, 0
	s_wait_loadcnt_dscnt 0x0
	ds_store_b32 v26, v22
	v_cmp_gt_i64_e32 vcc_lo, s[36:37], v[24:25]
	s_and_b32 s25, vcc_lo, s1
	s_delay_alu instid0(SALU_CYCLE_1)
	s_and_saveexec_b32 s24, s25
	s_cbranch_execz .LBB218_6
; %bb.10:                               ;   in Loop: Header=BB218_7 Depth=2
	v_add_nc_u64_e32 v[22:23], s[20:21], v[18:19]
	flat_load_i8 v23, v[22:23]
	s_branch .LBB218_6
.LBB218_11:                             ;   in Loop: Header=BB218_4 Depth=1
	s_wait_loadcnt 0x0
	v_add_nc_u64_e32 v[16:17], s[12:13], v[16:17]
	s_and_not1_b32 vcc_lo, exec_lo, s28
	s_cbranch_vccnz .LBB218_16
; %bb.12:                               ;   in Loop: Header=BB218_4 Depth=1
	s_wait_xcnt 0x0
	s_and_saveexec_b32 s20, s2
	s_cbranch_execz .LBB218_23
; %bb.13:                               ;   in Loop: Header=BB218_4 Depth=1
	v_add_nc_u64_e32 v[18:19], s[18:19], v[14:15]
	v_lshlrev_b64_e32 v[14:15], 2, v[10:11]
	v_lshl_add_u64 v[20:21], v[8:9], 2, v[16:17]
	s_delay_alu instid0(VALU_DEP_3) | instskip(NEXT) | instid1(VALU_DEP_2)
	v_lshl_add_u64 v[18:19], v[4:5], 2, v[18:19]
	v_add_nc_u64_e32 v[22:23], v[20:21], v[14:15]
	s_delay_alu instid0(VALU_DEP_2)
	v_add_nc_u64_e32 v[24:25], v[18:19], v[14:15]
	s_and_saveexec_b32 s21, s3
	s_cbranch_execnz .LBB218_17
; %bb.14:                               ;   in Loop: Header=BB218_4 Depth=1
	s_or_b32 exec_lo, exec_lo, s21
	s_and_saveexec_b32 s21, s4
	s_cbranch_execnz .LBB218_18
.LBB218_15:                             ;   in Loop: Header=BB218_4 Depth=1
	s_or_b32 exec_lo, exec_lo, s21
	s_delay_alu instid0(SALU_CYCLE_1)
	s_and_b32 exec_lo, exec_lo, s5
	s_cbranch_execnz .LBB218_19
	s_branch .LBB218_23
.LBB218_16:                             ;   in Loop: Header=BB218_4 Depth=1
	s_branch .LBB218_24
.LBB218_17:                             ;   in Loop: Header=BB218_4 Depth=1
	flat_load_b32 v34, v[24:25]
	v_mul_lo_u32 v35, v32, s38
	s_wait_loadcnt_dscnt 0x0
	s_delay_alu instid0(VALU_DEP_1)
	v_mad_u32 v34, v34, s39, v35
	flat_store_b32 v[22:23], v34
	s_wait_xcnt 0x0
	s_or_b32 exec_lo, exec_lo, s21
	s_and_saveexec_b32 s21, s4
	s_cbranch_execz .LBB218_15
.LBB218_18:                             ;   in Loop: Header=BB218_4 Depth=1
	flat_load_b32 v24, v[24:25] offset:64
	s_wait_xcnt 0x0
	v_mul_lo_u32 v25, v33, s38
	s_wait_loadcnt_dscnt 0x0
	s_delay_alu instid0(VALU_DEP_1) | instskip(SKIP_3) | instid1(SALU_CYCLE_1)
	v_mad_u32 v24, v24, s39, v25
	flat_store_b32 v[22:23], v24 offset:64
	s_wait_xcnt 0x0
	s_or_b32 exec_lo, exec_lo, s21
	s_and_b32 exec_lo, exec_lo, s5
	s_cbranch_execz .LBB218_23
.LBB218_19:                             ;   in Loop: Header=BB218_4 Depth=1
	v_lshl_add_u64 v[18:19], s[6:7], 2, v[18:19]
	v_lshl_add_u64 v[20:21], s[10:11], 2, v[20:21]
	s_delay_alu instid0(VALU_DEP_2) | instskip(NEXT) | instid1(VALU_DEP_2)
	v_add_nc_u64_e32 v[18:19], v[18:19], v[14:15]
	v_add_nc_u64_e32 v[14:15], v[20:21], v[14:15]
	s_and_saveexec_b32 s21, s3
	s_cbranch_execz .LBB218_21
; %bb.20:                               ;   in Loop: Header=BB218_4 Depth=1
	flat_load_b32 v20, v[18:19]
	v_mul_lo_u32 v21, v31, s38
	s_wait_loadcnt_dscnt 0x0
	s_delay_alu instid0(VALU_DEP_1)
	v_mad_u32 v20, v20, s39, v21
	flat_store_b32 v[14:15], v20
.LBB218_21:                             ;   in Loop: Header=BB218_4 Depth=1
	s_wait_xcnt 0x0
	s_or_b32 exec_lo, exec_lo, s21
	s_delay_alu instid0(SALU_CYCLE_1)
	s_and_b32 exec_lo, exec_lo, s4
	s_cbranch_execz .LBB218_23
; %bb.22:                               ;   in Loop: Header=BB218_4 Depth=1
	flat_load_b32 v18, v[18:19] offset:64
	s_wait_xcnt 0x0
	v_mul_lo_u32 v19, v30, s38
	s_wait_loadcnt_dscnt 0x0
	s_delay_alu instid0(VALU_DEP_1)
	v_mad_u32 v18, v18, s39, v19
	flat_store_b32 v[14:15], v18 offset:64
.LBB218_23:                             ;   in Loop: Header=BB218_4 Depth=1
	s_wait_xcnt 0x0
	s_or_b32 exec_lo, exec_lo, s20
	s_cbranch_execnz .LBB218_3
.LBB218_24:                             ;   in Loop: Header=BB218_4 Depth=1
	s_wait_xcnt 0x0
	s_and_saveexec_b32 s20, s2
	s_cbranch_execz .LBB218_2
; %bb.25:                               ;   in Loop: Header=BB218_4 Depth=1
	v_lshl_add_u64 v[14:15], v[8:9], 2, v[16:17]
	s_delay_alu instid0(VALU_DEP_1)
	v_lshl_add_u64 v[16:17], v[10:11], 2, v[14:15]
	s_and_saveexec_b32 s21, s3
	s_cbranch_execnz .LBB218_28
; %bb.26:                               ;   in Loop: Header=BB218_4 Depth=1
	s_or_b32 exec_lo, exec_lo, s21
	s_and_saveexec_b32 s21, s4
	s_cbranch_execnz .LBB218_29
.LBB218_27:                             ;   in Loop: Header=BB218_4 Depth=1
	s_or_b32 exec_lo, exec_lo, s21
	s_delay_alu instid0(SALU_CYCLE_1)
	s_and_b32 exec_lo, exec_lo, s5
	s_cbranch_execz .LBB218_2
	s_branch .LBB218_30
.LBB218_28:                             ;   in Loop: Header=BB218_4 Depth=1
	v_mul_lo_u32 v18, v32, s38
	flat_store_b32 v[16:17], v18
	s_wait_xcnt 0x0
	s_or_b32 exec_lo, exec_lo, s21
	s_and_saveexec_b32 s21, s4
	s_cbranch_execz .LBB218_27
.LBB218_29:                             ;   in Loop: Header=BB218_4 Depth=1
	v_mul_lo_u32 v18, v33, s38
	flat_store_b32 v[16:17], v18 offset:64
	s_wait_xcnt 0x0
	s_or_b32 exec_lo, exec_lo, s21
	s_delay_alu instid0(SALU_CYCLE_1)
	s_and_b32 exec_lo, exec_lo, s5
	s_cbranch_execz .LBB218_2
.LBB218_30:                             ;   in Loop: Header=BB218_4 Depth=1
	v_lshl_add_u64 v[14:15], s[10:11], 2, v[14:15]
	s_delay_alu instid0(VALU_DEP_1)
	v_lshl_add_u64 v[14:15], v[10:11], 2, v[14:15]
	s_and_saveexec_b32 s21, s3
	s_cbranch_execz .LBB218_32
; %bb.31:                               ;   in Loop: Header=BB218_4 Depth=1
	v_mul_lo_u32 v16, v31, s38
	flat_store_b32 v[14:15], v16
.LBB218_32:                             ;   in Loop: Header=BB218_4 Depth=1
	s_wait_xcnt 0x0
	s_or_b32 exec_lo, exec_lo, s21
	s_delay_alu instid0(SALU_CYCLE_1)
	s_and_b32 exec_lo, exec_lo, s4
	s_cbranch_execz .LBB218_2
; %bb.33:                               ;   in Loop: Header=BB218_4 Depth=1
	v_mul_lo_u32 v16, v30, s38
	flat_store_b32 v[14:15], v16 offset:64
	s_branch .LBB218_2
.LBB218_34:
	s_endpgm
	.section	.rodata,"a",@progbits
	.p2align	6, 0x0
	.amdhsa_kernel _ZN12_GLOBAL__N_135rocblas_gemm_batched_general_kernelIiLi16ELi16ELi32ELi32ELi8ELi32ELi8ELi8ELi32ELc67ELc78EKPKaKPKiKPiEEvlllT_PT11_llSB_llS9_PT12_llPT13_lli
		.amdhsa_group_segment_fixed_size 2048
		.amdhsa_private_segment_fixed_size 0
		.amdhsa_kernarg_size 140
		.amdhsa_user_sgpr_count 2
		.amdhsa_user_sgpr_dispatch_ptr 0
		.amdhsa_user_sgpr_queue_ptr 0
		.amdhsa_user_sgpr_kernarg_segment_ptr 1
		.amdhsa_user_sgpr_dispatch_id 0
		.amdhsa_user_sgpr_kernarg_preload_length 0
		.amdhsa_user_sgpr_kernarg_preload_offset 0
		.amdhsa_user_sgpr_private_segment_size 0
		.amdhsa_wavefront_size32 1
		.amdhsa_uses_dynamic_stack 0
		.amdhsa_enable_private_segment 0
		.amdhsa_system_sgpr_workgroup_id_x 1
		.amdhsa_system_sgpr_workgroup_id_y 1
		.amdhsa_system_sgpr_workgroup_id_z 1
		.amdhsa_system_sgpr_workgroup_info 0
		.amdhsa_system_vgpr_workitem_id 1
		.amdhsa_next_free_vgpr 52
		.amdhsa_next_free_sgpr 42
		.amdhsa_named_barrier_count 0
		.amdhsa_reserve_vcc 1
		.amdhsa_float_round_mode_32 0
		.amdhsa_float_round_mode_16_64 0
		.amdhsa_float_denorm_mode_32 3
		.amdhsa_float_denorm_mode_16_64 3
		.amdhsa_fp16_overflow 0
		.amdhsa_memory_ordered 1
		.amdhsa_forward_progress 1
		.amdhsa_inst_pref_size 16
		.amdhsa_round_robin_scheduling 0
		.amdhsa_exception_fp_ieee_invalid_op 0
		.amdhsa_exception_fp_denorm_src 0
		.amdhsa_exception_fp_ieee_div_zero 0
		.amdhsa_exception_fp_ieee_overflow 0
		.amdhsa_exception_fp_ieee_underflow 0
		.amdhsa_exception_fp_ieee_inexact 0
		.amdhsa_exception_int_div_zero 0
	.end_amdhsa_kernel
	.section	.text._ZN12_GLOBAL__N_135rocblas_gemm_batched_general_kernelIiLi16ELi16ELi32ELi32ELi8ELi32ELi8ELi8ELi32ELc67ELc78EKPKaKPKiKPiEEvlllT_PT11_llSB_llS9_PT12_llPT13_lli,"axG",@progbits,_ZN12_GLOBAL__N_135rocblas_gemm_batched_general_kernelIiLi16ELi16ELi32ELi32ELi8ELi32ELi8ELi8ELi32ELc67ELc78EKPKaKPKiKPiEEvlllT_PT11_llSB_llS9_PT12_llPT13_lli,comdat
.Lfunc_end218:
	.size	_ZN12_GLOBAL__N_135rocblas_gemm_batched_general_kernelIiLi16ELi16ELi32ELi32ELi8ELi32ELi8ELi8ELi32ELc67ELc78EKPKaKPKiKPiEEvlllT_PT11_llSB_llS9_PT12_llPT13_lli, .Lfunc_end218-_ZN12_GLOBAL__N_135rocblas_gemm_batched_general_kernelIiLi16ELi16ELi32ELi32ELi8ELi32ELi8ELi8ELi32ELc67ELc78EKPKaKPKiKPiEEvlllT_PT11_llSB_llS9_PT12_llPT13_lli
                                        ; -- End function
	.set _ZN12_GLOBAL__N_135rocblas_gemm_batched_general_kernelIiLi16ELi16ELi32ELi32ELi8ELi32ELi8ELi8ELi32ELc67ELc78EKPKaKPKiKPiEEvlllT_PT11_llSB_llS9_PT12_llPT13_lli.num_vgpr, 52
	.set _ZN12_GLOBAL__N_135rocblas_gemm_batched_general_kernelIiLi16ELi16ELi32ELi32ELi8ELi32ELi8ELi8ELi32ELc67ELc78EKPKaKPKiKPiEEvlllT_PT11_llSB_llS9_PT12_llPT13_lli.num_agpr, 0
	.set _ZN12_GLOBAL__N_135rocblas_gemm_batched_general_kernelIiLi16ELi16ELi32ELi32ELi8ELi32ELi8ELi8ELi32ELc67ELc78EKPKaKPKiKPiEEvlllT_PT11_llSB_llS9_PT12_llPT13_lli.numbered_sgpr, 42
	.set _ZN12_GLOBAL__N_135rocblas_gemm_batched_general_kernelIiLi16ELi16ELi32ELi32ELi8ELi32ELi8ELi8ELi32ELc67ELc78EKPKaKPKiKPiEEvlllT_PT11_llSB_llS9_PT12_llPT13_lli.num_named_barrier, 0
	.set _ZN12_GLOBAL__N_135rocblas_gemm_batched_general_kernelIiLi16ELi16ELi32ELi32ELi8ELi32ELi8ELi8ELi32ELc67ELc78EKPKaKPKiKPiEEvlllT_PT11_llSB_llS9_PT12_llPT13_lli.private_seg_size, 0
	.set _ZN12_GLOBAL__N_135rocblas_gemm_batched_general_kernelIiLi16ELi16ELi32ELi32ELi8ELi32ELi8ELi8ELi32ELc67ELc78EKPKaKPKiKPiEEvlllT_PT11_llSB_llS9_PT12_llPT13_lli.uses_vcc, 1
	.set _ZN12_GLOBAL__N_135rocblas_gemm_batched_general_kernelIiLi16ELi16ELi32ELi32ELi8ELi32ELi8ELi8ELi32ELc67ELc78EKPKaKPKiKPiEEvlllT_PT11_llSB_llS9_PT12_llPT13_lli.uses_flat_scratch, 0
	.set _ZN12_GLOBAL__N_135rocblas_gemm_batched_general_kernelIiLi16ELi16ELi32ELi32ELi8ELi32ELi8ELi8ELi32ELc67ELc78EKPKaKPKiKPiEEvlllT_PT11_llSB_llS9_PT12_llPT13_lli.has_dyn_sized_stack, 0
	.set _ZN12_GLOBAL__N_135rocblas_gemm_batched_general_kernelIiLi16ELi16ELi32ELi32ELi8ELi32ELi8ELi8ELi32ELc67ELc78EKPKaKPKiKPiEEvlllT_PT11_llSB_llS9_PT12_llPT13_lli.has_recursion, 0
	.set _ZN12_GLOBAL__N_135rocblas_gemm_batched_general_kernelIiLi16ELi16ELi32ELi32ELi8ELi32ELi8ELi8ELi32ELc67ELc78EKPKaKPKiKPiEEvlllT_PT11_llSB_llS9_PT12_llPT13_lli.has_indirect_call, 0
	.section	.AMDGPU.csdata,"",@progbits
; Kernel info:
; codeLenInByte = 1948
; TotalNumSgprs: 44
; NumVgprs: 52
; ScratchSize: 0
; MemoryBound: 0
; FloatMode: 240
; IeeeMode: 1
; LDSByteSize: 2048 bytes/workgroup (compile time only)
; SGPRBlocks: 0
; VGPRBlocks: 3
; NumSGPRsForWavesPerEU: 44
; NumVGPRsForWavesPerEU: 52
; NamedBarCnt: 0
; Occupancy: 16
; WaveLimiterHint : 1
; COMPUTE_PGM_RSRC2:SCRATCH_EN: 0
; COMPUTE_PGM_RSRC2:USER_SGPR: 2
; COMPUTE_PGM_RSRC2:TRAP_HANDLER: 0
; COMPUTE_PGM_RSRC2:TGID_X_EN: 1
; COMPUTE_PGM_RSRC2:TGID_Y_EN: 1
; COMPUTE_PGM_RSRC2:TGID_Z_EN: 1
; COMPUTE_PGM_RSRC2:TIDIG_COMP_CNT: 1
	.section	.text._ZN12_GLOBAL__N_135rocblas_gemm_batched_general_kernelIiLi16ELi16ELi32ELi32ELi8ELi32ELi8ELi8ELi32ELc67ELc84EKPKaKPKiKPiEEvlllT_PT11_llSB_llS9_PT12_llPT13_lli,"axG",@progbits,_ZN12_GLOBAL__N_135rocblas_gemm_batched_general_kernelIiLi16ELi16ELi32ELi32ELi8ELi32ELi8ELi8ELi32ELc67ELc84EKPKaKPKiKPiEEvlllT_PT11_llSB_llS9_PT12_llPT13_lli,comdat
	.globl	_ZN12_GLOBAL__N_135rocblas_gemm_batched_general_kernelIiLi16ELi16ELi32ELi32ELi8ELi32ELi8ELi8ELi32ELc67ELc84EKPKaKPKiKPiEEvlllT_PT11_llSB_llS9_PT12_llPT13_lli ; -- Begin function _ZN12_GLOBAL__N_135rocblas_gemm_batched_general_kernelIiLi16ELi16ELi32ELi32ELi8ELi32ELi8ELi8ELi32ELc67ELc84EKPKaKPKiKPiEEvlllT_PT11_llSB_llS9_PT12_llPT13_lli
	.p2align	8
	.type	_ZN12_GLOBAL__N_135rocblas_gemm_batched_general_kernelIiLi16ELi16ELi32ELi32ELi8ELi32ELi8ELi8ELi32ELc67ELc84EKPKaKPKiKPiEEvlllT_PT11_llSB_llS9_PT12_llPT13_lli,@function
_ZN12_GLOBAL__N_135rocblas_gemm_batched_general_kernelIiLi16ELi16ELi32ELi32ELi8ELi32ELi8ELi8ELi32ELc67ELc84EKPKaKPKiKPiEEvlllT_PT11_llSB_llS9_PT12_llPT13_lli: ; @_ZN12_GLOBAL__N_135rocblas_gemm_batched_general_kernelIiLi16ELi16ELi32ELi32ELi8ELi32ELi8ELi8ELi32ELc67ELc84EKPKaKPKiKPiEEvlllT_PT11_llSB_llS9_PT12_llPT13_lli
; %bb.0:
	s_load_b32 s33, s[0:1], 0x88
	s_bfe_u32 s2, ttmp6, 0x40014
	s_lshr_b32 s3, ttmp7, 16
	s_add_co_i32 s2, s2, 1
	s_bfe_u32 s5, ttmp6, 0x40008
	s_mul_i32 s4, s3, s2
	s_getreg_b32 s2, hwreg(HW_REG_IB_STS2, 6, 4)
	s_add_co_i32 s5, s5, s4
	s_cmp_eq_u32 s2, 0
	s_mov_b32 s35, 0
	s_cselect_b32 s34, s3, s5
	s_wait_kmcnt 0x0
	s_cmp_ge_i32 s34, s33
	s_cbranch_scc1 .LBB219_34
; %bb.1:
	s_clause 0x2
	s_load_b128 s[4:7], s[0:1], 0x0
	s_load_b96 s[36:38], s[0:1], 0x10
	s_load_b256 s[8:15], s[0:1], 0x20
	v_bfe_u32 v12, v0, 10, 10
	v_and_b32_e32 v14, 0x3ff, v0
	s_clause 0x3
	s_load_b128 s[24:27], s[0:1], 0x40
	s_load_b32 s39, s[0:1], 0x50
	s_load_b128 s[28:31], s[0:1], 0x78
	s_load_b256 s[16:23], s[0:1], 0x58
	s_wait_xcnt 0x0
	s_bfe_u32 s0, ttmp6, 0x4000c
	s_bfe_u32 s3, ttmp6, 0x40010
	s_add_co_i32 s0, s0, 1
	s_and_b32 s40, ttmp7, 0xffff
	s_add_co_i32 s3, s3, 1
	v_lshl_add_u32 v1, v12, 4, v14
	v_mov_b32_e32 v13, 0
	s_and_b32 s1, ttmp6, 15
	s_mul_i32 s0, ttmp9, s0
	s_mul_i32 s3, s40, s3
	s_bfe_u32 s41, ttmp6, 0x40004
	s_add_co_i32 s1, s1, s0
	s_add_co_i32 s41, s41, s3
	s_cmp_eq_u32 s2, 0
	v_dual_mov_b32 v15, v13 :: v_dual_bitop2_b32 v24, 31, v1 bitop3:0x40
	v_dual_mov_b32 v3, v13 :: v_dual_lshrrev_b32 v2, 5, v1
	v_and_b32_e32 v0, 7, v0
	s_cselect_b32 s0, ttmp9, s1
	s_cselect_b32 s2, s40, s41
	s_ashr_i32 s1, s0, 31
	v_dual_mov_b32 v11, v13 :: v_dual_lshrrev_b32 v10, 3, v1
	s_lshl_b32 s40, s2, 5
	s_mov_b32 s41, s35
	s_lshl_b64 s[42:43], s[0:1], 5
	s_wait_kmcnt 0x0
	v_add_nc_u64_e32 v[6:7], s[12:13], v[2:3]
	v_add_nc_u64_e32 v[16:17], s[40:41], v[12:13]
	v_dual_mov_b32 v19, s43 :: v_dual_bitop2_b32 v18, s42, v24 bitop3:0x54
	v_add_nc_u64_e32 v[20:21], s[26:27], v[10:11]
	v_dual_mov_b32 v1, v13 :: v_dual_lshlrev_b32 v13, 2, v0
	s_delay_alu instid0(VALU_DEP_3)
	v_mad_nc_u64_u32 v[6:7], s10, v18, v[6:7]
	v_mul_u64_e32 v[4:5], s[18:19], v[16:17]
	v_mul_u64_e32 v[8:9], s[28:29], v[16:17]
	v_add_nc_u64_e32 v[22:23], s[40:41], v[10:11]
	v_mad_nc_u64_u32 v[20:21], s24, v0, v[20:21]
	v_lshl_or_b32 v13, v10, 5, v13
	v_add_nc_u64_e32 v[10:11], s[42:43], v[14:15]
	v_dual_lshlrev_b32 v24, 2, v24 :: v_dual_lshlrev_b32 v28, 2, v14
	v_cmp_gt_i64_e64 s0, s[4:5], v[18:19]
	v_cmp_gt_i64_e64 s1, s[6:7], v[22:23]
	v_mad_u32 v7, s11, v18, v7
	v_add_nc_u64_e32 v[18:19], 16, v[16:17]
	v_add_nc_u64_e32 v[14:15], 16, v[10:11]
	v_add_nc_u32_e32 v27, 0x400, v13
	v_mad_u32 v21, s25, v0, v21
	v_lshl_add_u32 v29, v12, 5, 0x400
	v_cmp_gt_i64_e64 s2, s[6:7], v[16:17]
	v_cmp_gt_i64_e64 s3, s[4:5], v[10:11]
	;; [unrolled: 1-line block ×5, first 2 shown]
	v_mad_u32 v7, s10, s43, v7
	v_lshl_or_b32 v26, v2, 7, v24
	s_cmp_lg_u32 s39, 0
	v_add_nc_u64_e32 v[12:13], s[40:41], v[20:21]
	s_cselect_b32 s26, -1, 0
	s_lshl_b64 s[6:7], s[18:19], 4
	s_lshl_b64 s[10:11], s[28:29], 4
	;; [unrolled: 1-line block ×5, first 2 shown]
	s_branch .LBB219_4
.LBB219_2:                              ;   in Loop: Header=BB219_4 Depth=1
	s_wait_xcnt 0x0
	s_or_b32 exec_lo, exec_lo, s24
.LBB219_3:                              ;   in Loop: Header=BB219_4 Depth=1
	s_add_co_i32 s34, s34, 0x10000
	s_delay_alu instid0(SALU_CYCLE_1)
	s_cmp_lt_i32 s34, s33
	s_cbranch_scc0 .LBB219_34
.LBB219_4:                              ; =>This Loop Header: Depth=1
                                        ;     Child Loop BB219_7 Depth 2
	s_wait_xcnt 0x0
	v_dual_mov_b32 v18, s34 :: v_dual_mov_b32 v33, 0
	v_dual_mov_b32 v32, 0 :: v_dual_mov_b32 v30, 0
	v_mov_b32_e32 v31, 0
	s_clause 0x1
	global_load_b64 v[14:15], v18, s[16:17] scale_offset
	global_load_b64 v[16:17], v18, s[22:23] scale_offset
	s_and_not1_b32 vcc_lo, exec_lo, s27
	s_cbranch_vccnz .LBB219_11
; %bb.5:                                ;   in Loop: Header=BB219_4 Depth=1
	v_dual_mov_b32 v32, 0 :: v_dual_mov_b32 v33, 0
	s_lshl_b64 s[24:25], s[34:35], 3
	v_dual_mov_b32 v31, 0 :: v_dual_mov_b32 v30, 0
	s_add_nc_u64 s[28:29], s[14:15], s[24:25]
	s_add_nc_u64 s[24:25], s[8:9], s[24:25]
	s_clause 0x1
	global_load_b64 v[18:19], v32, s[28:29]
	global_load_b64 v[20:21], v32, s[24:25]
	s_wait_xcnt 0x0
	s_mov_b64 s[24:25], 0
	s_wait_loadcnt 0x1
	v_add_nc_u64_e32 v[18:19], v[18:19], v[12:13]
	s_wait_loadcnt 0x0
	v_add_nc_u64_e32 v[20:21], v[20:21], v[6:7]
	s_branch .LBB219_7
.LBB219_6:                              ;   in Loop: Header=BB219_7 Depth=2
	s_wait_xcnt 0x0
	s_or_b32 exec_lo, exec_lo, s28
	s_wait_loadcnt_dscnt 0x0
	ds_store_b32 v27, v23
	s_wait_dscnt 0x0
	s_barrier_signal -1
	s_barrier_wait -1
	ds_load_b128 v[22:25], v29
	ds_load_2addr_b32 v[46:47], v28 offset1:16
	ds_load_b128 v[34:37], v29 offset:512
	ds_load_2addr_b32 v[48:49], v28 offset0:32 offset1:48
	ds_load_b128 v[38:41], v29 offset:16
	ds_load_2addr_b32 v[50:51], v28 offset0:64 offset1:80
	ds_load_b128 v[42:45], v29 offset:528
	s_add_nc_u64 s[24:25], s[24:25], 8
	v_add_nc_u64_e32 v[18:19], s[12:13], v[18:19]
	v_cmp_lt_i64_e64 s28, s[24:25], s[36:37]
	s_and_b32 vcc_lo, exec_lo, s28
	s_wait_dscnt 0x5
	v_mad_u32 v32, v22, v46, v32
	v_mad_u32 v22, v22, v47, v33
	s_wait_dscnt 0x4
	v_mad_u32 v33, v34, v46, v31
	v_mad_u32 v34, v34, v47, v30
	ds_load_2addr_b32 v[30:31], v28 offset0:96 offset1:112
	s_wait_dscnt 0x4
	v_mad_u32 v32, v23, v48, v32
	v_mad_u32 v46, v23, v49, v22
	v_mad_u32 v33, v35, v48, v33
	v_mad_u32 v34, v35, v49, v34
	ds_load_2addr_b32 v[22:23], v28 offset0:128 offset1:144
	s_wait_dscnt 0x3
	v_mad_u32 v35, v24, v50, v32
	v_mad_u32 v24, v24, v51, v46
	;; [unrolled: 6-line block ×4, first 2 shown]
	v_mad_u32 v30, v42, v22, v30
	v_mad_u32 v31, v42, v23, v31
	ds_load_2addr_b32 v[22:23], v28 offset0:224 offset1:240
	s_wait_dscnt 0x0
	s_barrier_signal -1
	s_barrier_wait -1
	v_mad_u32 v34, v39, v32, v34
	v_mad_u32 v35, v39, v33, v35
	;; [unrolled: 1-line block ×4, first 2 shown]
	s_delay_alu instid0(VALU_DEP_4) | instskip(NEXT) | instid1(VALU_DEP_4)
	v_mad_u32 v32, v40, v24, v34
	v_mad_u32 v33, v40, v25, v35
	s_delay_alu instid0(VALU_DEP_4) | instskip(NEXT) | instid1(VALU_DEP_4)
	v_mad_u32 v24, v44, v24, v30
	v_mad_u32 v25, v44, v25, v31
	;; [unrolled: 3-line block ×4, first 2 shown]
	s_cbranch_vccz .LBB219_11
.LBB219_7:                              ;   Parent Loop BB219_4 Depth=1
                                        ; =>  This Inner Loop Header: Depth=2
	v_add_nc_u64_e32 v[22:23], s[24:25], v[2:3]
	s_delay_alu instid0(VALU_DEP_1) | instskip(SKIP_2) | instid1(SALU_CYCLE_1)
	v_cmp_gt_i64_e32 vcc_lo, s[36:37], v[22:23]
	v_mov_b32_e32 v22, 0
	s_and_b32 s29, s0, vcc_lo
	s_and_saveexec_b32 s28, s29
	s_cbranch_execz .LBB219_9
; %bb.8:                                ;   in Loop: Header=BB219_7 Depth=2
	v_add_nc_u64_e32 v[22:23], s[24:25], v[20:21]
	flat_load_i8 v22, v[22:23]
.LBB219_9:                              ;   in Loop: Header=BB219_7 Depth=2
	s_wait_xcnt 0x0
	s_or_b32 exec_lo, exec_lo, s28
	v_add_nc_u64_e32 v[24:25], s[24:25], v[0:1]
	v_mov_b32_e32 v23, 0
	s_wait_loadcnt_dscnt 0x0
	ds_store_b32 v26, v22
	v_cmp_gt_i64_e32 vcc_lo, s[36:37], v[24:25]
	s_and_b32 s29, vcc_lo, s1
	s_delay_alu instid0(SALU_CYCLE_1)
	s_and_saveexec_b32 s28, s29
	s_cbranch_execz .LBB219_6
; %bb.10:                               ;   in Loop: Header=BB219_7 Depth=2
	flat_load_i8 v23, v[18:19]
	s_branch .LBB219_6
.LBB219_11:                             ;   in Loop: Header=BB219_4 Depth=1
	s_wait_loadcnt 0x0
	v_add_nc_u64_e32 v[16:17], s[18:19], v[16:17]
	s_and_not1_b32 vcc_lo, exec_lo, s26
	s_cbranch_vccnz .LBB219_16
; %bb.12:                               ;   in Loop: Header=BB219_4 Depth=1
	s_wait_xcnt 0x0
	s_and_saveexec_b32 s24, s2
	s_cbranch_execz .LBB219_23
; %bb.13:                               ;   in Loop: Header=BB219_4 Depth=1
	v_add_nc_u64_e32 v[18:19], s[20:21], v[14:15]
	v_lshlrev_b64_e32 v[14:15], 2, v[10:11]
	v_lshl_add_u64 v[20:21], v[8:9], 2, v[16:17]
	s_delay_alu instid0(VALU_DEP_3) | instskip(NEXT) | instid1(VALU_DEP_2)
	v_lshl_add_u64 v[18:19], v[4:5], 2, v[18:19]
	v_add_nc_u64_e32 v[22:23], v[20:21], v[14:15]
	s_delay_alu instid0(VALU_DEP_2)
	v_add_nc_u64_e32 v[24:25], v[18:19], v[14:15]
	s_and_saveexec_b32 s25, s3
	s_cbranch_execnz .LBB219_17
; %bb.14:                               ;   in Loop: Header=BB219_4 Depth=1
	s_or_b32 exec_lo, exec_lo, s25
	s_and_saveexec_b32 s25, s4
	s_cbranch_execnz .LBB219_18
.LBB219_15:                             ;   in Loop: Header=BB219_4 Depth=1
	s_or_b32 exec_lo, exec_lo, s25
	s_delay_alu instid0(SALU_CYCLE_1)
	s_and_b32 exec_lo, exec_lo, s5
	s_cbranch_execnz .LBB219_19
	s_branch .LBB219_23
.LBB219_16:                             ;   in Loop: Header=BB219_4 Depth=1
	s_branch .LBB219_24
.LBB219_17:                             ;   in Loop: Header=BB219_4 Depth=1
	flat_load_b32 v34, v[24:25]
	v_mul_lo_u32 v35, v32, s38
	s_wait_loadcnt_dscnt 0x0
	s_delay_alu instid0(VALU_DEP_1)
	v_mad_u32 v34, v34, s39, v35
	flat_store_b32 v[22:23], v34
	s_wait_xcnt 0x0
	s_or_b32 exec_lo, exec_lo, s25
	s_and_saveexec_b32 s25, s4
	s_cbranch_execz .LBB219_15
.LBB219_18:                             ;   in Loop: Header=BB219_4 Depth=1
	flat_load_b32 v24, v[24:25] offset:64
	s_wait_xcnt 0x0
	v_mul_lo_u32 v25, v33, s38
	s_wait_loadcnt_dscnt 0x0
	s_delay_alu instid0(VALU_DEP_1) | instskip(SKIP_3) | instid1(SALU_CYCLE_1)
	v_mad_u32 v24, v24, s39, v25
	flat_store_b32 v[22:23], v24 offset:64
	s_wait_xcnt 0x0
	s_or_b32 exec_lo, exec_lo, s25
	s_and_b32 exec_lo, exec_lo, s5
	s_cbranch_execz .LBB219_23
.LBB219_19:                             ;   in Loop: Header=BB219_4 Depth=1
	v_lshl_add_u64 v[18:19], s[6:7], 2, v[18:19]
	v_lshl_add_u64 v[20:21], s[10:11], 2, v[20:21]
	s_delay_alu instid0(VALU_DEP_2) | instskip(NEXT) | instid1(VALU_DEP_2)
	v_add_nc_u64_e32 v[18:19], v[18:19], v[14:15]
	v_add_nc_u64_e32 v[14:15], v[20:21], v[14:15]
	s_and_saveexec_b32 s25, s3
	s_cbranch_execz .LBB219_21
; %bb.20:                               ;   in Loop: Header=BB219_4 Depth=1
	flat_load_b32 v20, v[18:19]
	v_mul_lo_u32 v21, v31, s38
	s_wait_loadcnt_dscnt 0x0
	s_delay_alu instid0(VALU_DEP_1)
	v_mad_u32 v20, v20, s39, v21
	flat_store_b32 v[14:15], v20
.LBB219_21:                             ;   in Loop: Header=BB219_4 Depth=1
	s_wait_xcnt 0x0
	s_or_b32 exec_lo, exec_lo, s25
	s_delay_alu instid0(SALU_CYCLE_1)
	s_and_b32 exec_lo, exec_lo, s4
	s_cbranch_execz .LBB219_23
; %bb.22:                               ;   in Loop: Header=BB219_4 Depth=1
	flat_load_b32 v18, v[18:19] offset:64
	s_wait_xcnt 0x0
	v_mul_lo_u32 v19, v30, s38
	s_wait_loadcnt_dscnt 0x0
	s_delay_alu instid0(VALU_DEP_1)
	v_mad_u32 v18, v18, s39, v19
	flat_store_b32 v[14:15], v18 offset:64
.LBB219_23:                             ;   in Loop: Header=BB219_4 Depth=1
	s_wait_xcnt 0x0
	s_or_b32 exec_lo, exec_lo, s24
	s_cbranch_execnz .LBB219_3
.LBB219_24:                             ;   in Loop: Header=BB219_4 Depth=1
	s_wait_xcnt 0x0
	s_and_saveexec_b32 s24, s2
	s_cbranch_execz .LBB219_2
; %bb.25:                               ;   in Loop: Header=BB219_4 Depth=1
	v_lshl_add_u64 v[14:15], v[8:9], 2, v[16:17]
	s_delay_alu instid0(VALU_DEP_1)
	v_lshl_add_u64 v[16:17], v[10:11], 2, v[14:15]
	s_and_saveexec_b32 s25, s3
	s_cbranch_execnz .LBB219_28
; %bb.26:                               ;   in Loop: Header=BB219_4 Depth=1
	s_or_b32 exec_lo, exec_lo, s25
	s_and_saveexec_b32 s25, s4
	s_cbranch_execnz .LBB219_29
.LBB219_27:                             ;   in Loop: Header=BB219_4 Depth=1
	s_or_b32 exec_lo, exec_lo, s25
	s_delay_alu instid0(SALU_CYCLE_1)
	s_and_b32 exec_lo, exec_lo, s5
	s_cbranch_execz .LBB219_2
	s_branch .LBB219_30
.LBB219_28:                             ;   in Loop: Header=BB219_4 Depth=1
	v_mul_lo_u32 v18, v32, s38
	flat_store_b32 v[16:17], v18
	s_wait_xcnt 0x0
	s_or_b32 exec_lo, exec_lo, s25
	s_and_saveexec_b32 s25, s4
	s_cbranch_execz .LBB219_27
.LBB219_29:                             ;   in Loop: Header=BB219_4 Depth=1
	v_mul_lo_u32 v18, v33, s38
	flat_store_b32 v[16:17], v18 offset:64
	s_wait_xcnt 0x0
	s_or_b32 exec_lo, exec_lo, s25
	s_delay_alu instid0(SALU_CYCLE_1)
	s_and_b32 exec_lo, exec_lo, s5
	s_cbranch_execz .LBB219_2
.LBB219_30:                             ;   in Loop: Header=BB219_4 Depth=1
	v_lshl_add_u64 v[14:15], s[10:11], 2, v[14:15]
	s_delay_alu instid0(VALU_DEP_1)
	v_lshl_add_u64 v[14:15], v[10:11], 2, v[14:15]
	s_and_saveexec_b32 s25, s3
	s_cbranch_execz .LBB219_32
; %bb.31:                               ;   in Loop: Header=BB219_4 Depth=1
	v_mul_lo_u32 v16, v31, s38
	flat_store_b32 v[14:15], v16
.LBB219_32:                             ;   in Loop: Header=BB219_4 Depth=1
	s_wait_xcnt 0x0
	s_or_b32 exec_lo, exec_lo, s25
	s_delay_alu instid0(SALU_CYCLE_1)
	s_and_b32 exec_lo, exec_lo, s4
	s_cbranch_execz .LBB219_2
; %bb.33:                               ;   in Loop: Header=BB219_4 Depth=1
	v_mul_lo_u32 v16, v30, s38
	flat_store_b32 v[14:15], v16 offset:64
	s_branch .LBB219_2
.LBB219_34:
	s_endpgm
	.section	.rodata,"a",@progbits
	.p2align	6, 0x0
	.amdhsa_kernel _ZN12_GLOBAL__N_135rocblas_gemm_batched_general_kernelIiLi16ELi16ELi32ELi32ELi8ELi32ELi8ELi8ELi32ELc67ELc84EKPKaKPKiKPiEEvlllT_PT11_llSB_llS9_PT12_llPT13_lli
		.amdhsa_group_segment_fixed_size 2048
		.amdhsa_private_segment_fixed_size 0
		.amdhsa_kernarg_size 140
		.amdhsa_user_sgpr_count 2
		.amdhsa_user_sgpr_dispatch_ptr 0
		.amdhsa_user_sgpr_queue_ptr 0
		.amdhsa_user_sgpr_kernarg_segment_ptr 1
		.amdhsa_user_sgpr_dispatch_id 0
		.amdhsa_user_sgpr_kernarg_preload_length 0
		.amdhsa_user_sgpr_kernarg_preload_offset 0
		.amdhsa_user_sgpr_private_segment_size 0
		.amdhsa_wavefront_size32 1
		.amdhsa_uses_dynamic_stack 0
		.amdhsa_enable_private_segment 0
		.amdhsa_system_sgpr_workgroup_id_x 1
		.amdhsa_system_sgpr_workgroup_id_y 1
		.amdhsa_system_sgpr_workgroup_id_z 1
		.amdhsa_system_sgpr_workgroup_info 0
		.amdhsa_system_vgpr_workitem_id 1
		.amdhsa_next_free_vgpr 52
		.amdhsa_next_free_sgpr 44
		.amdhsa_named_barrier_count 0
		.amdhsa_reserve_vcc 1
		.amdhsa_float_round_mode_32 0
		.amdhsa_float_round_mode_16_64 0
		.amdhsa_float_denorm_mode_32 3
		.amdhsa_float_denorm_mode_16_64 3
		.amdhsa_fp16_overflow 0
		.amdhsa_memory_ordered 1
		.amdhsa_forward_progress 1
		.amdhsa_inst_pref_size 16
		.amdhsa_round_robin_scheduling 0
		.amdhsa_exception_fp_ieee_invalid_op 0
		.amdhsa_exception_fp_denorm_src 0
		.amdhsa_exception_fp_ieee_div_zero 0
		.amdhsa_exception_fp_ieee_overflow 0
		.amdhsa_exception_fp_ieee_underflow 0
		.amdhsa_exception_fp_ieee_inexact 0
		.amdhsa_exception_int_div_zero 0
	.end_amdhsa_kernel
	.section	.text._ZN12_GLOBAL__N_135rocblas_gemm_batched_general_kernelIiLi16ELi16ELi32ELi32ELi8ELi32ELi8ELi8ELi32ELc67ELc84EKPKaKPKiKPiEEvlllT_PT11_llSB_llS9_PT12_llPT13_lli,"axG",@progbits,_ZN12_GLOBAL__N_135rocblas_gemm_batched_general_kernelIiLi16ELi16ELi32ELi32ELi8ELi32ELi8ELi8ELi32ELc67ELc84EKPKaKPKiKPiEEvlllT_PT11_llSB_llS9_PT12_llPT13_lli,comdat
.Lfunc_end219:
	.size	_ZN12_GLOBAL__N_135rocblas_gemm_batched_general_kernelIiLi16ELi16ELi32ELi32ELi8ELi32ELi8ELi8ELi32ELc67ELc84EKPKaKPKiKPiEEvlllT_PT11_llSB_llS9_PT12_llPT13_lli, .Lfunc_end219-_ZN12_GLOBAL__N_135rocblas_gemm_batched_general_kernelIiLi16ELi16ELi32ELi32ELi8ELi32ELi8ELi8ELi32ELc67ELc84EKPKaKPKiKPiEEvlllT_PT11_llSB_llS9_PT12_llPT13_lli
                                        ; -- End function
	.set _ZN12_GLOBAL__N_135rocblas_gemm_batched_general_kernelIiLi16ELi16ELi32ELi32ELi8ELi32ELi8ELi8ELi32ELc67ELc84EKPKaKPKiKPiEEvlllT_PT11_llSB_llS9_PT12_llPT13_lli.num_vgpr, 52
	.set _ZN12_GLOBAL__N_135rocblas_gemm_batched_general_kernelIiLi16ELi16ELi32ELi32ELi8ELi32ELi8ELi8ELi32ELc67ELc84EKPKaKPKiKPiEEvlllT_PT11_llSB_llS9_PT12_llPT13_lli.num_agpr, 0
	.set _ZN12_GLOBAL__N_135rocblas_gemm_batched_general_kernelIiLi16ELi16ELi32ELi32ELi8ELi32ELi8ELi8ELi32ELc67ELc84EKPKaKPKiKPiEEvlllT_PT11_llSB_llS9_PT12_llPT13_lli.numbered_sgpr, 44
	.set _ZN12_GLOBAL__N_135rocblas_gemm_batched_general_kernelIiLi16ELi16ELi32ELi32ELi8ELi32ELi8ELi8ELi32ELc67ELc84EKPKaKPKiKPiEEvlllT_PT11_llSB_llS9_PT12_llPT13_lli.num_named_barrier, 0
	.set _ZN12_GLOBAL__N_135rocblas_gemm_batched_general_kernelIiLi16ELi16ELi32ELi32ELi8ELi32ELi8ELi8ELi32ELc67ELc84EKPKaKPKiKPiEEvlllT_PT11_llSB_llS9_PT12_llPT13_lli.private_seg_size, 0
	.set _ZN12_GLOBAL__N_135rocblas_gemm_batched_general_kernelIiLi16ELi16ELi32ELi32ELi8ELi32ELi8ELi8ELi32ELc67ELc84EKPKaKPKiKPiEEvlllT_PT11_llSB_llS9_PT12_llPT13_lli.uses_vcc, 1
	.set _ZN12_GLOBAL__N_135rocblas_gemm_batched_general_kernelIiLi16ELi16ELi32ELi32ELi8ELi32ELi8ELi8ELi32ELc67ELc84EKPKaKPKiKPiEEvlllT_PT11_llSB_llS9_PT12_llPT13_lli.uses_flat_scratch, 0
	.set _ZN12_GLOBAL__N_135rocblas_gemm_batched_general_kernelIiLi16ELi16ELi32ELi32ELi8ELi32ELi8ELi8ELi32ELc67ELc84EKPKaKPKiKPiEEvlllT_PT11_llSB_llS9_PT12_llPT13_lli.has_dyn_sized_stack, 0
	.set _ZN12_GLOBAL__N_135rocblas_gemm_batched_general_kernelIiLi16ELi16ELi32ELi32ELi8ELi32ELi8ELi8ELi32ELc67ELc84EKPKaKPKiKPiEEvlllT_PT11_llSB_llS9_PT12_llPT13_lli.has_recursion, 0
	.set _ZN12_GLOBAL__N_135rocblas_gemm_batched_general_kernelIiLi16ELi16ELi32ELi32ELi8ELi32ELi8ELi8ELi32ELc67ELc84EKPKaKPKiKPiEEvlllT_PT11_llSB_llS9_PT12_llPT13_lli.has_indirect_call, 0
	.section	.AMDGPU.csdata,"",@progbits
; Kernel info:
; codeLenInByte = 1932
; TotalNumSgprs: 46
; NumVgprs: 52
; ScratchSize: 0
; MemoryBound: 0
; FloatMode: 240
; IeeeMode: 1
; LDSByteSize: 2048 bytes/workgroup (compile time only)
; SGPRBlocks: 0
; VGPRBlocks: 3
; NumSGPRsForWavesPerEU: 46
; NumVGPRsForWavesPerEU: 52
; NamedBarCnt: 0
; Occupancy: 16
; WaveLimiterHint : 1
; COMPUTE_PGM_RSRC2:SCRATCH_EN: 0
; COMPUTE_PGM_RSRC2:USER_SGPR: 2
; COMPUTE_PGM_RSRC2:TRAP_HANDLER: 0
; COMPUTE_PGM_RSRC2:TGID_X_EN: 1
; COMPUTE_PGM_RSRC2:TGID_Y_EN: 1
; COMPUTE_PGM_RSRC2:TGID_Z_EN: 1
; COMPUTE_PGM_RSRC2:TIDIG_COMP_CNT: 1
	.section	.text._ZN12_GLOBAL__N_135rocblas_gemm_batched_general_kernelIiLi16ELi16ELi32ELi32ELi8ELi32ELi8ELi8ELi32ELc78ELc67EKPKaKPKiKPiEEvlllT_PT11_llSB_llS9_PT12_llPT13_lli,"axG",@progbits,_ZN12_GLOBAL__N_135rocblas_gemm_batched_general_kernelIiLi16ELi16ELi32ELi32ELi8ELi32ELi8ELi8ELi32ELc78ELc67EKPKaKPKiKPiEEvlllT_PT11_llSB_llS9_PT12_llPT13_lli,comdat
	.globl	_ZN12_GLOBAL__N_135rocblas_gemm_batched_general_kernelIiLi16ELi16ELi32ELi32ELi8ELi32ELi8ELi8ELi32ELc78ELc67EKPKaKPKiKPiEEvlllT_PT11_llSB_llS9_PT12_llPT13_lli ; -- Begin function _ZN12_GLOBAL__N_135rocblas_gemm_batched_general_kernelIiLi16ELi16ELi32ELi32ELi8ELi32ELi8ELi8ELi32ELc78ELc67EKPKaKPKiKPiEEvlllT_PT11_llSB_llS9_PT12_llPT13_lli
	.p2align	8
	.type	_ZN12_GLOBAL__N_135rocblas_gemm_batched_general_kernelIiLi16ELi16ELi32ELi32ELi8ELi32ELi8ELi8ELi32ELc78ELc67EKPKaKPKiKPiEEvlllT_PT11_llSB_llS9_PT12_llPT13_lli,@function
_ZN12_GLOBAL__N_135rocblas_gemm_batched_general_kernelIiLi16ELi16ELi32ELi32ELi8ELi32ELi8ELi8ELi32ELc78ELc67EKPKaKPKiKPiEEvlllT_PT11_llSB_llS9_PT12_llPT13_lli: ; @_ZN12_GLOBAL__N_135rocblas_gemm_batched_general_kernelIiLi16ELi16ELi32ELi32ELi8ELi32ELi8ELi8ELi32ELc78ELc67EKPKaKPKiKPiEEvlllT_PT11_llSB_llS9_PT12_llPT13_lli
; %bb.0:
	s_load_b32 s33, s[0:1], 0x88
	s_bfe_u32 s2, ttmp6, 0x40014
	s_lshr_b32 s3, ttmp7, 16
	s_add_co_i32 s2, s2, 1
	s_bfe_u32 s5, ttmp6, 0x40008
	s_mul_i32 s4, s3, s2
	s_getreg_b32 s2, hwreg(HW_REG_IB_STS2, 6, 4)
	s_add_co_i32 s5, s5, s4
	s_cmp_eq_u32 s2, 0
	s_mov_b32 s35, 0
	s_cselect_b32 s34, s3, s5
	s_wait_kmcnt 0x0
	s_cmp_ge_i32 s34, s33
	s_cbranch_scc1 .LBB220_34
; %bb.1:
	s_clause 0x6
	s_load_b128 s[4:7], s[0:1], 0x0
	s_load_b96 s[36:38], s[0:1], 0x10
	s_load_b256 s[8:15], s[0:1], 0x20
	s_load_b128 s[28:31], s[0:1], 0x40
	s_load_b32 s39, s[0:1], 0x50
	s_load_b128 s[24:27], s[0:1], 0x78
	s_load_b256 s[16:23], s[0:1], 0x58
	s_wait_xcnt 0x0
	s_bfe_u32 s0, ttmp6, 0x4000c
	s_bfe_u32 s3, ttmp6, 0x40010
	s_add_co_i32 s0, s0, 1
	s_and_b32 s40, ttmp7, 0xffff
	s_add_co_i32 s3, s3, 1
	v_bfe_u32 v10, v0, 10, 10
	v_and_b32_e32 v12, 0x3ff, v0
	s_and_b32 s1, ttmp6, 15
	s_mul_i32 s0, ttmp9, s0
	s_mul_i32 s3, s40, s3
	s_bfe_u32 s41, ttmp6, 0x40004
	s_add_co_i32 s1, s1, s0
	s_add_co_i32 s41, s41, s3
	s_cmp_eq_u32 s2, 0
	v_lshl_add_u32 v1, v10, 4, v12
	v_mov_b32_e32 v11, 0
	s_cselect_b32 s0, ttmp9, s1
	s_cselect_b32 s2, s40, s41
	s_ashr_i32 s1, s0, 31
	v_and_b32_e32 v14, 31, v1
	v_dual_lshrrev_b32 v8, 3, v1 :: v_dual_bitop2_b32 v0, 7, v0 bitop3:0x40
	s_lshl_b64 s[0:1], s[0:1], 5
	s_delay_alu instid0(VALU_DEP_2) | instid1(SALU_CYCLE_1)
	v_dual_mov_b32 v9, v11 :: v_dual_bitop2_b32 v16, s0, v14 bitop3:0x54
	s_lshl_b32 s40, s2, 5
	s_mov_b32 s41, s35
	v_dual_mov_b32 v3, v11 :: v_dual_lshrrev_b32 v2, 5, v1
	v_add_nc_u64_e32 v[18:19], s[40:41], v[10:11]
	s_wait_kmcnt 0x0
	v_add_nc_u64_e32 v[20:21], s[30:31], v[8:9]
	s_add_nc_u64 s[2:3], s[0:1], s[12:13]
	v_dual_mov_b32 v13, v11 :: v_dual_mov_b32 v15, v11
	v_mad_nc_u64_u32 v[24:25], s10, v2, s[2:3]
	v_dual_mov_b32 v17, s1 :: v_dual_mov_b32 v1, v11
	v_mul_u64_e32 v[4:5], s[18:19], v[18:19]
	v_mul_u64_e32 v[6:7], s[24:25], v[18:19]
	v_mad_nc_u64_u32 v[20:21], s28, v0, v[20:21]
	v_add_nc_u64_e32 v[22:23], s[40:41], v[8:9]
	v_dual_lshlrev_b32 v11, 2, v14 :: v_dual_lshlrev_b32 v9, 2, v0
	v_lshlrev_b32_e32 v28, 2, v12
	s_cmp_lg_u32 s39, 0
	v_mad_u32 v25, s11, v2, v25
	s_delay_alu instid0(VALU_DEP_3)
	v_lshl_or_b32 v26, v2, 7, v11
	v_lshl_or_b32 v27, v8, 5, v9
	v_add_nc_u64_e32 v[8:9], s[0:1], v[12:13]
	v_cmp_gt_i64_e64 s0, s[4:5], v[16:17]
	v_mad_u32 v21, s29, v0, v21
	v_add_nc_u64_e32 v[16:17], 16, v[18:19]
	v_cmp_gt_i64_e64 s1, s[6:7], v[22:23]
	v_lshl_add_u32 v29, v10, 5, 0x400
	s_cselect_b32 s30, -1, 0
	v_add_nc_u64_e32 v[12:13], 16, v[8:9]
	v_cmp_gt_i64_e64 s2, s[6:7], v[18:19]
	v_cmp_gt_i64_e64 s3, s[4:5], v[8:9]
	v_add_nc_u32_e32 v27, 0x400, v27
	s_lshl_b64 s[12:13], s[24:25], 4
	s_lshl_b64 s[10:11], s[10:11], 3
	v_add_nc_u64_e32 v[10:11], s[40:41], v[20:21]
	v_cmp_gt_i64_e64 s4, s[4:5], v[12:13]
	v_cmp_gt_i64_e64 s5, s[6:7], v[16:17]
	s_lshl_b64 s[6:7], s[18:19], 4
	s_lshl_b64 s[18:19], s[28:29], 3
	v_add_nc_u64_e32 v[12:13], v[24:25], v[14:15]
	v_cmp_gt_i64_e64 s28, s[36:37], 0
	s_lshl_b64 s[24:25], s[26:27], 2
	s_lshl_b64 s[20:21], s[20:21], 2
	s_branch .LBB220_4
.LBB220_2:                              ;   in Loop: Header=BB220_4 Depth=1
	s_wait_xcnt 0x0
	s_or_b32 exec_lo, exec_lo, s26
.LBB220_3:                              ;   in Loop: Header=BB220_4 Depth=1
	s_add_co_i32 s34, s34, 0x10000
	s_delay_alu instid0(SALU_CYCLE_1)
	s_cmp_lt_i32 s34, s33
	s_cbranch_scc0 .LBB220_34
.LBB220_4:                              ; =>This Loop Header: Depth=1
                                        ;     Child Loop BB220_7 Depth 2
	s_wait_xcnt 0x0
	v_dual_mov_b32 v18, s34 :: v_dual_mov_b32 v33, 0
	v_dual_mov_b32 v32, 0 :: v_dual_mov_b32 v30, 0
	v_mov_b32_e32 v31, 0
	s_clause 0x1
	global_load_b64 v[14:15], v18, s[16:17] scale_offset
	global_load_b64 v[16:17], v18, s[22:23] scale_offset
	s_and_not1_b32 vcc_lo, exec_lo, s28
	s_cbranch_vccnz .LBB220_11
; %bb.5:                                ;   in Loop: Header=BB220_4 Depth=1
	v_dual_mov_b32 v32, 0 :: v_dual_mov_b32 v33, 0
	s_lshl_b64 s[26:27], s[34:35], 3
	v_dual_mov_b32 v31, 0 :: v_dual_mov_b32 v30, 0
	s_add_nc_u64 s[40:41], s[14:15], s[26:27]
	s_add_nc_u64 s[26:27], s[8:9], s[26:27]
	s_clause 0x1
	global_load_b64 v[18:19], v32, s[40:41]
	global_load_b64 v[20:21], v32, s[26:27]
	s_wait_xcnt 0x0
	s_mov_b64 s[26:27], 0
	s_wait_loadcnt 0x1
	v_add_nc_u64_e32 v[18:19], v[18:19], v[10:11]
	s_wait_loadcnt 0x0
	v_add_nc_u64_e32 v[20:21], v[20:21], v[12:13]
	s_branch .LBB220_7
.LBB220_6:                              ;   in Loop: Header=BB220_7 Depth=2
	s_wait_xcnt 0x0
	s_or_b32 exec_lo, exec_lo, s29
	s_wait_loadcnt_dscnt 0x0
	ds_store_b32 v27, v23
	s_wait_dscnt 0x0
	s_barrier_signal -1
	s_barrier_wait -1
	ds_load_b128 v[22:25], v29
	ds_load_2addr_b32 v[46:47], v28 offset1:16
	ds_load_b128 v[34:37], v29 offset:512
	ds_load_2addr_b32 v[48:49], v28 offset0:32 offset1:48
	ds_load_b128 v[38:41], v29 offset:16
	ds_load_2addr_b32 v[50:51], v28 offset0:64 offset1:80
	ds_load_b128 v[42:45], v29 offset:528
	s_add_nc_u64 s[26:27], s[26:27], 8
	v_add_nc_u64_e32 v[18:19], s[18:19], v[18:19]
	v_cmp_lt_i64_e64 s29, s[26:27], s[36:37]
	v_add_nc_u64_e32 v[20:21], s[10:11], v[20:21]
	s_and_b32 vcc_lo, exec_lo, s29
	s_wait_dscnt 0x5
	v_mad_u32 v32, v22, v46, v32
	v_mad_u32 v22, v22, v47, v33
	s_wait_dscnt 0x4
	v_mad_u32 v33, v34, v46, v31
	v_mad_u32 v34, v34, v47, v30
	ds_load_2addr_b32 v[30:31], v28 offset0:96 offset1:112
	s_wait_dscnt 0x4
	v_mad_u32 v32, v23, v48, v32
	v_mad_u32 v46, v23, v49, v22
	v_mad_u32 v33, v35, v48, v33
	v_mad_u32 v34, v35, v49, v34
	ds_load_2addr_b32 v[22:23], v28 offset0:128 offset1:144
	s_wait_dscnt 0x3
	v_mad_u32 v35, v24, v50, v32
	v_mad_u32 v24, v24, v51, v46
	;; [unrolled: 6-line block ×4, first 2 shown]
	v_mad_u32 v30, v42, v22, v30
	v_mad_u32 v31, v42, v23, v31
	ds_load_2addr_b32 v[22:23], v28 offset0:224 offset1:240
	s_wait_dscnt 0x0
	s_barrier_signal -1
	s_barrier_wait -1
	v_mad_u32 v34, v39, v32, v34
	v_mad_u32 v35, v39, v33, v35
	;; [unrolled: 1-line block ×4, first 2 shown]
	s_delay_alu instid0(VALU_DEP_4) | instskip(NEXT) | instid1(VALU_DEP_4)
	v_mad_u32 v32, v40, v24, v34
	v_mad_u32 v33, v40, v25, v35
	s_delay_alu instid0(VALU_DEP_4) | instskip(NEXT) | instid1(VALU_DEP_4)
	v_mad_u32 v24, v44, v24, v30
	v_mad_u32 v25, v44, v25, v31
	;; [unrolled: 3-line block ×4, first 2 shown]
	s_cbranch_vccz .LBB220_11
.LBB220_7:                              ;   Parent Loop BB220_4 Depth=1
                                        ; =>  This Inner Loop Header: Depth=2
	v_add_nc_u64_e32 v[22:23], s[26:27], v[2:3]
	s_delay_alu instid0(VALU_DEP_1) | instskip(SKIP_2) | instid1(SALU_CYCLE_1)
	v_cmp_gt_i64_e32 vcc_lo, s[36:37], v[22:23]
	v_mov_b32_e32 v22, 0
	s_and_b32 s31, s0, vcc_lo
	s_and_saveexec_b32 s29, s31
	s_cbranch_execz .LBB220_9
; %bb.8:                                ;   in Loop: Header=BB220_7 Depth=2
	flat_load_i8 v22, v[20:21]
.LBB220_9:                              ;   in Loop: Header=BB220_7 Depth=2
	s_wait_xcnt 0x0
	s_or_b32 exec_lo, exec_lo, s29
	v_add_nc_u64_e32 v[24:25], s[26:27], v[0:1]
	v_mov_b32_e32 v23, 0
	s_wait_loadcnt_dscnt 0x0
	ds_store_b32 v26, v22
	v_cmp_gt_i64_e32 vcc_lo, s[36:37], v[24:25]
	s_and_b32 s31, vcc_lo, s1
	s_delay_alu instid0(SALU_CYCLE_1)
	s_and_saveexec_b32 s29, s31
	s_cbranch_execz .LBB220_6
; %bb.10:                               ;   in Loop: Header=BB220_7 Depth=2
	flat_load_i8 v23, v[18:19]
	s_branch .LBB220_6
.LBB220_11:                             ;   in Loop: Header=BB220_4 Depth=1
	s_wait_loadcnt 0x0
	v_add_nc_u64_e32 v[16:17], s[24:25], v[16:17]
	s_and_not1_b32 vcc_lo, exec_lo, s30
	s_cbranch_vccnz .LBB220_16
; %bb.12:                               ;   in Loop: Header=BB220_4 Depth=1
	s_wait_xcnt 0x0
	s_and_saveexec_b32 s26, s2
	s_cbranch_execz .LBB220_23
; %bb.13:                               ;   in Loop: Header=BB220_4 Depth=1
	v_add_nc_u64_e32 v[18:19], s[20:21], v[14:15]
	v_lshlrev_b64_e32 v[14:15], 2, v[8:9]
	v_lshl_add_u64 v[20:21], v[6:7], 2, v[16:17]
	s_delay_alu instid0(VALU_DEP_3) | instskip(NEXT) | instid1(VALU_DEP_2)
	v_lshl_add_u64 v[18:19], v[4:5], 2, v[18:19]
	v_add_nc_u64_e32 v[22:23], v[20:21], v[14:15]
	s_delay_alu instid0(VALU_DEP_2)
	v_add_nc_u64_e32 v[24:25], v[18:19], v[14:15]
	s_and_saveexec_b32 s27, s3
	s_cbranch_execnz .LBB220_17
; %bb.14:                               ;   in Loop: Header=BB220_4 Depth=1
	s_or_b32 exec_lo, exec_lo, s27
	s_and_saveexec_b32 s27, s4
	s_cbranch_execnz .LBB220_18
.LBB220_15:                             ;   in Loop: Header=BB220_4 Depth=1
	s_or_b32 exec_lo, exec_lo, s27
	s_delay_alu instid0(SALU_CYCLE_1)
	s_and_b32 exec_lo, exec_lo, s5
	s_cbranch_execnz .LBB220_19
	s_branch .LBB220_23
.LBB220_16:                             ;   in Loop: Header=BB220_4 Depth=1
	s_branch .LBB220_24
.LBB220_17:                             ;   in Loop: Header=BB220_4 Depth=1
	flat_load_b32 v34, v[24:25]
	v_mul_lo_u32 v35, v32, s38
	s_wait_loadcnt_dscnt 0x0
	s_delay_alu instid0(VALU_DEP_1)
	v_mad_u32 v34, v34, s39, v35
	flat_store_b32 v[22:23], v34
	s_wait_xcnt 0x0
	s_or_b32 exec_lo, exec_lo, s27
	s_and_saveexec_b32 s27, s4
	s_cbranch_execz .LBB220_15
.LBB220_18:                             ;   in Loop: Header=BB220_4 Depth=1
	flat_load_b32 v24, v[24:25] offset:64
	s_wait_xcnt 0x0
	v_mul_lo_u32 v25, v33, s38
	s_wait_loadcnt_dscnt 0x0
	s_delay_alu instid0(VALU_DEP_1) | instskip(SKIP_3) | instid1(SALU_CYCLE_1)
	v_mad_u32 v24, v24, s39, v25
	flat_store_b32 v[22:23], v24 offset:64
	s_wait_xcnt 0x0
	s_or_b32 exec_lo, exec_lo, s27
	s_and_b32 exec_lo, exec_lo, s5
	s_cbranch_execz .LBB220_23
.LBB220_19:                             ;   in Loop: Header=BB220_4 Depth=1
	v_lshl_add_u64 v[18:19], s[6:7], 2, v[18:19]
	v_lshl_add_u64 v[20:21], s[12:13], 2, v[20:21]
	s_delay_alu instid0(VALU_DEP_2) | instskip(NEXT) | instid1(VALU_DEP_2)
	v_add_nc_u64_e32 v[18:19], v[18:19], v[14:15]
	v_add_nc_u64_e32 v[14:15], v[20:21], v[14:15]
	s_and_saveexec_b32 s27, s3
	s_cbranch_execz .LBB220_21
; %bb.20:                               ;   in Loop: Header=BB220_4 Depth=1
	flat_load_b32 v20, v[18:19]
	v_mul_lo_u32 v21, v31, s38
	s_wait_loadcnt_dscnt 0x0
	s_delay_alu instid0(VALU_DEP_1)
	v_mad_u32 v20, v20, s39, v21
	flat_store_b32 v[14:15], v20
.LBB220_21:                             ;   in Loop: Header=BB220_4 Depth=1
	s_wait_xcnt 0x0
	s_or_b32 exec_lo, exec_lo, s27
	s_delay_alu instid0(SALU_CYCLE_1)
	s_and_b32 exec_lo, exec_lo, s4
	s_cbranch_execz .LBB220_23
; %bb.22:                               ;   in Loop: Header=BB220_4 Depth=1
	flat_load_b32 v18, v[18:19] offset:64
	s_wait_xcnt 0x0
	v_mul_lo_u32 v19, v30, s38
	s_wait_loadcnt_dscnt 0x0
	s_delay_alu instid0(VALU_DEP_1)
	v_mad_u32 v18, v18, s39, v19
	flat_store_b32 v[14:15], v18 offset:64
.LBB220_23:                             ;   in Loop: Header=BB220_4 Depth=1
	s_wait_xcnt 0x0
	s_or_b32 exec_lo, exec_lo, s26
	s_cbranch_execnz .LBB220_3
.LBB220_24:                             ;   in Loop: Header=BB220_4 Depth=1
	s_wait_xcnt 0x0
	s_and_saveexec_b32 s26, s2
	s_cbranch_execz .LBB220_2
; %bb.25:                               ;   in Loop: Header=BB220_4 Depth=1
	v_lshl_add_u64 v[14:15], v[6:7], 2, v[16:17]
	s_delay_alu instid0(VALU_DEP_1)
	v_lshl_add_u64 v[16:17], v[8:9], 2, v[14:15]
	s_and_saveexec_b32 s27, s3
	s_cbranch_execnz .LBB220_28
; %bb.26:                               ;   in Loop: Header=BB220_4 Depth=1
	s_or_b32 exec_lo, exec_lo, s27
	s_and_saveexec_b32 s27, s4
	s_cbranch_execnz .LBB220_29
.LBB220_27:                             ;   in Loop: Header=BB220_4 Depth=1
	s_or_b32 exec_lo, exec_lo, s27
	s_delay_alu instid0(SALU_CYCLE_1)
	s_and_b32 exec_lo, exec_lo, s5
	s_cbranch_execz .LBB220_2
	s_branch .LBB220_30
.LBB220_28:                             ;   in Loop: Header=BB220_4 Depth=1
	v_mul_lo_u32 v18, v32, s38
	flat_store_b32 v[16:17], v18
	s_wait_xcnt 0x0
	s_or_b32 exec_lo, exec_lo, s27
	s_and_saveexec_b32 s27, s4
	s_cbranch_execz .LBB220_27
.LBB220_29:                             ;   in Loop: Header=BB220_4 Depth=1
	v_mul_lo_u32 v18, v33, s38
	flat_store_b32 v[16:17], v18 offset:64
	s_wait_xcnt 0x0
	s_or_b32 exec_lo, exec_lo, s27
	s_delay_alu instid0(SALU_CYCLE_1)
	s_and_b32 exec_lo, exec_lo, s5
	s_cbranch_execz .LBB220_2
.LBB220_30:                             ;   in Loop: Header=BB220_4 Depth=1
	v_lshl_add_u64 v[14:15], s[12:13], 2, v[14:15]
	s_delay_alu instid0(VALU_DEP_1)
	v_lshl_add_u64 v[14:15], v[8:9], 2, v[14:15]
	s_and_saveexec_b32 s27, s3
	s_cbranch_execz .LBB220_32
; %bb.31:                               ;   in Loop: Header=BB220_4 Depth=1
	v_mul_lo_u32 v16, v31, s38
	flat_store_b32 v[14:15], v16
.LBB220_32:                             ;   in Loop: Header=BB220_4 Depth=1
	s_wait_xcnt 0x0
	s_or_b32 exec_lo, exec_lo, s27
	s_delay_alu instid0(SALU_CYCLE_1)
	s_and_b32 exec_lo, exec_lo, s4
	s_cbranch_execz .LBB220_2
; %bb.33:                               ;   in Loop: Header=BB220_4 Depth=1
	v_mul_lo_u32 v16, v30, s38
	flat_store_b32 v[14:15], v16 offset:64
	s_branch .LBB220_2
.LBB220_34:
	s_endpgm
	.section	.rodata,"a",@progbits
	.p2align	6, 0x0
	.amdhsa_kernel _ZN12_GLOBAL__N_135rocblas_gemm_batched_general_kernelIiLi16ELi16ELi32ELi32ELi8ELi32ELi8ELi8ELi32ELc78ELc67EKPKaKPKiKPiEEvlllT_PT11_llSB_llS9_PT12_llPT13_lli
		.amdhsa_group_segment_fixed_size 2048
		.amdhsa_private_segment_fixed_size 0
		.amdhsa_kernarg_size 140
		.amdhsa_user_sgpr_count 2
		.amdhsa_user_sgpr_dispatch_ptr 0
		.amdhsa_user_sgpr_queue_ptr 0
		.amdhsa_user_sgpr_kernarg_segment_ptr 1
		.amdhsa_user_sgpr_dispatch_id 0
		.amdhsa_user_sgpr_kernarg_preload_length 0
		.amdhsa_user_sgpr_kernarg_preload_offset 0
		.amdhsa_user_sgpr_private_segment_size 0
		.amdhsa_wavefront_size32 1
		.amdhsa_uses_dynamic_stack 0
		.amdhsa_enable_private_segment 0
		.amdhsa_system_sgpr_workgroup_id_x 1
		.amdhsa_system_sgpr_workgroup_id_y 1
		.amdhsa_system_sgpr_workgroup_id_z 1
		.amdhsa_system_sgpr_workgroup_info 0
		.amdhsa_system_vgpr_workitem_id 1
		.amdhsa_next_free_vgpr 52
		.amdhsa_next_free_sgpr 42
		.amdhsa_named_barrier_count 0
		.amdhsa_reserve_vcc 1
		.amdhsa_float_round_mode_32 0
		.amdhsa_float_round_mode_16_64 0
		.amdhsa_float_denorm_mode_32 3
		.amdhsa_float_denorm_mode_16_64 3
		.amdhsa_fp16_overflow 0
		.amdhsa_memory_ordered 1
		.amdhsa_forward_progress 1
		.amdhsa_inst_pref_size 16
		.amdhsa_round_robin_scheduling 0
		.amdhsa_exception_fp_ieee_invalid_op 0
		.amdhsa_exception_fp_denorm_src 0
		.amdhsa_exception_fp_ieee_div_zero 0
		.amdhsa_exception_fp_ieee_overflow 0
		.amdhsa_exception_fp_ieee_underflow 0
		.amdhsa_exception_fp_ieee_inexact 0
		.amdhsa_exception_int_div_zero 0
	.end_amdhsa_kernel
	.section	.text._ZN12_GLOBAL__N_135rocblas_gemm_batched_general_kernelIiLi16ELi16ELi32ELi32ELi8ELi32ELi8ELi8ELi32ELc78ELc67EKPKaKPKiKPiEEvlllT_PT11_llSB_llS9_PT12_llPT13_lli,"axG",@progbits,_ZN12_GLOBAL__N_135rocblas_gemm_batched_general_kernelIiLi16ELi16ELi32ELi32ELi8ELi32ELi8ELi8ELi32ELc78ELc67EKPKaKPKiKPiEEvlllT_PT11_llSB_llS9_PT12_llPT13_lli,comdat
.Lfunc_end220:
	.size	_ZN12_GLOBAL__N_135rocblas_gemm_batched_general_kernelIiLi16ELi16ELi32ELi32ELi8ELi32ELi8ELi8ELi32ELc78ELc67EKPKaKPKiKPiEEvlllT_PT11_llSB_llS9_PT12_llPT13_lli, .Lfunc_end220-_ZN12_GLOBAL__N_135rocblas_gemm_batched_general_kernelIiLi16ELi16ELi32ELi32ELi8ELi32ELi8ELi8ELi32ELc78ELc67EKPKaKPKiKPiEEvlllT_PT11_llSB_llS9_PT12_llPT13_lli
                                        ; -- End function
	.set _ZN12_GLOBAL__N_135rocblas_gemm_batched_general_kernelIiLi16ELi16ELi32ELi32ELi8ELi32ELi8ELi8ELi32ELc78ELc67EKPKaKPKiKPiEEvlllT_PT11_llSB_llS9_PT12_llPT13_lli.num_vgpr, 52
	.set _ZN12_GLOBAL__N_135rocblas_gemm_batched_general_kernelIiLi16ELi16ELi32ELi32ELi8ELi32ELi8ELi8ELi32ELc78ELc67EKPKaKPKiKPiEEvlllT_PT11_llSB_llS9_PT12_llPT13_lli.num_agpr, 0
	.set _ZN12_GLOBAL__N_135rocblas_gemm_batched_general_kernelIiLi16ELi16ELi32ELi32ELi8ELi32ELi8ELi8ELi32ELc78ELc67EKPKaKPKiKPiEEvlllT_PT11_llSB_llS9_PT12_llPT13_lli.numbered_sgpr, 42
	.set _ZN12_GLOBAL__N_135rocblas_gemm_batched_general_kernelIiLi16ELi16ELi32ELi32ELi8ELi32ELi8ELi8ELi32ELc78ELc67EKPKaKPKiKPiEEvlllT_PT11_llSB_llS9_PT12_llPT13_lli.num_named_barrier, 0
	.set _ZN12_GLOBAL__N_135rocblas_gemm_batched_general_kernelIiLi16ELi16ELi32ELi32ELi8ELi32ELi8ELi8ELi32ELc78ELc67EKPKaKPKiKPiEEvlllT_PT11_llSB_llS9_PT12_llPT13_lli.private_seg_size, 0
	.set _ZN12_GLOBAL__N_135rocblas_gemm_batched_general_kernelIiLi16ELi16ELi32ELi32ELi8ELi32ELi8ELi8ELi32ELc78ELc67EKPKaKPKiKPiEEvlllT_PT11_llSB_llS9_PT12_llPT13_lli.uses_vcc, 1
	.set _ZN12_GLOBAL__N_135rocblas_gemm_batched_general_kernelIiLi16ELi16ELi32ELi32ELi8ELi32ELi8ELi8ELi32ELc78ELc67EKPKaKPKiKPiEEvlllT_PT11_llSB_llS9_PT12_llPT13_lli.uses_flat_scratch, 0
	.set _ZN12_GLOBAL__N_135rocblas_gemm_batched_general_kernelIiLi16ELi16ELi32ELi32ELi8ELi32ELi8ELi8ELi32ELc78ELc67EKPKaKPKiKPiEEvlllT_PT11_llSB_llS9_PT12_llPT13_lli.has_dyn_sized_stack, 0
	.set _ZN12_GLOBAL__N_135rocblas_gemm_batched_general_kernelIiLi16ELi16ELi32ELi32ELi8ELi32ELi8ELi8ELi32ELc78ELc67EKPKaKPKiKPiEEvlllT_PT11_llSB_llS9_PT12_llPT13_lli.has_recursion, 0
	.set _ZN12_GLOBAL__N_135rocblas_gemm_batched_general_kernelIiLi16ELi16ELi32ELi32ELi8ELi32ELi8ELi8ELi32ELc78ELc67EKPKaKPKiKPiEEvlllT_PT11_llSB_llS9_PT12_llPT13_lli.has_indirect_call, 0
	.section	.AMDGPU.csdata,"",@progbits
; Kernel info:
; codeLenInByte = 1940
; TotalNumSgprs: 44
; NumVgprs: 52
; ScratchSize: 0
; MemoryBound: 0
; FloatMode: 240
; IeeeMode: 1
; LDSByteSize: 2048 bytes/workgroup (compile time only)
; SGPRBlocks: 0
; VGPRBlocks: 3
; NumSGPRsForWavesPerEU: 44
; NumVGPRsForWavesPerEU: 52
; NamedBarCnt: 0
; Occupancy: 16
; WaveLimiterHint : 1
; COMPUTE_PGM_RSRC2:SCRATCH_EN: 0
; COMPUTE_PGM_RSRC2:USER_SGPR: 2
; COMPUTE_PGM_RSRC2:TRAP_HANDLER: 0
; COMPUTE_PGM_RSRC2:TGID_X_EN: 1
; COMPUTE_PGM_RSRC2:TGID_Y_EN: 1
; COMPUTE_PGM_RSRC2:TGID_Z_EN: 1
; COMPUTE_PGM_RSRC2:TIDIG_COMP_CNT: 1
	.section	.text._ZN12_GLOBAL__N_135rocblas_gemm_batched_general_kernelIiLi16ELi16ELi32ELi32ELi8ELi32ELi8ELi8ELi32ELc84ELc67EKPKaKPKiKPiEEvlllT_PT11_llSB_llS9_PT12_llPT13_lli,"axG",@progbits,_ZN12_GLOBAL__N_135rocblas_gemm_batched_general_kernelIiLi16ELi16ELi32ELi32ELi8ELi32ELi8ELi8ELi32ELc84ELc67EKPKaKPKiKPiEEvlllT_PT11_llSB_llS9_PT12_llPT13_lli,comdat
	.globl	_ZN12_GLOBAL__N_135rocblas_gemm_batched_general_kernelIiLi16ELi16ELi32ELi32ELi8ELi32ELi8ELi8ELi32ELc84ELc67EKPKaKPKiKPiEEvlllT_PT11_llSB_llS9_PT12_llPT13_lli ; -- Begin function _ZN12_GLOBAL__N_135rocblas_gemm_batched_general_kernelIiLi16ELi16ELi32ELi32ELi8ELi32ELi8ELi8ELi32ELc84ELc67EKPKaKPKiKPiEEvlllT_PT11_llSB_llS9_PT12_llPT13_lli
	.p2align	8
	.type	_ZN12_GLOBAL__N_135rocblas_gemm_batched_general_kernelIiLi16ELi16ELi32ELi32ELi8ELi32ELi8ELi8ELi32ELc84ELc67EKPKaKPKiKPiEEvlllT_PT11_llSB_llS9_PT12_llPT13_lli,@function
_ZN12_GLOBAL__N_135rocblas_gemm_batched_general_kernelIiLi16ELi16ELi32ELi32ELi8ELi32ELi8ELi8ELi32ELc84ELc67EKPKaKPKiKPiEEvlllT_PT11_llSB_llS9_PT12_llPT13_lli: ; @_ZN12_GLOBAL__N_135rocblas_gemm_batched_general_kernelIiLi16ELi16ELi32ELi32ELi8ELi32ELi8ELi8ELi32ELc84ELc67EKPKaKPKiKPiEEvlllT_PT11_llSB_llS9_PT12_llPT13_lli
; %bb.0:
	s_load_b32 s33, s[0:1], 0x88
	s_bfe_u32 s2, ttmp6, 0x40014
	s_lshr_b32 s3, ttmp7, 16
	s_add_co_i32 s2, s2, 1
	s_bfe_u32 s5, ttmp6, 0x40008
	s_mul_i32 s4, s3, s2
	s_getreg_b32 s2, hwreg(HW_REG_IB_STS2, 6, 4)
	s_add_co_i32 s5, s5, s4
	s_cmp_eq_u32 s2, 0
	s_mov_b32 s35, 0
	s_cselect_b32 s34, s3, s5
	s_wait_kmcnt 0x0
	s_cmp_ge_i32 s34, s33
	s_cbranch_scc1 .LBB221_34
; %bb.1:
	s_clause 0x2
	s_load_b128 s[4:7], s[0:1], 0x0
	s_load_b96 s[36:38], s[0:1], 0x10
	s_load_b256 s[8:15], s[0:1], 0x20
	v_bfe_u32 v12, v0, 10, 10
	v_and_b32_e32 v14, 0x3ff, v0
	s_clause 0x3
	s_load_b128 s[24:27], s[0:1], 0x40
	s_load_b32 s39, s[0:1], 0x50
	s_load_b128 s[28:31], s[0:1], 0x78
	s_load_b256 s[16:23], s[0:1], 0x58
	s_wait_xcnt 0x0
	s_bfe_u32 s0, ttmp6, 0x4000c
	s_bfe_u32 s3, ttmp6, 0x40010
	s_add_co_i32 s0, s0, 1
	s_and_b32 s40, ttmp7, 0xffff
	s_add_co_i32 s3, s3, 1
	v_lshl_add_u32 v1, v12, 4, v14
	v_mov_b32_e32 v13, 0
	s_and_b32 s1, ttmp6, 15
	s_mul_i32 s0, ttmp9, s0
	s_mul_i32 s3, s40, s3
	s_bfe_u32 s41, ttmp6, 0x40004
	s_add_co_i32 s1, s1, s0
	s_add_co_i32 s41, s41, s3
	s_cmp_eq_u32 s2, 0
	v_dual_mov_b32 v15, v13 :: v_dual_bitop2_b32 v24, 31, v1 bitop3:0x40
	v_dual_mov_b32 v3, v13 :: v_dual_lshrrev_b32 v2, 5, v1
	v_and_b32_e32 v0, 7, v0
	s_cselect_b32 s0, ttmp9, s1
	s_cselect_b32 s2, s40, s41
	s_ashr_i32 s1, s0, 31
	v_dual_mov_b32 v11, v13 :: v_dual_lshrrev_b32 v10, 3, v1
	s_lshl_b32 s40, s2, 5
	s_mov_b32 s41, s35
	s_lshl_b64 s[42:43], s[0:1], 5
	s_wait_kmcnt 0x0
	v_add_nc_u64_e32 v[6:7], s[12:13], v[2:3]
	v_add_nc_u64_e32 v[16:17], s[40:41], v[12:13]
	v_dual_mov_b32 v19, s43 :: v_dual_bitop2_b32 v18, s42, v24 bitop3:0x54
	v_add_nc_u64_e32 v[20:21], s[26:27], v[10:11]
	v_dual_mov_b32 v1, v13 :: v_dual_lshlrev_b32 v13, 2, v0
	s_delay_alu instid0(VALU_DEP_3)
	v_mad_nc_u64_u32 v[6:7], s10, v18, v[6:7]
	v_mul_u64_e32 v[4:5], s[18:19], v[16:17]
	v_mul_u64_e32 v[8:9], s[28:29], v[16:17]
	v_add_nc_u64_e32 v[22:23], s[40:41], v[10:11]
	v_mad_nc_u64_u32 v[20:21], s24, v0, v[20:21]
	v_lshl_or_b32 v13, v10, 5, v13
	v_add_nc_u64_e32 v[10:11], s[42:43], v[14:15]
	v_dual_lshlrev_b32 v24, 2, v24 :: v_dual_lshlrev_b32 v28, 2, v14
	v_cmp_gt_i64_e64 s0, s[4:5], v[18:19]
	v_cmp_gt_i64_e64 s1, s[6:7], v[22:23]
	v_mad_u32 v7, s11, v18, v7
	v_add_nc_u64_e32 v[18:19], 16, v[16:17]
	v_add_nc_u64_e32 v[14:15], 16, v[10:11]
	v_add_nc_u32_e32 v27, 0x400, v13
	v_mad_u32 v21, s25, v0, v21
	v_lshl_add_u32 v29, v12, 5, 0x400
	v_cmp_gt_i64_e64 s2, s[6:7], v[16:17]
	v_cmp_gt_i64_e64 s3, s[4:5], v[10:11]
	;; [unrolled: 1-line block ×5, first 2 shown]
	v_mad_u32 v7, s10, s43, v7
	v_lshl_or_b32 v26, v2, 7, v24
	s_cmp_lg_u32 s39, 0
	v_add_nc_u64_e32 v[12:13], s[40:41], v[20:21]
	s_cselect_b32 s26, -1, 0
	s_lshl_b64 s[6:7], s[18:19], 4
	s_lshl_b64 s[10:11], s[28:29], 4
	;; [unrolled: 1-line block ×5, first 2 shown]
	s_branch .LBB221_4
.LBB221_2:                              ;   in Loop: Header=BB221_4 Depth=1
	s_wait_xcnt 0x0
	s_or_b32 exec_lo, exec_lo, s24
.LBB221_3:                              ;   in Loop: Header=BB221_4 Depth=1
	s_add_co_i32 s34, s34, 0x10000
	s_delay_alu instid0(SALU_CYCLE_1)
	s_cmp_lt_i32 s34, s33
	s_cbranch_scc0 .LBB221_34
.LBB221_4:                              ; =>This Loop Header: Depth=1
                                        ;     Child Loop BB221_7 Depth 2
	s_wait_xcnt 0x0
	v_dual_mov_b32 v18, s34 :: v_dual_mov_b32 v33, 0
	v_dual_mov_b32 v32, 0 :: v_dual_mov_b32 v30, 0
	v_mov_b32_e32 v31, 0
	s_clause 0x1
	global_load_b64 v[14:15], v18, s[16:17] scale_offset
	global_load_b64 v[16:17], v18, s[22:23] scale_offset
	s_and_not1_b32 vcc_lo, exec_lo, s27
	s_cbranch_vccnz .LBB221_11
; %bb.5:                                ;   in Loop: Header=BB221_4 Depth=1
	v_dual_mov_b32 v32, 0 :: v_dual_mov_b32 v33, 0
	s_lshl_b64 s[24:25], s[34:35], 3
	v_dual_mov_b32 v31, 0 :: v_dual_mov_b32 v30, 0
	s_add_nc_u64 s[28:29], s[14:15], s[24:25]
	s_add_nc_u64 s[24:25], s[8:9], s[24:25]
	s_clause 0x1
	global_load_b64 v[18:19], v32, s[28:29]
	global_load_b64 v[20:21], v32, s[24:25]
	s_wait_xcnt 0x0
	s_mov_b64 s[24:25], 0
	s_wait_loadcnt 0x1
	v_add_nc_u64_e32 v[18:19], v[18:19], v[12:13]
	s_wait_loadcnt 0x0
	v_add_nc_u64_e32 v[20:21], v[20:21], v[6:7]
	s_branch .LBB221_7
.LBB221_6:                              ;   in Loop: Header=BB221_7 Depth=2
	s_wait_xcnt 0x0
	s_or_b32 exec_lo, exec_lo, s28
	s_wait_loadcnt_dscnt 0x0
	ds_store_b32 v27, v23
	s_wait_dscnt 0x0
	s_barrier_signal -1
	s_barrier_wait -1
	ds_load_b128 v[22:25], v29
	ds_load_2addr_b32 v[46:47], v28 offset1:16
	ds_load_b128 v[34:37], v29 offset:512
	ds_load_2addr_b32 v[48:49], v28 offset0:32 offset1:48
	ds_load_b128 v[38:41], v29 offset:16
	ds_load_2addr_b32 v[50:51], v28 offset0:64 offset1:80
	ds_load_b128 v[42:45], v29 offset:528
	s_add_nc_u64 s[24:25], s[24:25], 8
	v_add_nc_u64_e32 v[18:19], s[12:13], v[18:19]
	v_cmp_lt_i64_e64 s28, s[24:25], s[36:37]
	s_and_b32 vcc_lo, exec_lo, s28
	s_wait_dscnt 0x5
	v_mad_u32 v32, v22, v46, v32
	v_mad_u32 v22, v22, v47, v33
	s_wait_dscnt 0x4
	v_mad_u32 v33, v34, v46, v31
	v_mad_u32 v34, v34, v47, v30
	ds_load_2addr_b32 v[30:31], v28 offset0:96 offset1:112
	s_wait_dscnt 0x4
	v_mad_u32 v32, v23, v48, v32
	v_mad_u32 v46, v23, v49, v22
	v_mad_u32 v33, v35, v48, v33
	v_mad_u32 v34, v35, v49, v34
	ds_load_2addr_b32 v[22:23], v28 offset0:128 offset1:144
	s_wait_dscnt 0x3
	v_mad_u32 v35, v24, v50, v32
	v_mad_u32 v24, v24, v51, v46
	v_mad_u32 v46, v36, v50, v33
	v_mad_u32 v34, v36, v51, v34
	ds_load_2addr_b32 v[32:33], v28 offset0:160 offset1:176
	s_wait_dscnt 0x2
	v_mad_u32 v35, v25, v30, v35
	v_mad_u32 v36, v25, v31, v24
	v_mad_u32 v30, v37, v30, v46
	v_mad_u32 v31, v37, v31, v34
	ds_load_2addr_b32 v[24:25], v28 offset0:192 offset1:208
	s_wait_dscnt 0x2
	v_mad_u32 v34, v38, v22, v35
	v_mad_u32 v35, v38, v23, v36
	v_mad_u32 v30, v42, v22, v30
	v_mad_u32 v31, v42, v23, v31
	ds_load_2addr_b32 v[22:23], v28 offset0:224 offset1:240
	s_wait_dscnt 0x0
	s_barrier_signal -1
	s_barrier_wait -1
	v_mad_u32 v34, v39, v32, v34
	v_mad_u32 v35, v39, v33, v35
	;; [unrolled: 1-line block ×4, first 2 shown]
	s_delay_alu instid0(VALU_DEP_4) | instskip(NEXT) | instid1(VALU_DEP_4)
	v_mad_u32 v32, v40, v24, v34
	v_mad_u32 v33, v40, v25, v35
	s_delay_alu instid0(VALU_DEP_4) | instskip(NEXT) | instid1(VALU_DEP_4)
	v_mad_u32 v24, v44, v24, v30
	v_mad_u32 v25, v44, v25, v31
	;; [unrolled: 3-line block ×4, first 2 shown]
	s_cbranch_vccz .LBB221_11
.LBB221_7:                              ;   Parent Loop BB221_4 Depth=1
                                        ; =>  This Inner Loop Header: Depth=2
	v_add_nc_u64_e32 v[22:23], s[24:25], v[2:3]
	s_delay_alu instid0(VALU_DEP_1) | instskip(SKIP_2) | instid1(SALU_CYCLE_1)
	v_cmp_gt_i64_e32 vcc_lo, s[36:37], v[22:23]
	v_mov_b32_e32 v22, 0
	s_and_b32 s29, s0, vcc_lo
	s_and_saveexec_b32 s28, s29
	s_cbranch_execz .LBB221_9
; %bb.8:                                ;   in Loop: Header=BB221_7 Depth=2
	v_add_nc_u64_e32 v[22:23], s[24:25], v[20:21]
	flat_load_i8 v22, v[22:23]
.LBB221_9:                              ;   in Loop: Header=BB221_7 Depth=2
	s_wait_xcnt 0x0
	s_or_b32 exec_lo, exec_lo, s28
	v_add_nc_u64_e32 v[24:25], s[24:25], v[0:1]
	v_mov_b32_e32 v23, 0
	s_wait_loadcnt_dscnt 0x0
	ds_store_b32 v26, v22
	v_cmp_gt_i64_e32 vcc_lo, s[36:37], v[24:25]
	s_and_b32 s29, vcc_lo, s1
	s_delay_alu instid0(SALU_CYCLE_1)
	s_and_saveexec_b32 s28, s29
	s_cbranch_execz .LBB221_6
; %bb.10:                               ;   in Loop: Header=BB221_7 Depth=2
	flat_load_i8 v23, v[18:19]
	s_branch .LBB221_6
.LBB221_11:                             ;   in Loop: Header=BB221_4 Depth=1
	s_wait_loadcnt 0x0
	v_add_nc_u64_e32 v[16:17], s[18:19], v[16:17]
	s_and_not1_b32 vcc_lo, exec_lo, s26
	s_cbranch_vccnz .LBB221_16
; %bb.12:                               ;   in Loop: Header=BB221_4 Depth=1
	s_wait_xcnt 0x0
	s_and_saveexec_b32 s24, s2
	s_cbranch_execz .LBB221_23
; %bb.13:                               ;   in Loop: Header=BB221_4 Depth=1
	v_add_nc_u64_e32 v[18:19], s[20:21], v[14:15]
	v_lshlrev_b64_e32 v[14:15], 2, v[10:11]
	v_lshl_add_u64 v[20:21], v[8:9], 2, v[16:17]
	s_delay_alu instid0(VALU_DEP_3) | instskip(NEXT) | instid1(VALU_DEP_2)
	v_lshl_add_u64 v[18:19], v[4:5], 2, v[18:19]
	v_add_nc_u64_e32 v[22:23], v[20:21], v[14:15]
	s_delay_alu instid0(VALU_DEP_2)
	v_add_nc_u64_e32 v[24:25], v[18:19], v[14:15]
	s_and_saveexec_b32 s25, s3
	s_cbranch_execnz .LBB221_17
; %bb.14:                               ;   in Loop: Header=BB221_4 Depth=1
	s_or_b32 exec_lo, exec_lo, s25
	s_and_saveexec_b32 s25, s4
	s_cbranch_execnz .LBB221_18
.LBB221_15:                             ;   in Loop: Header=BB221_4 Depth=1
	s_or_b32 exec_lo, exec_lo, s25
	s_delay_alu instid0(SALU_CYCLE_1)
	s_and_b32 exec_lo, exec_lo, s5
	s_cbranch_execnz .LBB221_19
	s_branch .LBB221_23
.LBB221_16:                             ;   in Loop: Header=BB221_4 Depth=1
	s_branch .LBB221_24
.LBB221_17:                             ;   in Loop: Header=BB221_4 Depth=1
	flat_load_b32 v34, v[24:25]
	v_mul_lo_u32 v35, v32, s38
	s_wait_loadcnt_dscnt 0x0
	s_delay_alu instid0(VALU_DEP_1)
	v_mad_u32 v34, v34, s39, v35
	flat_store_b32 v[22:23], v34
	s_wait_xcnt 0x0
	s_or_b32 exec_lo, exec_lo, s25
	s_and_saveexec_b32 s25, s4
	s_cbranch_execz .LBB221_15
.LBB221_18:                             ;   in Loop: Header=BB221_4 Depth=1
	flat_load_b32 v24, v[24:25] offset:64
	s_wait_xcnt 0x0
	v_mul_lo_u32 v25, v33, s38
	s_wait_loadcnt_dscnt 0x0
	s_delay_alu instid0(VALU_DEP_1) | instskip(SKIP_3) | instid1(SALU_CYCLE_1)
	v_mad_u32 v24, v24, s39, v25
	flat_store_b32 v[22:23], v24 offset:64
	s_wait_xcnt 0x0
	s_or_b32 exec_lo, exec_lo, s25
	s_and_b32 exec_lo, exec_lo, s5
	s_cbranch_execz .LBB221_23
.LBB221_19:                             ;   in Loop: Header=BB221_4 Depth=1
	v_lshl_add_u64 v[18:19], s[6:7], 2, v[18:19]
	v_lshl_add_u64 v[20:21], s[10:11], 2, v[20:21]
	s_delay_alu instid0(VALU_DEP_2) | instskip(NEXT) | instid1(VALU_DEP_2)
	v_add_nc_u64_e32 v[18:19], v[18:19], v[14:15]
	v_add_nc_u64_e32 v[14:15], v[20:21], v[14:15]
	s_and_saveexec_b32 s25, s3
	s_cbranch_execz .LBB221_21
; %bb.20:                               ;   in Loop: Header=BB221_4 Depth=1
	flat_load_b32 v20, v[18:19]
	v_mul_lo_u32 v21, v31, s38
	s_wait_loadcnt_dscnt 0x0
	s_delay_alu instid0(VALU_DEP_1)
	v_mad_u32 v20, v20, s39, v21
	flat_store_b32 v[14:15], v20
.LBB221_21:                             ;   in Loop: Header=BB221_4 Depth=1
	s_wait_xcnt 0x0
	s_or_b32 exec_lo, exec_lo, s25
	s_delay_alu instid0(SALU_CYCLE_1)
	s_and_b32 exec_lo, exec_lo, s4
	s_cbranch_execz .LBB221_23
; %bb.22:                               ;   in Loop: Header=BB221_4 Depth=1
	flat_load_b32 v18, v[18:19] offset:64
	s_wait_xcnt 0x0
	v_mul_lo_u32 v19, v30, s38
	s_wait_loadcnt_dscnt 0x0
	s_delay_alu instid0(VALU_DEP_1)
	v_mad_u32 v18, v18, s39, v19
	flat_store_b32 v[14:15], v18 offset:64
.LBB221_23:                             ;   in Loop: Header=BB221_4 Depth=1
	s_wait_xcnt 0x0
	s_or_b32 exec_lo, exec_lo, s24
	s_cbranch_execnz .LBB221_3
.LBB221_24:                             ;   in Loop: Header=BB221_4 Depth=1
	s_wait_xcnt 0x0
	s_and_saveexec_b32 s24, s2
	s_cbranch_execz .LBB221_2
; %bb.25:                               ;   in Loop: Header=BB221_4 Depth=1
	v_lshl_add_u64 v[14:15], v[8:9], 2, v[16:17]
	s_delay_alu instid0(VALU_DEP_1)
	v_lshl_add_u64 v[16:17], v[10:11], 2, v[14:15]
	s_and_saveexec_b32 s25, s3
	s_cbranch_execnz .LBB221_28
; %bb.26:                               ;   in Loop: Header=BB221_4 Depth=1
	s_or_b32 exec_lo, exec_lo, s25
	s_and_saveexec_b32 s25, s4
	s_cbranch_execnz .LBB221_29
.LBB221_27:                             ;   in Loop: Header=BB221_4 Depth=1
	s_or_b32 exec_lo, exec_lo, s25
	s_delay_alu instid0(SALU_CYCLE_1)
	s_and_b32 exec_lo, exec_lo, s5
	s_cbranch_execz .LBB221_2
	s_branch .LBB221_30
.LBB221_28:                             ;   in Loop: Header=BB221_4 Depth=1
	v_mul_lo_u32 v18, v32, s38
	flat_store_b32 v[16:17], v18
	s_wait_xcnt 0x0
	s_or_b32 exec_lo, exec_lo, s25
	s_and_saveexec_b32 s25, s4
	s_cbranch_execz .LBB221_27
.LBB221_29:                             ;   in Loop: Header=BB221_4 Depth=1
	v_mul_lo_u32 v18, v33, s38
	flat_store_b32 v[16:17], v18 offset:64
	s_wait_xcnt 0x0
	s_or_b32 exec_lo, exec_lo, s25
	s_delay_alu instid0(SALU_CYCLE_1)
	s_and_b32 exec_lo, exec_lo, s5
	s_cbranch_execz .LBB221_2
.LBB221_30:                             ;   in Loop: Header=BB221_4 Depth=1
	v_lshl_add_u64 v[14:15], s[10:11], 2, v[14:15]
	s_delay_alu instid0(VALU_DEP_1)
	v_lshl_add_u64 v[14:15], v[10:11], 2, v[14:15]
	s_and_saveexec_b32 s25, s3
	s_cbranch_execz .LBB221_32
; %bb.31:                               ;   in Loop: Header=BB221_4 Depth=1
	v_mul_lo_u32 v16, v31, s38
	flat_store_b32 v[14:15], v16
.LBB221_32:                             ;   in Loop: Header=BB221_4 Depth=1
	s_wait_xcnt 0x0
	s_or_b32 exec_lo, exec_lo, s25
	s_delay_alu instid0(SALU_CYCLE_1)
	s_and_b32 exec_lo, exec_lo, s4
	s_cbranch_execz .LBB221_2
; %bb.33:                               ;   in Loop: Header=BB221_4 Depth=1
	v_mul_lo_u32 v16, v30, s38
	flat_store_b32 v[14:15], v16 offset:64
	s_branch .LBB221_2
.LBB221_34:
	s_endpgm
	.section	.rodata,"a",@progbits
	.p2align	6, 0x0
	.amdhsa_kernel _ZN12_GLOBAL__N_135rocblas_gemm_batched_general_kernelIiLi16ELi16ELi32ELi32ELi8ELi32ELi8ELi8ELi32ELc84ELc67EKPKaKPKiKPiEEvlllT_PT11_llSB_llS9_PT12_llPT13_lli
		.amdhsa_group_segment_fixed_size 2048
		.amdhsa_private_segment_fixed_size 0
		.amdhsa_kernarg_size 140
		.amdhsa_user_sgpr_count 2
		.amdhsa_user_sgpr_dispatch_ptr 0
		.amdhsa_user_sgpr_queue_ptr 0
		.amdhsa_user_sgpr_kernarg_segment_ptr 1
		.amdhsa_user_sgpr_dispatch_id 0
		.amdhsa_user_sgpr_kernarg_preload_length 0
		.amdhsa_user_sgpr_kernarg_preload_offset 0
		.amdhsa_user_sgpr_private_segment_size 0
		.amdhsa_wavefront_size32 1
		.amdhsa_uses_dynamic_stack 0
		.amdhsa_enable_private_segment 0
		.amdhsa_system_sgpr_workgroup_id_x 1
		.amdhsa_system_sgpr_workgroup_id_y 1
		.amdhsa_system_sgpr_workgroup_id_z 1
		.amdhsa_system_sgpr_workgroup_info 0
		.amdhsa_system_vgpr_workitem_id 1
		.amdhsa_next_free_vgpr 52
		.amdhsa_next_free_sgpr 44
		.amdhsa_named_barrier_count 0
		.amdhsa_reserve_vcc 1
		.amdhsa_float_round_mode_32 0
		.amdhsa_float_round_mode_16_64 0
		.amdhsa_float_denorm_mode_32 3
		.amdhsa_float_denorm_mode_16_64 3
		.amdhsa_fp16_overflow 0
		.amdhsa_memory_ordered 1
		.amdhsa_forward_progress 1
		.amdhsa_inst_pref_size 16
		.amdhsa_round_robin_scheduling 0
		.amdhsa_exception_fp_ieee_invalid_op 0
		.amdhsa_exception_fp_denorm_src 0
		.amdhsa_exception_fp_ieee_div_zero 0
		.amdhsa_exception_fp_ieee_overflow 0
		.amdhsa_exception_fp_ieee_underflow 0
		.amdhsa_exception_fp_ieee_inexact 0
		.amdhsa_exception_int_div_zero 0
	.end_amdhsa_kernel
	.section	.text._ZN12_GLOBAL__N_135rocblas_gemm_batched_general_kernelIiLi16ELi16ELi32ELi32ELi8ELi32ELi8ELi8ELi32ELc84ELc67EKPKaKPKiKPiEEvlllT_PT11_llSB_llS9_PT12_llPT13_lli,"axG",@progbits,_ZN12_GLOBAL__N_135rocblas_gemm_batched_general_kernelIiLi16ELi16ELi32ELi32ELi8ELi32ELi8ELi8ELi32ELc84ELc67EKPKaKPKiKPiEEvlllT_PT11_llSB_llS9_PT12_llPT13_lli,comdat
.Lfunc_end221:
	.size	_ZN12_GLOBAL__N_135rocblas_gemm_batched_general_kernelIiLi16ELi16ELi32ELi32ELi8ELi32ELi8ELi8ELi32ELc84ELc67EKPKaKPKiKPiEEvlllT_PT11_llSB_llS9_PT12_llPT13_lli, .Lfunc_end221-_ZN12_GLOBAL__N_135rocblas_gemm_batched_general_kernelIiLi16ELi16ELi32ELi32ELi8ELi32ELi8ELi8ELi32ELc84ELc67EKPKaKPKiKPiEEvlllT_PT11_llSB_llS9_PT12_llPT13_lli
                                        ; -- End function
	.set _ZN12_GLOBAL__N_135rocblas_gemm_batched_general_kernelIiLi16ELi16ELi32ELi32ELi8ELi32ELi8ELi8ELi32ELc84ELc67EKPKaKPKiKPiEEvlllT_PT11_llSB_llS9_PT12_llPT13_lli.num_vgpr, 52
	.set _ZN12_GLOBAL__N_135rocblas_gemm_batched_general_kernelIiLi16ELi16ELi32ELi32ELi8ELi32ELi8ELi8ELi32ELc84ELc67EKPKaKPKiKPiEEvlllT_PT11_llSB_llS9_PT12_llPT13_lli.num_agpr, 0
	.set _ZN12_GLOBAL__N_135rocblas_gemm_batched_general_kernelIiLi16ELi16ELi32ELi32ELi8ELi32ELi8ELi8ELi32ELc84ELc67EKPKaKPKiKPiEEvlllT_PT11_llSB_llS9_PT12_llPT13_lli.numbered_sgpr, 44
	.set _ZN12_GLOBAL__N_135rocblas_gemm_batched_general_kernelIiLi16ELi16ELi32ELi32ELi8ELi32ELi8ELi8ELi32ELc84ELc67EKPKaKPKiKPiEEvlllT_PT11_llSB_llS9_PT12_llPT13_lli.num_named_barrier, 0
	.set _ZN12_GLOBAL__N_135rocblas_gemm_batched_general_kernelIiLi16ELi16ELi32ELi32ELi8ELi32ELi8ELi8ELi32ELc84ELc67EKPKaKPKiKPiEEvlllT_PT11_llSB_llS9_PT12_llPT13_lli.private_seg_size, 0
	.set _ZN12_GLOBAL__N_135rocblas_gemm_batched_general_kernelIiLi16ELi16ELi32ELi32ELi8ELi32ELi8ELi8ELi32ELc84ELc67EKPKaKPKiKPiEEvlllT_PT11_llSB_llS9_PT12_llPT13_lli.uses_vcc, 1
	.set _ZN12_GLOBAL__N_135rocblas_gemm_batched_general_kernelIiLi16ELi16ELi32ELi32ELi8ELi32ELi8ELi8ELi32ELc84ELc67EKPKaKPKiKPiEEvlllT_PT11_llSB_llS9_PT12_llPT13_lli.uses_flat_scratch, 0
	.set _ZN12_GLOBAL__N_135rocblas_gemm_batched_general_kernelIiLi16ELi16ELi32ELi32ELi8ELi32ELi8ELi8ELi32ELc84ELc67EKPKaKPKiKPiEEvlllT_PT11_llSB_llS9_PT12_llPT13_lli.has_dyn_sized_stack, 0
	.set _ZN12_GLOBAL__N_135rocblas_gemm_batched_general_kernelIiLi16ELi16ELi32ELi32ELi8ELi32ELi8ELi8ELi32ELc84ELc67EKPKaKPKiKPiEEvlllT_PT11_llSB_llS9_PT12_llPT13_lli.has_recursion, 0
	.set _ZN12_GLOBAL__N_135rocblas_gemm_batched_general_kernelIiLi16ELi16ELi32ELi32ELi8ELi32ELi8ELi8ELi32ELc84ELc67EKPKaKPKiKPiEEvlllT_PT11_llSB_llS9_PT12_llPT13_lli.has_indirect_call, 0
	.section	.AMDGPU.csdata,"",@progbits
; Kernel info:
; codeLenInByte = 1932
; TotalNumSgprs: 46
; NumVgprs: 52
; ScratchSize: 0
; MemoryBound: 0
; FloatMode: 240
; IeeeMode: 1
; LDSByteSize: 2048 bytes/workgroup (compile time only)
; SGPRBlocks: 0
; VGPRBlocks: 3
; NumSGPRsForWavesPerEU: 46
; NumVGPRsForWavesPerEU: 52
; NamedBarCnt: 0
; Occupancy: 16
; WaveLimiterHint : 1
; COMPUTE_PGM_RSRC2:SCRATCH_EN: 0
; COMPUTE_PGM_RSRC2:USER_SGPR: 2
; COMPUTE_PGM_RSRC2:TRAP_HANDLER: 0
; COMPUTE_PGM_RSRC2:TGID_X_EN: 1
; COMPUTE_PGM_RSRC2:TGID_Y_EN: 1
; COMPUTE_PGM_RSRC2:TGID_Z_EN: 1
; COMPUTE_PGM_RSRC2:TIDIG_COMP_CNT: 1
	.section	.text._ZN12_GLOBAL__N_120gemm_ex_scale_kernelILi32ELi32E19rocblas_complex_numIfEPKPKS2_PKPS2_EEviiT1_T2_lllT3_llli,"axG",@progbits,_ZN12_GLOBAL__N_120gemm_ex_scale_kernelILi32ELi32E19rocblas_complex_numIfEPKPKS2_PKPS2_EEviiT1_T2_lllT3_llli,comdat
	.globl	_ZN12_GLOBAL__N_120gemm_ex_scale_kernelILi32ELi32E19rocblas_complex_numIfEPKPKS2_PKPS2_EEviiT1_T2_lllT3_llli ; -- Begin function _ZN12_GLOBAL__N_120gemm_ex_scale_kernelILi32ELi32E19rocblas_complex_numIfEPKPKS2_PKPS2_EEviiT1_T2_lllT3_llli
	.p2align	8
	.type	_ZN12_GLOBAL__N_120gemm_ex_scale_kernelILi32ELi32E19rocblas_complex_numIfEPKPKS2_PKPS2_EEviiT1_T2_lllT3_llli,@function
_ZN12_GLOBAL__N_120gemm_ex_scale_kernelILi32ELi32E19rocblas_complex_numIfEPKPKS2_PKPS2_EEviiT1_T2_lllT3_llli: ; @_ZN12_GLOBAL__N_120gemm_ex_scale_kernelILi32ELi32E19rocblas_complex_numIfEPKPKS2_PKPS2_EEviiT1_T2_lllT3_llli
; %bb.0:
	s_load_b32 s16, s[0:1], 0x50
	s_bfe_u32 s2, ttmp6, 0x40014
	s_lshr_b32 s3, ttmp7, 16
	s_add_co_i32 s2, s2, 1
	s_bfe_u32 s4, ttmp6, 0x40008
	s_mul_i32 s2, s3, s2
	s_getreg_b32 s12, hwreg(HW_REG_IB_STS2, 6, 4)
	s_add_co_i32 s4, s4, s2
	s_cmp_eq_u32 s12, 0
	s_cselect_b32 s2, s3, s4
	s_mov_b32 s3, 0
	s_wait_kmcnt 0x0
	s_cmp_ge_u32 s2, s16
	s_cbranch_scc1 .LBB222_9
; %bb.1:
	s_clause 0x2
	s_load_b256 s[4:11], s[0:1], 0x0
	s_load_b64 s[18:19], s[0:1], 0x20
	s_load_b64 s[20:21], s[0:1], 0x40
	v_bfe_u32 v2, v0, 10, 10
	v_mov_b32_e32 v1, 0
	v_and_b32_e32 v0, 0x3ff, v0
	s_delay_alu instid0(VALU_DEP_2)
	v_mov_b32_e32 v7, v1
	s_wait_kmcnt 0x0
	s_cmp_neq_f32 s7, 0
	s_cselect_b32 s13, -1, 0
	s_cmp_neq_f32 s6, 0
	s_cselect_b32 s14, -1, 0
	s_bfe_u32 s22, ttmp6, 0x40010
	s_bfe_u32 s25, ttmp6, 0x4000c
	s_and_b32 s15, ttmp7, 0xffff
	s_add_co_i32 s22, s22, 1
	s_add_co_i32 s25, s25, 1
	s_bfe_u32 s23, ttmp6, 0x40004
	s_and_b32 s24, ttmp6, 15
	s_or_b32 s17, s14, s13
	s_mul_i32 s13, s15, s22
	s_mul_i32 s14, ttmp9, s25
	s_add_co_i32 s23, s23, s13
	s_add_co_i32 s24, s24, s14
	s_cmp_eq_u32 s12, 0
	s_cselect_b32 s12, s15, s23
	s_delay_alu instid0(SALU_CYCLE_1)
	v_lshl_add_u32 v6, s12, 5, v2
	s_load_b128 s[12:15], s[0:1], 0x30
	s_wait_xcnt 0x0
	s_cselect_b32 s0, ttmp9, s24
	s_or_b32 s1, s6, s7
	v_lshl_add_u32 v0, s0, 5, v0
	v_mul_u64_e32 v[2:3], s[18:19], v[6:7]
	v_mul_u64_e32 v[4:5], s[20:21], v[6:7]
	v_cmp_gt_u32_e64 s0, s5, v6
	s_bitset0_b32 s1, 31
	v_cmp_gt_u32_e32 vcc_lo, s4, v0
	s_and_b32 s18, vcc_lo, s0
	s_cmp_lg_u32 s1, 0
	s_mov_b32 s0, s6
	s_mov_b32 s1, s6
	s_cselect_b32 s19, -1, 0
	s_mov_b32 s6, s7
	s_lshl_b64 s[4:5], s[10:11], 3
	s_wait_kmcnt 0x0
	s_lshl_b64 s[10:11], s[14:15], 3
	s_branch .LBB222_4
.LBB222_2:                              ;   in Loop: Header=BB222_4 Depth=1
	s_wait_loadcnt 0x0
	s_wait_xcnt 0x0
	v_add_nc_u64_e32 v[6:7], s[10:11], v[8:9]
	s_delay_alu instid0(VALU_DEP_1) | instskip(NEXT) | instid1(VALU_DEP_1)
	v_lshl_add_u64 v[6:7], v[4:5], 3, v[6:7]
	v_lshl_add_u64 v[6:7], v[0:1], 3, v[6:7]
	flat_store_b64 v[6:7], v[10:11]
.LBB222_3:                              ;   in Loop: Header=BB222_4 Depth=1
	s_wait_xcnt 0x0
	s_or_b32 exec_lo, exec_lo, s14
	s_add_co_i32 s2, s2, 0x10000
	s_delay_alu instid0(SALU_CYCLE_1)
	s_cmp_lt_u32 s2, s16
	s_cbranch_scc0 .LBB222_9
.LBB222_4:                              ; =>This Inner Loop Header: Depth=1
	v_mov_b64_e32 v[6:7], 0
	s_and_not1_b32 vcc_lo, exec_lo, s17
	s_cbranch_vccz .LBB222_6
; %bb.5:                                ;   in Loop: Header=BB222_4 Depth=1
	s_and_saveexec_b32 s14, s18
	s_cbranch_execz .LBB222_3
	s_branch .LBB222_7
.LBB222_6:                              ;   in Loop: Header=BB222_4 Depth=1
	s_lshl_b64 s[14:15], s[2:3], 3
	s_delay_alu instid0(SALU_CYCLE_1)
	s_add_nc_u64 s[14:15], s[8:9], s[14:15]
	global_load_b64 v[6:7], v1, s[14:15]
	s_wait_loadcnt 0x0
	v_add_nc_u64_e32 v[6:7], s[4:5], v[6:7]
	s_wait_xcnt 0x0
	s_and_saveexec_b32 s14, s18
	s_cbranch_execz .LBB222_3
.LBB222_7:                              ;   in Loop: Header=BB222_4 Depth=1
	v_dual_mov_b32 v10, 0 :: v_dual_mov_b32 v11, 0
	s_lshl_b64 s[20:21], s[2:3], 3
	s_and_not1_b32 vcc_lo, exec_lo, s19
	s_add_nc_u64 s[20:21], s[12:13], s[20:21]
	global_load_b64 v[8:9], v10, s[20:21]
	s_cbranch_vccnz .LBB222_2
; %bb.8:                                ;   in Loop: Header=BB222_4 Depth=1
	v_lshl_add_u64 v[6:7], v[2:3], 3, v[6:7]
	s_wait_xcnt 0x0
	v_mov_b64_e32 v[10:11], s[6:7]
	v_mov_b64_e32 v[12:13], s[0:1]
	s_delay_alu instid0(VALU_DEP_3) | instskip(SKIP_3) | instid1(VALU_DEP_1)
	v_lshl_add_u64 v[6:7], v[0:1], 3, v[6:7]
	flat_load_b64 v[6:7], v[6:7]
	s_wait_loadcnt_dscnt 0x0
	v_pk_mul_f32 v[10:11], v[6:7], v[10:11] op_sel:[1,0] op_sel_hi:[0,1]
	v_pk_fma_f32 v[14:15], v[6:7], v[12:13], v[10:11]
	v_pk_fma_f32 v[10:11], v[6:7], v[12:13], v[10:11] neg_lo:[0,0,1] neg_hi:[0,0,1]
	s_delay_alu instid0(VALU_DEP_2)
	v_mov_b32_e32 v11, v15
	s_branch .LBB222_2
.LBB222_9:
	s_endpgm
	.section	.rodata,"a",@progbits
	.p2align	6, 0x0
	.amdhsa_kernel _ZN12_GLOBAL__N_120gemm_ex_scale_kernelILi32ELi32E19rocblas_complex_numIfEPKPKS2_PKPS2_EEviiT1_T2_lllT3_llli
		.amdhsa_group_segment_fixed_size 0
		.amdhsa_private_segment_fixed_size 0
		.amdhsa_kernarg_size 84
		.amdhsa_user_sgpr_count 2
		.amdhsa_user_sgpr_dispatch_ptr 0
		.amdhsa_user_sgpr_queue_ptr 0
		.amdhsa_user_sgpr_kernarg_segment_ptr 1
		.amdhsa_user_sgpr_dispatch_id 0
		.amdhsa_user_sgpr_kernarg_preload_length 0
		.amdhsa_user_sgpr_kernarg_preload_offset 0
		.amdhsa_user_sgpr_private_segment_size 0
		.amdhsa_wavefront_size32 1
		.amdhsa_uses_dynamic_stack 0
		.amdhsa_enable_private_segment 0
		.amdhsa_system_sgpr_workgroup_id_x 1
		.amdhsa_system_sgpr_workgroup_id_y 1
		.amdhsa_system_sgpr_workgroup_id_z 1
		.amdhsa_system_sgpr_workgroup_info 0
		.amdhsa_system_vgpr_workitem_id 1
		.amdhsa_next_free_vgpr 16
		.amdhsa_next_free_sgpr 26
		.amdhsa_named_barrier_count 0
		.amdhsa_reserve_vcc 1
		.amdhsa_float_round_mode_32 0
		.amdhsa_float_round_mode_16_64 0
		.amdhsa_float_denorm_mode_32 3
		.amdhsa_float_denorm_mode_16_64 3
		.amdhsa_fp16_overflow 0
		.amdhsa_memory_ordered 1
		.amdhsa_forward_progress 1
		.amdhsa_inst_pref_size 5
		.amdhsa_round_robin_scheduling 0
		.amdhsa_exception_fp_ieee_invalid_op 0
		.amdhsa_exception_fp_denorm_src 0
		.amdhsa_exception_fp_ieee_div_zero 0
		.amdhsa_exception_fp_ieee_overflow 0
		.amdhsa_exception_fp_ieee_underflow 0
		.amdhsa_exception_fp_ieee_inexact 0
		.amdhsa_exception_int_div_zero 0
	.end_amdhsa_kernel
	.section	.text._ZN12_GLOBAL__N_120gemm_ex_scale_kernelILi32ELi32E19rocblas_complex_numIfEPKPKS2_PKPS2_EEviiT1_T2_lllT3_llli,"axG",@progbits,_ZN12_GLOBAL__N_120gemm_ex_scale_kernelILi32ELi32E19rocblas_complex_numIfEPKPKS2_PKPS2_EEviiT1_T2_lllT3_llli,comdat
.Lfunc_end222:
	.size	_ZN12_GLOBAL__N_120gemm_ex_scale_kernelILi32ELi32E19rocblas_complex_numIfEPKPKS2_PKPS2_EEviiT1_T2_lllT3_llli, .Lfunc_end222-_ZN12_GLOBAL__N_120gemm_ex_scale_kernelILi32ELi32E19rocblas_complex_numIfEPKPKS2_PKPS2_EEviiT1_T2_lllT3_llli
                                        ; -- End function
	.set _ZN12_GLOBAL__N_120gemm_ex_scale_kernelILi32ELi32E19rocblas_complex_numIfEPKPKS2_PKPS2_EEviiT1_T2_lllT3_llli.num_vgpr, 16
	.set _ZN12_GLOBAL__N_120gemm_ex_scale_kernelILi32ELi32E19rocblas_complex_numIfEPKPKS2_PKPS2_EEviiT1_T2_lllT3_llli.num_agpr, 0
	.set _ZN12_GLOBAL__N_120gemm_ex_scale_kernelILi32ELi32E19rocblas_complex_numIfEPKPKS2_PKPS2_EEviiT1_T2_lllT3_llli.numbered_sgpr, 26
	.set _ZN12_GLOBAL__N_120gemm_ex_scale_kernelILi32ELi32E19rocblas_complex_numIfEPKPKS2_PKPS2_EEviiT1_T2_lllT3_llli.num_named_barrier, 0
	.set _ZN12_GLOBAL__N_120gemm_ex_scale_kernelILi32ELi32E19rocblas_complex_numIfEPKPKS2_PKPS2_EEviiT1_T2_lllT3_llli.private_seg_size, 0
	.set _ZN12_GLOBAL__N_120gemm_ex_scale_kernelILi32ELi32E19rocblas_complex_numIfEPKPKS2_PKPS2_EEviiT1_T2_lllT3_llli.uses_vcc, 1
	.set _ZN12_GLOBAL__N_120gemm_ex_scale_kernelILi32ELi32E19rocblas_complex_numIfEPKPKS2_PKPS2_EEviiT1_T2_lllT3_llli.uses_flat_scratch, 0
	.set _ZN12_GLOBAL__N_120gemm_ex_scale_kernelILi32ELi32E19rocblas_complex_numIfEPKPKS2_PKPS2_EEviiT1_T2_lllT3_llli.has_dyn_sized_stack, 0
	.set _ZN12_GLOBAL__N_120gemm_ex_scale_kernelILi32ELi32E19rocblas_complex_numIfEPKPKS2_PKPS2_EEviiT1_T2_lllT3_llli.has_recursion, 0
	.set _ZN12_GLOBAL__N_120gemm_ex_scale_kernelILi32ELi32E19rocblas_complex_numIfEPKPKS2_PKPS2_EEviiT1_T2_lllT3_llli.has_indirect_call, 0
	.section	.AMDGPU.csdata,"",@progbits
; Kernel info:
; codeLenInByte = 584
; TotalNumSgprs: 28
; NumVgprs: 16
; ScratchSize: 0
; MemoryBound: 0
; FloatMode: 240
; IeeeMode: 1
; LDSByteSize: 0 bytes/workgroup (compile time only)
; SGPRBlocks: 0
; VGPRBlocks: 0
; NumSGPRsForWavesPerEU: 28
; NumVGPRsForWavesPerEU: 16
; NamedBarCnt: 0
; Occupancy: 16
; WaveLimiterHint : 1
; COMPUTE_PGM_RSRC2:SCRATCH_EN: 0
; COMPUTE_PGM_RSRC2:USER_SGPR: 2
; COMPUTE_PGM_RSRC2:TRAP_HANDLER: 0
; COMPUTE_PGM_RSRC2:TGID_X_EN: 1
; COMPUTE_PGM_RSRC2:TGID_Y_EN: 1
; COMPUTE_PGM_RSRC2:TGID_Z_EN: 1
; COMPUTE_PGM_RSRC2:TIDIG_COMP_CNT: 1
	.section	.text._ZN12_GLOBAL__N_127rocblas_gemm_batched_kernelI19rocblas_complex_numIfELi16ELi16ELi64ELi64ELi4ELi64ELi4ELi4ELi64ELc78ELc78EKPKS2_S5_KPS2_EEvlllT_PT11_llSA_llS8_PT12_llPT13_lli,"axG",@progbits,_ZN12_GLOBAL__N_127rocblas_gemm_batched_kernelI19rocblas_complex_numIfELi16ELi16ELi64ELi64ELi4ELi64ELi4ELi4ELi64ELc78ELc78EKPKS2_S5_KPS2_EEvlllT_PT11_llSA_llS8_PT12_llPT13_lli,comdat
	.globl	_ZN12_GLOBAL__N_127rocblas_gemm_batched_kernelI19rocblas_complex_numIfELi16ELi16ELi64ELi64ELi4ELi64ELi4ELi4ELi64ELc78ELc78EKPKS2_S5_KPS2_EEvlllT_PT11_llSA_llS8_PT12_llPT13_lli ; -- Begin function _ZN12_GLOBAL__N_127rocblas_gemm_batched_kernelI19rocblas_complex_numIfELi16ELi16ELi64ELi64ELi4ELi64ELi4ELi4ELi64ELc78ELc78EKPKS2_S5_KPS2_EEvlllT_PT11_llSA_llS8_PT12_llPT13_lli
	.p2align	8
	.type	_ZN12_GLOBAL__N_127rocblas_gemm_batched_kernelI19rocblas_complex_numIfELi16ELi16ELi64ELi64ELi4ELi64ELi4ELi4ELi64ELc78ELc78EKPKS2_S5_KPS2_EEvlllT_PT11_llSA_llS8_PT12_llPT13_lli,@function
_ZN12_GLOBAL__N_127rocblas_gemm_batched_kernelI19rocblas_complex_numIfELi16ELi16ELi64ELi64ELi4ELi64ELi4ELi4ELi64ELc78ELc78EKPKS2_S5_KPS2_EEvlllT_PT11_llSA_llS8_PT12_llPT13_lli: ; @_ZN12_GLOBAL__N_127rocblas_gemm_batched_kernelI19rocblas_complex_numIfELi16ELi16ELi64ELi64ELi4ELi64ELi4ELi4ELi64ELc78ELc78EKPKS2_S5_KPS2_EEvlllT_PT11_llSA_llS8_PT12_llPT13_lli
; %bb.0:
	s_load_b32 s33, s[0:1], 0x88
	s_bfe_u32 s2, ttmp6, 0x40014
	s_lshr_b32 s3, ttmp7, 16
	s_add_co_i32 s2, s2, 1
	s_bfe_u32 s4, ttmp6, 0x40008
	s_mul_i32 s2, s3, s2
	s_getreg_b32 s20, hwreg(HW_REG_IB_STS2, 6, 4)
	s_add_co_i32 s4, s4, s2
	s_cmp_eq_u32 s20, 0
	s_cselect_b32 s2, s3, s4
	s_mov_b32 s3, 0
	s_wait_kmcnt 0x0
	s_cmp_ge_i32 s2, s33
	s_cbranch_scc1 .LBB223_10
; %bb.1:
	v_bfe_u32 v20, v0, 10, 10
	v_and_b32_e32 v2, 0x3ff, v0
	s_bfe_u32 s21, ttmp6, 0x4000c
	s_bfe_u32 s23, ttmp6, 0x40010
	s_clause 0x3
	s_load_b256 s[4:11], s[0:1], 0x20
	s_load_b128 s[24:27], s[0:1], 0x78
	s_load_b128 s[28:31], s[0:1], 0x40
	s_load_b64 s[34:35], s[0:1], 0x50
	s_add_co_i32 s21, s21, 1
	s_and_b32 s36, ttmp7, 0xffff
	s_add_co_i32 s23, s23, 1
	v_lshl_add_u32 v1, v20, 4, v2
	v_mov_b32_e32 v21, 0
	s_and_b32 s22, ttmp6, 15
	s_mul_i32 s21, ttmp9, s21
	s_mul_i32 s23, s36, s23
	s_bfe_u32 s37, ttmp6, 0x40004
	s_add_co_i32 s22, s22, s21
	s_add_co_i32 s37, s37, s23
	s_cmp_eq_u32 s20, 0
	v_dual_lshrrev_b32 v9, 6, v1 :: v_dual_bitop2_b32 v4, 63, v1 bitop3:0x40
	v_dual_mov_b32 v7, v21 :: v_dual_lshrrev_b32 v6, 2, v1
	v_lshlrev_b32_e32 v3, 3, v0
	s_cselect_b32 s20, s36, s37
	s_cselect_b32 s36, ttmp9, s22
	s_lshl_b32 s38, s20, 6
	s_mov_b32 s39, s3
	s_load_b256 s[12:19], s[0:1], 0x58
	v_add_nc_u64_e32 v[0:1], s[38:39], v[6:7]
	s_ashr_i32 s37, s36, 31
	v_dual_lshlrev_b32 v7, 3, v4 :: v_dual_bitop2_b32 v8, 24, v3 bitop3:0x40
	s_lshl_b64 s[36:37], s[36:37], 6
	s_load_b128 s[20:23], s[0:1], 0x10
	s_wait_kmcnt 0x0
	v_mad_nc_u64_u32 v[10:11], s6, v9, s[36:37]
	v_mul_u64_e32 v[0:1], s[28:29], v[0:1]
	v_lshl_or_b32 v12, v6, 5, v8
	v_lshl_or_b32 v35, v9, 9, v7
	v_add_nc_u64_e32 v[6:7], s[38:39], v[20:21]
	v_dual_mov_b32 v3, v21 :: v_dual_mov_b32 v5, v21
	s_or_b32 s0, s34, s35
	v_lshlrev_b32_e32 v39, 3, v2
	s_bitset0_b32 s0, 31
	s_delay_alu instid0(VALU_DEP_2) | instskip(NEXT) | instid1(VALU_DEP_4)
	v_add_nc_u64_e32 v[26:27], s[36:37], v[2:3]
	v_mul_u64_e32 v[22:23], s[24:25], v[6:7]
	v_mad_u32 v11, s7, v9, v11
	v_mul_u64_e32 v[24:25], s[14:15], v[6:7]
	s_cmp_eq_u32 s0, 0
	v_mov_b32_e32 v9, v21
	s_cselect_b32 s1, -1, 0
	s_lshl_b64 s[30:31], s[30:31], 3
	v_add_nc_u32_e32 v37, 0x800, v12
	v_cmp_gt_i64_e64 s0, s[20:21], 0
	v_lshl_add_u32 v41, v20, 5, 0x800
	s_lshl_b64 s[40:41], s[24:25], 4
	s_lshl_b64 s[42:43], s[14:15], 4
	v_add_nc_u64_e32 v[2:3], v[10:11], v[4:5]
	s_mov_b32 s28, s23
	s_mov_b32 s29, s22
	v_cndmask_b32_e64 v4, 0, 1, s0
	s_mov_b32 s14, s23
	s_mov_b32 s15, s35
	s_mov_b32 s24, s22
	v_lshlrev_b64_e32 v[2:3], 3, v[2:3]
	v_cmp_ne_u32_e64 s0, 1, v4
	s_mov_b32 s25, s34
	v_lshl_add_u64 v[0:1], v[0:1], 3, s[30:31]
	s_mov_b32 s36, s34
	s_mov_b32 s37, s34
	;; [unrolled: 1-line block ×3, first 2 shown]
	v_lshl_add_u64 v[28:29], s[8:9], 3, v[2:3]
	v_add_nc_u64_e32 v[30:31], v[0:1], v[8:9]
	s_mov_b32 s39, s35
	s_lshl_b64 s[6:7], s[6:7], 5
	s_lshl_b64 s[8:9], s[26:27], 3
	;; [unrolled: 1-line block ×5, first 2 shown]
	s_branch .LBB223_3
.LBB223_2:                              ;   in Loop: Header=BB223_3 Depth=1
	s_add_co_i32 s2, s2, 0x10000
	flat_store_b32 v[2:3], v4 offset:4
	s_cmp_lt_i32 s2, s33
	s_cbranch_scc0 .LBB223_10
.LBB223_3:                              ; =>This Loop Header: Depth=1
                                        ;     Child Loop BB223_5 Depth 2
	s_wait_xcnt 0x1
	v_dual_mov_b32 v0, s2 :: v_dual_mov_b32 v33, 0
	v_dual_mov_b32 v32, 0 :: v_dual_mov_b32 v90, 0
	v_dual_mov_b32 v94, 0 :: v_dual_mov_b32 v86, 0
	s_clause 0x1
	global_load_b64 v[68:69], v0, s[12:13] scale_offset
	global_load_b64 v[92:93], v0, s[18:19] scale_offset
	v_dual_mov_b32 v88, 0 :: v_dual_mov_b32 v82, 0
	v_dual_mov_b32 v84, 0 :: v_dual_mov_b32 v78, 0
	v_dual_mov_b32 v80, 0 :: v_dual_mov_b32 v76, 0
	v_dual_mov_b32 v74, 0 :: v_dual_mov_b32 v70, 0
	v_dual_mov_b32 v72, 0 :: v_dual_mov_b32 v64, 0
	v_dual_mov_b32 v66, 0 :: v_dual_mov_b32 v60, 0
	v_dual_mov_b32 v62, 0 :: v_dual_mov_b32 v56, 0
	v_dual_mov_b32 v58, 0 :: v_dual_mov_b32 v52, 0
	v_dual_mov_b32 v54, 0 :: v_dual_mov_b32 v48, 0
	v_dual_mov_b32 v50, 0 :: v_dual_mov_b32 v44, 0
	v_dual_mov_b32 v46, 0 :: v_dual_mov_b32 v40, 0
	v_dual_mov_b32 v42, 0 :: v_dual_mov_b32 v36, 0
	v_dual_mov_b32 v38, 0 :: v_dual_mov_b32 v20, 0
	v_mov_b32_e32 v34, 0
	s_and_b32 vcc_lo, exec_lo, s0
	s_cbranch_vccnz .LBB223_6
; %bb.4:                                ;   in Loop: Header=BB223_3 Depth=1
	s_lshl_b64 s[40:41], s[2:3], 3
	v_dual_mov_b32 v34, 0 :: v_dual_mov_b32 v20, 0
	s_add_nc_u64 s[42:43], s[4:5], s[40:41]
	s_add_nc_u64 s[40:41], s[10:11], s[40:41]
	s_clause 0x1
	global_load_b64 v[0:1], v21, s[42:43]
	global_load_b64 v[2:3], v21, s[40:41]
	v_dual_mov_b32 v38, 0 :: v_dual_mov_b32 v36, 0
	v_dual_mov_b32 v42, 0 :: v_dual_mov_b32 v40, 0
	;; [unrolled: 1-line block ×15, first 2 shown]
	s_wait_xcnt 0x0
	s_mov_b64 s[40:41], 0
	s_wait_loadcnt 0x1
	v_add_nc_u64_e32 v[96:97], v[0:1], v[28:29]
	s_wait_loadcnt 0x0
	v_add_nc_u64_e32 v[98:99], v[2:3], v[30:31]
.LBB223_5:                              ;   Parent Loop BB223_3 Depth=1
                                        ; =>  This Inner Loop Header: Depth=2
	flat_load_b64 v[0:1], v[96:97]
	s_add_nc_u64 s[40:41], s[40:41], 4
	s_wait_xcnt 0x0
	v_add_nc_u64_e32 v[96:97], s[6:7], v[96:97]
	v_cmp_lt_i64_e64 s42, s[40:41], s[20:21]
	s_and_b32 vcc_lo, exec_lo, s42
	s_wait_loadcnt_dscnt 0x0
	ds_store_b64 v35, v[0:1]
	flat_load_b64 v[0:1], v[98:99]
	s_wait_xcnt 0x0
	v_add_nc_u64_e32 v[98:99], 32, v[98:99]
	s_wait_loadcnt_dscnt 0x0
	ds_store_b64 v37, v[0:1]
	s_wait_dscnt 0x0
	s_barrier_signal -1
	s_barrier_wait -1
	ds_load_2addr_b64 v[0:3], v39 offset1:16
	ds_load_b128 v[8:11], v41
	ds_load_2addr_b64 v[4:7], v39 offset0:32 offset1:48
	ds_load_2addr_b64 v[12:15], v39 offset0:64 offset1:80
	;; [unrolled: 1-line block ×3, first 2 shown]
	ds_load_b128 v[100:103], v41 offset:16
	ds_load_2addr_b64 v[104:107], v39 offset0:128 offset1:144
	ds_load_2addr_b64 v[108:111], v39 offset0:160 offset1:176
	;; [unrolled: 1-line block ×4, first 2 shown]
	ds_load_b128 v[120:123], v41 offset:512
	ds_load_b128 v[124:127], v41 offset:528
	;; [unrolled: 1-line block ×6, first 2 shown]
	s_wait_dscnt 0x0
	s_barrier_signal -1
	s_barrier_wait -1
	v_dual_mul_f32 v43, v9, v1 :: v_dual_mul_f32 v45, v8, v1
	v_dual_mul_f32 v47, v9, v3 :: v_dual_mul_f32 v49, v8, v3
	;; [unrolled: 1-line block ×27, first 2 shown]
	v_dual_fma_f32 v43, v8, v0, -v43 :: v_dual_fmac_f32 v45, v9, v0
	v_dual_fma_f32 v47, v8, v2, -v47 :: v_dual_fmac_f32 v49, v9, v2
	;; [unrolled: 1-line block ×6, first 2 shown]
	v_dual_fma_f32 v67, v10, v16, -v67 :: v_dual_fma_f32 v73, v10, v18, -v73
	v_dual_fmac_f32 v71, v11, v16 :: v_dual_mul_f32 v171, v138, v13
	v_dual_fmac_f32 v75, v11, v18 :: v_dual_fma_f32 v77, v120, v0, -v77
	v_pk_mul_f32 v[8:9], v[136:137], v[6:7] op_sel:[1,1] op_sel_hi:[0,1]
	v_dual_mul_f32 v5, v139, v13 :: v_dual_fmac_f32 v79, v121, v0
	v_dual_mov_b32 v10, v139 :: v_dual_mov_b32 v11, v138
	v_dual_fma_f32 v81, v120, v2, -v81 :: v_dual_fmac_f32 v83, v121, v2
	v_dual_fma_f32 v85, v120, v4, -v85 :: v_dual_fmac_f32 v87, v121, v4
	v_dual_fma_f32 v89, v120, v6, -v89 :: v_dual_fmac_f32 v91, v121, v6
	v_dual_fma_f32 v95, v122, v12, -v95 :: v_dual_fmac_f32 v144, v123, v12
	v_dual_fma_f32 v120, v122, v14, -v145 :: v_dual_fmac_f32 v146, v123, v14
	v_dual_fma_f32 v121, v122, v16, -v147 :: v_dual_fmac_f32 v148, v123, v16
	v_dual_fma_f32 v122, v122, v18, -v149 :: v_dual_fmac_f32 v150, v123, v18
	v_dual_fma_f32 v145, v128, v0, -v151 :: v_dual_fmac_f32 v152, v129, v0
	v_dual_fma_f32 v147, v128, v2, -v153 :: v_dual_fmac_f32 v154, v129, v2
	v_dual_fma_f32 v149, v128, v4, -v155 :: v_dual_fmac_f32 v156, v129, v4
	v_dual_fma_f32 v128, v128, v6, -v157 :: v_dual_fmac_f32 v158, v129, v6
	v_dual_fma_f32 v129, v130, v12, -v159 :: v_dual_fmac_f32 v160, v131, v12
	v_dual_fma_f32 v151, v130, v14, -v161 :: v_dual_fmac_f32 v162, v131, v14
	v_dual_fma_f32 v153, v130, v16, -v163 :: v_dual_fmac_f32 v164, v131, v16
	v_dual_fma_f32 v130, v130, v18, -v165 :: v_dual_fmac_f32 v166, v131, v18
	v_dual_fma_f32 v157, v136, v0, -v167 :: v_dual_fmac_f32 v168, v137, v0
	v_dual_fma_f32 v159, v136, v2, -v1 :: v_dual_mul_f32 v161, v101, v107
	v_dual_fmac_f32 v169, v137, v2 :: v_dual_mul_f32 v163, v100, v107
	v_dual_fma_f32 v165, v136, v4, -v3 :: v_dual_fmac_f32 v170, v137, v4
	v_pk_fma_f32 v[0:1], v[136:137], v[6:7], v[8:9] neg_lo:[0,0,1] neg_hi:[0,0,1]
	v_pk_fma_f32 v[2:3], v[136:137], v[6:7], v[8:9] op_sel_hi:[1,0,1]
	v_dual_fma_f32 v137, v138, v12, -v5 :: v_dual_fmac_f32 v171, v139, v12
	v_pk_mul_f32 v[4:5], v[10:11], v[18:19] op_sel:[0,1]
	v_dual_mul_f32 v13, v139, v15 :: v_dual_mul_f32 v123, v138, v15
	v_dual_mul_f32 v15, v139, v17 :: v_dual_mul_f32 v17, v138, v17
	s_delay_alu instid0(VALU_DEP_3)
	v_pk_fma_f32 v[6:7], v[138:139], v[18:19], v[4:5] neg_lo:[0,0,1] neg_hi:[0,0,1]
	v_pk_fma_f32 v[4:5], v[138:139], v[18:19], v[4:5] op_sel_hi:[1,0,1]
	v_dual_mul_f32 v131, v101, v105 :: v_dual_mul_f32 v155, v100, v105
	v_dual_mul_f32 v1, v101, v109 :: v_dual_mul_f32 v2, v100, v109
	;; [unrolled: 1-line block ×4, first 2 shown]
	v_dual_mul_f32 v136, v100, v111 :: v_dual_fma_f32 v167, v138, v14, -v13
	v_fmac_f32_e32 v123, v139, v14
	v_dual_mul_f32 v9, v103, v113 :: v_dual_mul_f32 v172, v102, v113
	v_dual_fma_f32 v173, v138, v16, -v15 :: v_dual_fmac_f32 v17, v139, v16
	v_mul_f32_e32 v16, v102, v115
	v_dual_mul_f32 v10, v103, v119 :: v_dual_mul_f32 v19, v102, v119
	v_dual_fma_f32 v131, v100, v104, -v131 :: v_dual_fma_f32 v139, v100, v106, -v161
	v_dual_fmac_f32 v163, v101, v106 :: v_dual_fma_f32 v161, v100, v108, -v1
	v_dual_fma_f32 v4, v102, v114, -v4 :: v_dual_fma_f32 v174, v102, v116, -v7
	v_dual_mul_f32 v1, v125, v107 :: v_dual_mul_f32 v7, v125, v109
	v_mul_f32_e32 v175, v124, v109
	v_dual_mul_f32 v11, v125, v105 :: v_dual_mul_f32 v138, v124, v105
	v_dual_fmac_f32 v155, v101, v104 :: v_dual_fma_f32 v100, v100, v110, -v8
	v_dual_fmac_f32 v2, v101, v108 :: v_dual_fmac_f32 v136, v101, v110
	v_dual_fma_f32 v101, v102, v112, -v9 :: v_dual_fmac_f32 v172, v103, v112
	v_dual_fmac_f32 v16, v103, v114 :: v_dual_fmac_f32 v18, v103, v116
	v_dual_fma_f32 v102, v102, v118, -v10 :: v_dual_fmac_f32 v19, v103, v118
	v_dual_mul_f32 v103, v124, v107 :: v_dual_fma_f32 v177, v124, v106, -v1
	v_dual_fma_f32 v178, v124, v108, -v7 :: v_dual_mul_f32 v1, v125, v111
	v_dual_fma_f32 v176, v124, v104, -v11 :: v_dual_fmac_f32 v138, v125, v104
	v_fmac_f32_e32 v175, v125, v108
	s_delay_alu instid0(VALU_DEP_4) | instskip(NEXT) | instid1(VALU_DEP_4)
	v_fmac_f32_e32 v103, v125, v106
	v_dual_fma_f32 v179, v124, v110, -v1 :: v_dual_mul_f32 v124, v124, v111
	v_dual_mul_f32 v1, v127, v113 :: v_dual_mul_f32 v180, v126, v113
	v_dual_mul_f32 v182, v126, v115 :: v_dual_mul_f32 v184, v126, v117
	s_delay_alu instid0(VALU_DEP_2) | instskip(NEXT) | instid1(VALU_DEP_3)
	v_dual_fmac_f32 v124, v125, v110 :: v_dual_fma_f32 v125, v126, v112, -v1
	v_dual_mul_f32 v1, v127, v115 :: v_dual_fmac_f32 v180, v127, v112
	v_dual_mul_f32 v186, v132, v105 :: v_dual_mul_f32 v188, v132, v107
	s_delay_alu instid0(VALU_DEP_2) | instskip(SKIP_3) | instid1(VALU_DEP_3)
	v_dual_mul_f32 v190, v132, v109 :: v_dual_fma_f32 v181, v126, v114, -v1
	v_dual_mul_f32 v1, v127, v117 :: v_dual_fmac_f32 v182, v127, v114
	v_dual_mul_f32 v192, v134, v113 :: v_dual_mul_f32 v194, v134, v115
	v_mul_f32_e32 v196, v134, v117
	v_dual_fma_f32 v183, v126, v116, -v1 :: v_dual_mul_f32 v1, v127, v119
	v_fmac_f32_e32 v184, v127, v116
	v_pk_mul_f32 v[8:9], v[140:141], v[110:111] op_sel:[1,1] op_sel_hi:[0,1]
	v_dual_mov_b32 v12, v143 :: v_dual_mov_b32 v13, v142
	s_delay_alu instid0(VALU_DEP_4) | instskip(SKIP_1) | instid1(VALU_DEP_4)
	v_dual_fma_f32 v185, v126, v118, -v1 :: v_dual_mul_f32 v126, v126, v119
	v_mul_f32_e32 v1, v133, v105
	v_pk_fma_f32 v[10:11], v[140:141], v[110:111], v[8:9] neg_lo:[0,0,1] neg_hi:[0,0,1]
	v_pk_fma_f32 v[8:9], v[140:141], v[110:111], v[8:9] op_sel_hi:[1,0,1]
	v_pk_mul_f32 v[12:13], v[12:13], v[118:119] op_sel:[0,1]
	s_delay_alu instid0(VALU_DEP_4) | instskip(SKIP_2) | instid1(VALU_DEP_4)
	v_dual_fmac_f32 v126, v127, v118 :: v_dual_fma_f32 v127, v132, v104, -v1
	v_dual_mul_f32 v1, v133, v107 :: v_dual_fmac_f32 v186, v133, v104
	v_add_f32_e32 v42, v42, v168
	v_pk_fma_f32 v[14:15], v[142:143], v[118:119], v[12:13] neg_lo:[0,0,1] neg_hi:[0,0,1]
	v_pk_fma_f32 v[12:13], v[142:143], v[118:119], v[12:13] op_sel_hi:[1,0,1]
	s_delay_alu instid0(VALU_DEP_4) | instskip(SKIP_2) | instid1(VALU_DEP_3)
	v_dual_fma_f32 v187, v132, v106, -v1 :: v_dual_mul_f32 v1, v133, v109
	v_dual_fmac_f32 v188, v133, v106 :: v_dual_add_f32 v12, v90, v43
	v_dual_add_f32 v43, v94, v45 :: v_dual_add_f32 v72, v72, v83
	v_dual_fma_f32 v189, v132, v108, -v1 :: v_dual_mul_f32 v1, v133, v111
	v_dual_fmac_f32 v190, v133, v108 :: v_dual_add_f32 v45, v86, v47
	v_dual_add_f32 v47, v88, v49 :: v_dual_add_f32 v49, v82, v51
	s_delay_alu instid0(VALU_DEP_3) | instskip(SKIP_2) | instid1(VALU_DEP_2)
	v_dual_fma_f32 v191, v132, v110, -v1 :: v_dual_mul_f32 v132, v132, v111
	v_dual_mul_f32 v1, v135, v113 :: v_dual_mul_f32 v111, v142, v115
	v_dual_add_f32 v51, v84, v53 :: v_dual_add_f32 v53, v78, v55
	v_dual_fmac_f32 v132, v133, v110 :: v_dual_fma_f32 v133, v134, v112, -v1
	v_dual_mul_f32 v1, v135, v115 :: v_dual_fmac_f32 v192, v135, v112
	v_add_f32_e32 v55, v80, v57
	v_dual_add_f32 v57, v76, v77 :: v_dual_add_f32 v74, v74, v79
	s_delay_alu instid0(VALU_DEP_3) | instskip(SKIP_3) | instid1(VALU_DEP_3)
	v_dual_add_f32 v64, v64, v85 :: v_dual_fma_f32 v193, v134, v114, -v1
	v_dual_mul_f32 v1, v135, v117 :: v_dual_fmac_f32 v194, v135, v114
	v_dual_add_f32 v70, v70, v81 :: v_dual_add_f32 v52, v52, v147
	v_dual_add_f32 v66, v66, v87 :: v_dual_add_f32 v60, v60, v89
	v_dual_fma_f32 v195, v134, v116, -v1 :: v_dual_mul_f32 v1, v135, v119
	v_dual_fmac_f32 v196, v135, v116 :: v_dual_add_f32 v62, v62, v91
	v_dual_add_f32 v56, v56, v145 :: v_dual_add_f32 v58, v58, v152
	s_delay_alu instid0(VALU_DEP_3) | instskip(SKIP_2) | instid1(VALU_DEP_2)
	v_dual_add_f32 v48, v48, v149 :: v_dual_fma_f32 v197, v134, v118, -v1
	v_dual_mul_f32 v134, v134, v119 :: v_dual_mul_f32 v1, v141, v105
	v_dual_mul_f32 v105, v140, v105 :: v_dual_add_f32 v54, v54, v154
	v_dual_add_f32 v44, v44, v128 :: v_dual_fmac_f32 v134, v135, v118
	s_delay_alu instid0(VALU_DEP_3) | instskip(NEXT) | instid1(VALU_DEP_3)
	v_dual_fma_f32 v135, v140, v104, -v1 :: v_dual_mul_f32 v1, v141, v107
	v_dual_fmac_f32 v105, v141, v104 :: v_dual_mul_f32 v107, v140, v107
	v_dual_add_f32 v50, v50, v156 :: v_dual_add_f32 v40, v40, v157
	s_delay_alu instid0(VALU_DEP_3) | instskip(NEXT) | instid1(VALU_DEP_3)
	v_dual_fma_f32 v104, v140, v106, -v1 :: v_dual_mul_f32 v1, v141, v109
	v_dual_mul_f32 v109, v140, v109 :: v_dual_fmac_f32 v107, v141, v106
	v_dual_add_f32 v46, v46, v158 :: v_dual_add_f32 v36, v36, v159
	s_delay_alu instid0(VALU_DEP_3) | instskip(NEXT) | instid1(VALU_DEP_3)
	v_dual_fma_f32 v106, v140, v108, -v1 :: v_dual_mul_f32 v1, v143, v113
	v_dual_fmac_f32 v109, v141, v108 :: v_dual_mul_f32 v108, v142, v113
	v_mul_f32_e32 v113, v142, v117
	v_dual_add_f32 v20, v20, v165 :: v_dual_add_f32 v34, v34, v170
	s_delay_alu instid0(VALU_DEP_3) | instskip(NEXT) | instid1(VALU_DEP_3)
	v_dual_fma_f32 v8, v142, v112, -v1 :: v_dual_fmac_f32 v108, v143, v112
	v_dual_mul_f32 v1, v143, v115 :: v_dual_fmac_f32 v113, v143, v116
	v_dual_mov_b32 v7, v5 :: v_dual_mov_b32 v15, v13
	s_delay_alu instid0(VALU_DEP_2) | instskip(SKIP_3) | instid1(VALU_DEP_3)
	v_dual_mov_b32 v11, v9 :: v_dual_fma_f32 v110, v142, v114, -v1
	v_dual_fmac_f32 v111, v143, v114 :: v_dual_mul_f32 v1, v143, v117
	v_dual_add_f32 v5, v12, v59 :: v_dual_add_f32 v9, v43, v61
	v_dual_add_f32 v12, v45, v63 :: v_dual_add_f32 v13, v47, v65
	v_dual_fma_f32 v112, v142, v116, -v1 :: v_dual_mov_b32 v1, v3
	v_add_f32_e32 v3, v38, v169
	v_dual_add_f32 v38, v53, v73 :: v_dual_add_f32 v43, v55, v75
	v_add_f32_e32 v45, v57, v95
	s_delay_alu instid0(VALU_DEP_4)
	v_pk_add_f32 v[0:1], v[32:33], v[0:1]
	v_dual_add_f32 v32, v49, v67 :: v_dual_add_f32 v47, v74, v144
	v_dual_add_f32 v33, v51, v71 :: v_dual_add_f32 v49, v70, v120
	v_add_f32_e32 v51, v72, v146
	v_dual_add_f32 v53, v64, v121 :: v_dual_add_f32 v55, v66, v148
	v_dual_add_f32 v57, v60, v122 :: v_dual_add_f32 v58, v58, v160
	;; [unrolled: 1-line block ×9, first 2 shown]
	v_pk_add_f32 v[0:1], v[0:1], v[6:7]
	v_add_f32_e32 v5, v5, v131
	v_add_f32_e32 v6, v9, v155
	v_dual_add_f32 v7, v12, v139 :: v_dual_add_f32 v2, v33, v2
	v_dual_add_f32 v9, v13, v163 :: v_dual_add_f32 v12, v32, v161
	v_add_f32_e32 v13, v38, v100
	v_add_f32_e32 v32, v43, v136
	v_dual_add_f32 v33, v45, v176 :: v_dual_add_f32 v34, v47, v138
	v_dual_add_f32 v38, v49, v177 :: v_dual_add_f32 v43, v51, v103
	;; [unrolled: 1-line block ×11, first 2 shown]
	v_pk_add_f32 v[0:1], v[0:1], v[10:11]
	v_dual_add_f32 v90, v5, v101 :: v_dual_add_f32 v94, v6, v172
	v_dual_add_f32 v86, v7, v4 :: v_dual_add_f32 v82, v12, v174
	;; [unrolled: 1-line block ×15, first 2 shown]
	v_pk_add_f32 v[32:33], v[0:1], v[14:15]
	s_cbranch_vccnz .LBB223_5
.LBB223_6:                              ;   in Loop: Header=BB223_3 Depth=1
	s_wait_loadcnt 0x0
	s_wait_xcnt 0x0
	v_add_nc_u64_e32 v[0:1], s[8:9], v[92:93]
	s_and_not1_b32 vcc_lo, exec_lo, s1
	s_mov_b32 s40, -1
                                        ; implicit-def: $vgpr4
                                        ; implicit-def: $vgpr2_vgpr3
	s_cbranch_vccz .LBB223_8
; %bb.7:                                ;   in Loop: Header=BB223_3 Depth=1
	s_and_not1_b32 vcc_lo, exec_lo, s40
	s_cbranch_vccnz .LBB223_2
	s_branch .LBB223_9
.LBB223_8:                              ;   in Loop: Header=BB223_3 Depth=1
	v_mov_b64_e32 v[2:3], s[28:29]
	v_mov_b64_e32 v[8:9], s[22:23]
	v_lshlrev_b64_e32 v[4:5], 3, v[26:27]
	v_lshl_add_u64 v[6:7], v[22:23], 3, v[0:1]
	s_delay_alu instid0(VALU_DEP_4)
	v_pk_mul_f32 v[10:11], v[94:95], v[2:3] op_sel_hi:[0,1]
	v_pk_mul_f32 v[12:13], v[88:89], v[2:3] op_sel_hi:[0,1]
	;; [unrolled: 1-line block ×4, first 2 shown]
	v_add_nc_u64_e32 v[18:19], v[6:7], v[4:5]
	v_pk_fma_f32 v[92:93], v[90:91], v[8:9], v[10:11] neg_lo:[0,0,1] neg_hi:[0,0,1]
	v_pk_fma_f32 v[10:11], v[90:91], v[8:9], v[10:11] op_sel_hi:[0,1,1]
	v_pk_fma_f32 v[96:97], v[86:87], v[8:9], v[12:13] op_sel_hi:[0,1,1]
	;; [unrolled: 1-line block ×4, first 2 shown]
	v_pk_fma_f32 v[12:13], v[86:87], v[8:9], v[12:13] neg_lo:[0,0,1] neg_hi:[0,0,1]
	s_delay_alu instid0(VALU_DEP_4)
	v_dual_mov_b32 v93, v11 :: v_dual_mov_b32 v13, v97
	v_pk_fma_f32 v[10:11], v[82:83], v[8:9], v[14:15] neg_lo:[0,0,1] neg_hi:[0,0,1]
	v_mov_b32_e32 v11, v99
	v_pk_fma_f32 v[14:15], v[78:79], v[8:9], v[16:17] neg_lo:[0,0,1] neg_hi:[0,0,1]
	v_mov_b32_e32 v15, v101
	v_pk_mul_f32 v[16:17], v[74:75], v[2:3] op_sel_hi:[0,1]
	s_clause 0x3
	flat_store_b64 v[18:19], v[92:93]
	flat_store_b64 v[18:19], v[12:13] offset:128
	flat_store_b64 v[18:19], v[10:11] offset:256
	;; [unrolled: 1-line block ×3, first 2 shown]
	s_wait_xcnt 0x1
	v_pk_mul_f32 v[10:11], v[72:73], v[2:3] op_sel_hi:[0,1]
	s_wait_xcnt 0x0
	v_pk_mul_f32 v[18:19], v[66:67], v[2:3] op_sel_hi:[0,1]
	v_add_nc_u64_e32 v[6:7], s[30:31], v[6:7]
	v_pk_fma_f32 v[14:15], v[76:77], v[8:9], v[16:17] op_sel_hi:[0,1,1]
	v_pk_mul_f32 v[96:97], v[62:63], v[2:3] op_sel_hi:[0,1]
	v_pk_fma_f32 v[92:93], v[70:71], v[8:9], v[10:11] op_sel_hi:[0,1,1]
	v_pk_fma_f32 v[16:17], v[76:77], v[8:9], v[16:17] neg_lo:[0,0,1] neg_hi:[0,0,1]
	v_pk_fma_f32 v[10:11], v[70:71], v[8:9], v[10:11] neg_lo:[0,0,1] neg_hi:[0,0,1]
	v_mov_b32_e32 v17, v15
	v_pk_fma_f32 v[14:15], v[64:65], v[8:9], v[18:19] op_sel_hi:[0,1,1]
	v_mov_b32_e32 v11, v93
	v_pk_fma_f32 v[92:93], v[60:61], v[8:9], v[96:97] op_sel_hi:[0,1,1]
	v_add_nc_u64_e32 v[12:13], v[6:7], v[4:5]
	v_pk_fma_f32 v[18:19], v[64:65], v[8:9], v[18:19] neg_lo:[0,0,1] neg_hi:[0,0,1]
	v_mov_b32_e32 v19, v15
	v_pk_fma_f32 v[14:15], v[60:61], v[8:9], v[96:97] neg_lo:[0,0,1] neg_hi:[0,0,1]
	v_mov_b32_e32 v15, v93
	v_pk_mul_f32 v[92:93], v[58:59], v[2:3] op_sel_hi:[0,1]
	v_add_nc_u64_e32 v[6:7], s[30:31], v[6:7]
	s_clause 0x3
	flat_store_b64 v[12:13], v[16:17]
	flat_store_b64 v[12:13], v[10:11] offset:128
	flat_store_b64 v[12:13], v[18:19] offset:256
	;; [unrolled: 1-line block ×3, first 2 shown]
	s_wait_xcnt 0x0
	v_pk_mul_f32 v[12:13], v[54:55], v[2:3] op_sel_hi:[0,1]
	v_pk_mul_f32 v[16:17], v[50:51], v[2:3] op_sel_hi:[0,1]
	v_pk_fma_f32 v[14:15], v[56:57], v[8:9], v[92:93] op_sel_hi:[0,1,1]
	v_pk_fma_f32 v[18:19], v[56:57], v[8:9], v[92:93] neg_lo:[0,0,1] neg_hi:[0,0,1]
	v_pk_mul_f32 v[92:93], v[46:47], v[2:3] op_sel_hi:[0,1]
	v_pk_fma_f32 v[96:97], v[52:53], v[8:9], v[12:13] op_sel_hi:[0,1,1]
	v_add_nc_u64_e32 v[10:11], v[6:7], v[4:5]
	v_mov_b32_e32 v19, v15
	v_pk_fma_f32 v[14:15], v[48:49], v[8:9], v[16:17] op_sel_hi:[0,1,1]
	v_pk_fma_f32 v[98:99], v[44:45], v[8:9], v[92:93] op_sel_hi:[0,1,1]
	v_pk_fma_f32 v[12:13], v[52:53], v[8:9], v[12:13] neg_lo:[0,0,1] neg_hi:[0,0,1]
	v_mov_b32_e32 v13, v97
	v_pk_fma_f32 v[16:17], v[48:49], v[8:9], v[16:17] neg_lo:[0,0,1] neg_hi:[0,0,1]
	v_mov_b32_e32 v17, v15
	;; [unrolled: 2-line block ×3, first 2 shown]
	v_add_nc_u64_e32 v[6:7], s[30:31], v[6:7]
	v_pk_mul_f32 v[92:93], v[42:43], v[2:3] op_sel_hi:[0,1]
	s_clause 0x3
	flat_store_b64 v[10:11], v[18:19]
	flat_store_b64 v[10:11], v[12:13] offset:128
	flat_store_b64 v[10:11], v[16:17] offset:256
	;; [unrolled: 1-line block ×3, first 2 shown]
	s_wait_xcnt 0x0
	v_pk_mul_f32 v[10:11], v[38:39], v[2:3] op_sel_hi:[0,1]
	v_pk_fma_f32 v[12:13], v[40:41], v[8:9], v[92:93] op_sel_hi:[0,1,1]
	v_add_nc_u64_e32 v[6:7], v[6:7], v[4:5]
	v_pk_mul_f32 v[4:5], v[34:35], v[2:3] op_sel_hi:[0,1]
	s_delay_alu instid0(VALU_DEP_4)
	v_pk_fma_f32 v[16:17], v[36:37], v[8:9], v[10:11] op_sel_hi:[0,1,1]
	v_pk_fma_f32 v[14:15], v[40:41], v[8:9], v[92:93] neg_lo:[0,0,1] neg_hi:[0,0,1]
	v_pk_fma_f32 v[10:11], v[36:37], v[8:9], v[10:11] neg_lo:[0,0,1] neg_hi:[0,0,1]
	v_mov_b32_e32 v15, v13
	v_pk_fma_f32 v[12:13], v[20:21], v[8:9], v[4:5] op_sel_hi:[0,1,1]
	v_mov_b32_e32 v11, v17
	v_pk_mul_f32 v[16:17], v[32:33], v[2:3]
	v_mul_f32_e32 v12, s22, v32
	v_add_nc_u64_e32 v[2:3], 0x180, v[6:7]
	v_pk_fma_f32 v[8:9], v[20:21], v[8:9], v[4:5] neg_lo:[0,0,1] neg_hi:[0,0,1]
	s_delay_alu instid0(VALU_DEP_4) | instskip(NEXT) | instid1(VALU_DEP_4)
	v_dual_mov_b32 v9, v13 :: v_dual_add_f32 v4, v16, v17
	v_fma_f32 v5, -v33, s28, v12
	s_clause 0x3
	flat_store_b64 v[6:7], v[14:15]
	flat_store_b64 v[6:7], v[10:11] offset:128
	flat_store_b64 v[6:7], v[8:9] offset:256
	flat_store_b32 v[6:7], v5 offset:384
	s_cbranch_execnz .LBB223_2
.LBB223_9:                              ;   in Loop: Header=BB223_3 Depth=1
	v_add_nc_u64_e32 v[2:3], s[16:17], v[68:69]
	s_wait_xcnt 0x0
	v_lshlrev_b64_e32 v[4:5], 3, v[26:27]
	v_mov_b64_e32 v[10:11], s[28:29]
	v_mov_b64_e32 v[12:13], s[38:39]
	;; [unrolled: 1-line block ×4, first 2 shown]
	v_lshl_add_u64 v[0:1], v[22:23], 3, v[0:1]
	v_lshl_add_u64 v[2:3], v[24:25], 3, v[2:3]
	v_pk_mul_f32 v[16:17], v[94:95], v[10:11] op_sel_hi:[0,1]
	s_delay_alu instid0(VALU_DEP_2) | instskip(SKIP_1) | instid1(VALU_DEP_3)
	v_add_nc_u64_e32 v[6:7], v[2:3], v[4:5]
	v_add_nc_u64_e32 v[2:3], s[26:27], v[2:3]
	v_pk_fma_f32 v[92:93], v[90:91], v[14:15], v[16:17] op_sel_hi:[0,1,1]
	v_pk_fma_f32 v[16:17], v[90:91], v[14:15], v[16:17] neg_lo:[0,0,1] neg_hi:[0,0,1]
	flat_load_b64 v[8:9], v[6:7]
	s_wait_loadcnt_dscnt 0x0
	v_pk_mul_f32 v[68:69], v[8:9], v[12:13]
	s_delay_alu instid0(VALU_DEP_1)
	v_pk_fma_f32 v[94:95], v[8:9], v[18:19], v[68:69] op_sel:[0,0,1] op_sel_hi:[1,1,0]
	v_pk_fma_f32 v[8:9], v[8:9], v[18:19], v[68:69] op_sel:[0,0,1] op_sel_hi:[1,1,0] neg_lo:[0,0,1] neg_hi:[0,0,1]
	v_mov_b32_e32 v17, v93
	v_add_nc_u64_e32 v[68:69], v[0:1], v[4:5]
	v_add_nc_u64_e32 v[0:1], s[30:31], v[0:1]
	v_mov_b32_e32 v9, v95
	s_delay_alu instid0(VALU_DEP_1)
	v_pk_add_f32 v[8:9], v[16:17], v[8:9]
	v_pk_mul_f32 v[16:17], v[88:89], v[10:11] op_sel_hi:[0,1]
	flat_store_b64 v[68:69], v[8:9]
	flat_load_b64 v[8:9], v[6:7] offset:128
	v_pk_fma_f32 v[90:91], v[86:87], v[14:15], v[16:17] op_sel_hi:[0,1,1]
	v_pk_fma_f32 v[16:17], v[86:87], v[14:15], v[16:17] neg_lo:[0,0,1] neg_hi:[0,0,1]
	s_wait_loadcnt_dscnt 0x0
	v_pk_mul_f32 v[88:89], v[8:9], v[12:13]
	s_delay_alu instid0(VALU_DEP_1) | instskip(SKIP_1) | instid1(VALU_DEP_2)
	v_pk_fma_f32 v[92:93], v[8:9], v[18:19], v[88:89] op_sel:[0,0,1] op_sel_hi:[1,1,0]
	v_pk_fma_f32 v[8:9], v[8:9], v[18:19], v[88:89] op_sel:[0,0,1] op_sel_hi:[1,1,0] neg_lo:[0,0,1] neg_hi:[0,0,1]
	v_dual_mov_b32 v17, v91 :: v_dual_mov_b32 v9, v93
	s_delay_alu instid0(VALU_DEP_1)
	v_pk_add_f32 v[8:9], v[16:17], v[8:9]
	v_pk_mul_f32 v[16:17], v[84:85], v[10:11] op_sel_hi:[0,1]
	flat_store_b64 v[68:69], v[8:9] offset:128
	flat_load_b64 v[8:9], v[6:7] offset:256
	v_pk_fma_f32 v[86:87], v[82:83], v[14:15], v[16:17] op_sel_hi:[0,1,1]
	v_pk_fma_f32 v[16:17], v[82:83], v[14:15], v[16:17] neg_lo:[0,0,1] neg_hi:[0,0,1]
	s_wait_loadcnt_dscnt 0x0
	v_pk_mul_f32 v[84:85], v[8:9], v[12:13]
	s_delay_alu instid0(VALU_DEP_1) | instskip(SKIP_1) | instid1(VALU_DEP_2)
	v_pk_fma_f32 v[88:89], v[8:9], v[18:19], v[84:85] op_sel:[0,0,1] op_sel_hi:[1,1,0]
	v_pk_fma_f32 v[8:9], v[8:9], v[18:19], v[84:85] op_sel:[0,0,1] op_sel_hi:[1,1,0] neg_lo:[0,0,1] neg_hi:[0,0,1]
	v_dual_mov_b32 v17, v87 :: v_dual_mov_b32 v9, v89
	s_delay_alu instid0(VALU_DEP_1) | instskip(SKIP_4) | instid1(VALU_DEP_1)
	v_pk_add_f32 v[8:9], v[16:17], v[8:9]
	flat_store_b64 v[68:69], v[8:9] offset:256
	flat_load_b64 v[6:7], v[6:7] offset:384
	s_wait_xcnt 0x1
	v_pk_mul_f32 v[8:9], v[80:81], v[10:11] op_sel_hi:[0,1]
	v_pk_fma_f32 v[80:81], v[78:79], v[14:15], v[8:9] op_sel_hi:[0,1,1]
	v_pk_fma_f32 v[8:9], v[78:79], v[14:15], v[8:9] neg_lo:[0,0,1] neg_hi:[0,0,1]
	s_wait_loadcnt_dscnt 0x0
	v_pk_mul_f32 v[16:17], v[6:7], v[12:13]
	s_delay_alu instid0(VALU_DEP_1)
	v_pk_fma_f32 v[82:83], v[6:7], v[18:19], v[16:17] op_sel:[0,0,1] op_sel_hi:[1,1,0]
	s_wait_xcnt 0x0
	v_pk_fma_f32 v[6:7], v[6:7], v[18:19], v[16:17] op_sel:[0,0,1] op_sel_hi:[1,1,0] neg_lo:[0,0,1] neg_hi:[0,0,1]
	v_mov_b32_e32 v9, v81
	v_add_nc_u64_e32 v[16:17], v[2:3], v[4:5]
	v_add_nc_u64_e32 v[2:3], s[26:27], v[2:3]
	v_mov_b32_e32 v7, v83
	s_delay_alu instid0(VALU_DEP_1)
	v_pk_add_f32 v[6:7], v[8:9], v[6:7]
	v_pk_mul_f32 v[8:9], v[74:75], v[10:11] op_sel_hi:[0,1]
	flat_store_b64 v[68:69], v[6:7] offset:384
	flat_load_b64 v[6:7], v[16:17]
	v_pk_fma_f32 v[74:75], v[76:77], v[14:15], v[8:9] op_sel_hi:[0,1,1]
	v_pk_fma_f32 v[8:9], v[76:77], v[14:15], v[8:9] neg_lo:[0,0,1] neg_hi:[0,0,1]
	s_wait_loadcnt_dscnt 0x0
	v_pk_mul_f32 v[68:69], v[6:7], v[12:13]
	s_delay_alu instid0(VALU_DEP_1)
	v_pk_fma_f32 v[78:79], v[6:7], v[18:19], v[68:69] op_sel:[0,0,1] op_sel_hi:[1,1,0]
	v_pk_fma_f32 v[6:7], v[6:7], v[18:19], v[68:69] op_sel:[0,0,1] op_sel_hi:[1,1,0] neg_lo:[0,0,1] neg_hi:[0,0,1]
	v_mov_b32_e32 v9, v75
	v_add_nc_u64_e32 v[68:69], v[0:1], v[4:5]
	v_add_nc_u64_e32 v[0:1], s[30:31], v[0:1]
	v_mov_b32_e32 v7, v79
	s_delay_alu instid0(VALU_DEP_1)
	v_pk_add_f32 v[6:7], v[8:9], v[6:7]
	v_pk_mul_f32 v[8:9], v[72:73], v[10:11] op_sel_hi:[0,1]
	flat_store_b64 v[68:69], v[6:7]
	flat_load_b64 v[6:7], v[16:17] offset:128
	v_pk_fma_f32 v[74:75], v[70:71], v[14:15], v[8:9] op_sel_hi:[0,1,1]
	v_pk_fma_f32 v[8:9], v[70:71], v[14:15], v[8:9] neg_lo:[0,0,1] neg_hi:[0,0,1]
	s_wait_loadcnt_dscnt 0x0
	v_pk_mul_f32 v[72:73], v[6:7], v[12:13]
	s_delay_alu instid0(VALU_DEP_1) | instskip(SKIP_1) | instid1(VALU_DEP_2)
	v_pk_fma_f32 v[76:77], v[6:7], v[18:19], v[72:73] op_sel:[0,0,1] op_sel_hi:[1,1,0]
	v_pk_fma_f32 v[6:7], v[6:7], v[18:19], v[72:73] op_sel:[0,0,1] op_sel_hi:[1,1,0] neg_lo:[0,0,1] neg_hi:[0,0,1]
	v_dual_mov_b32 v9, v75 :: v_dual_mov_b32 v7, v77
	s_delay_alu instid0(VALU_DEP_1)
	v_pk_add_f32 v[6:7], v[8:9], v[6:7]
	v_pk_mul_f32 v[8:9], v[66:67], v[10:11] op_sel_hi:[0,1]
	flat_store_b64 v[68:69], v[6:7] offset:128
	flat_load_b64 v[6:7], v[16:17] offset:256
	v_pk_fma_f32 v[70:71], v[64:65], v[14:15], v[8:9] op_sel_hi:[0,1,1]
	v_pk_fma_f32 v[8:9], v[64:65], v[14:15], v[8:9] neg_lo:[0,0,1] neg_hi:[0,0,1]
	s_wait_loadcnt_dscnt 0x0
	v_pk_mul_f32 v[66:67], v[6:7], v[12:13]
	s_delay_alu instid0(VALU_DEP_1) | instskip(SKIP_1) | instid1(VALU_DEP_2)
	v_pk_fma_f32 v[72:73], v[6:7], v[18:19], v[66:67] op_sel:[0,0,1] op_sel_hi:[1,1,0]
	v_pk_fma_f32 v[6:7], v[6:7], v[18:19], v[66:67] op_sel:[0,0,1] op_sel_hi:[1,1,0] neg_lo:[0,0,1] neg_hi:[0,0,1]
	v_dual_mov_b32 v9, v71 :: v_dual_mov_b32 v7, v73
	s_delay_alu instid0(VALU_DEP_1)
	v_pk_add_f32 v[6:7], v[8:9], v[6:7]
	v_pk_mul_f32 v[8:9], v[62:63], v[10:11] op_sel_hi:[0,1]
	flat_store_b64 v[68:69], v[6:7] offset:256
	flat_load_b64 v[6:7], v[16:17] offset:384
	v_pk_fma_f32 v[62:63], v[60:61], v[14:15], v[8:9] op_sel_hi:[0,1,1]
	v_pk_fma_f32 v[8:9], v[60:61], v[14:15], v[8:9] neg_lo:[0,0,1] neg_hi:[0,0,1]
	s_wait_loadcnt_dscnt 0x0
	s_wait_xcnt 0x0
	v_pk_mul_f32 v[16:17], v[6:7], v[12:13]
	s_delay_alu instid0(VALU_DEP_1)
	v_pk_fma_f32 v[64:65], v[6:7], v[18:19], v[16:17] op_sel:[0,0,1] op_sel_hi:[1,1,0]
	v_pk_fma_f32 v[6:7], v[6:7], v[18:19], v[16:17] op_sel:[0,0,1] op_sel_hi:[1,1,0] neg_lo:[0,0,1] neg_hi:[0,0,1]
	v_mov_b32_e32 v9, v63
	v_add_nc_u64_e32 v[16:17], v[2:3], v[4:5]
	v_add_nc_u64_e32 v[2:3], s[26:27], v[2:3]
	v_mov_b32_e32 v7, v65
	s_delay_alu instid0(VALU_DEP_1) | instskip(SKIP_1) | instid1(VALU_DEP_4)
	v_pk_add_f32 v[6:7], v[8:9], v[6:7]
	v_pk_mul_f32 v[8:9], v[58:59], v[10:11] op_sel_hi:[0,1]
	v_add_nc_u64_e32 v[2:3], v[2:3], v[4:5]
	flat_store_b64 v[68:69], v[6:7] offset:384
	flat_load_b64 v[6:7], v[16:17]
	v_pk_fma_f32 v[60:61], v[56:57], v[14:15], v[8:9] op_sel_hi:[0,1,1]
	v_pk_fma_f32 v[8:9], v[56:57], v[14:15], v[8:9] neg_lo:[0,0,1] neg_hi:[0,0,1]
	v_add_nc_u64_e32 v[56:57], v[0:1], v[4:5]
	v_add_nc_u64_e32 v[0:1], s[30:31], v[0:1]
	s_delay_alu instid0(VALU_DEP_1) | instskip(SKIP_2) | instid1(VALU_DEP_1)
	v_add_nc_u64_e32 v[0:1], v[0:1], v[4:5]
	s_wait_loadcnt_dscnt 0x0
	v_pk_mul_f32 v[58:59], v[6:7], v[12:13]
	v_pk_fma_f32 v[62:63], v[6:7], v[18:19], v[58:59] op_sel:[0,0,1] op_sel_hi:[1,1,0]
	v_pk_fma_f32 v[6:7], v[6:7], v[18:19], v[58:59] op_sel:[0,0,1] op_sel_hi:[1,1,0] neg_lo:[0,0,1] neg_hi:[0,0,1]
	s_delay_alu instid0(VALU_DEP_2) | instskip(NEXT) | instid1(VALU_DEP_1)
	v_dual_mov_b32 v9, v61 :: v_dual_mov_b32 v7, v63
	v_pk_add_f32 v[6:7], v[8:9], v[6:7]
	v_pk_mul_f32 v[8:9], v[54:55], v[10:11] op_sel_hi:[0,1]
	flat_store_b64 v[56:57], v[6:7]
	flat_load_b64 v[6:7], v[16:17] offset:128
	v_pk_fma_f32 v[58:59], v[52:53], v[14:15], v[8:9] op_sel_hi:[0,1,1]
	v_pk_fma_f32 v[8:9], v[52:53], v[14:15], v[8:9] neg_lo:[0,0,1] neg_hi:[0,0,1]
	s_wait_loadcnt_dscnt 0x0
	v_pk_mul_f32 v[54:55], v[6:7], v[12:13]
	s_delay_alu instid0(VALU_DEP_1) | instskip(SKIP_1) | instid1(VALU_DEP_2)
	v_pk_fma_f32 v[60:61], v[6:7], v[18:19], v[54:55] op_sel:[0,0,1] op_sel_hi:[1,1,0]
	v_pk_fma_f32 v[6:7], v[6:7], v[18:19], v[54:55] op_sel:[0,0,1] op_sel_hi:[1,1,0] neg_lo:[0,0,1] neg_hi:[0,0,1]
	v_dual_mov_b32 v9, v59 :: v_dual_mov_b32 v7, v61
	s_delay_alu instid0(VALU_DEP_1)
	v_pk_add_f32 v[6:7], v[8:9], v[6:7]
	v_pk_mul_f32 v[8:9], v[50:51], v[10:11] op_sel_hi:[0,1]
	flat_store_b64 v[56:57], v[6:7] offset:128
	flat_load_b64 v[6:7], v[16:17] offset:256
	v_pk_fma_f32 v[52:53], v[48:49], v[14:15], v[8:9] op_sel_hi:[0,1,1]
	v_pk_fma_f32 v[8:9], v[48:49], v[14:15], v[8:9] neg_lo:[0,0,1] neg_hi:[0,0,1]
	s_wait_loadcnt_dscnt 0x0
	v_pk_mul_f32 v[50:51], v[6:7], v[12:13]
	s_delay_alu instid0(VALU_DEP_1) | instskip(SKIP_1) | instid1(VALU_DEP_2)
	v_pk_fma_f32 v[54:55], v[6:7], v[18:19], v[50:51] op_sel:[0,0,1] op_sel_hi:[1,1,0]
	v_pk_fma_f32 v[6:7], v[6:7], v[18:19], v[50:51] op_sel:[0,0,1] op_sel_hi:[1,1,0] neg_lo:[0,0,1] neg_hi:[0,0,1]
	v_dual_mov_b32 v9, v53 :: v_dual_mov_b32 v7, v55
	s_delay_alu instid0(VALU_DEP_1)
	v_pk_add_f32 v[6:7], v[8:9], v[6:7]
	v_pk_mul_f32 v[8:9], v[46:47], v[10:11] op_sel_hi:[0,1]
	flat_store_b64 v[56:57], v[6:7] offset:256
	flat_load_b64 v[6:7], v[16:17] offset:384
	v_pk_fma_f32 v[46:47], v[44:45], v[14:15], v[8:9] op_sel_hi:[0,1,1]
	v_pk_fma_f32 v[8:9], v[44:45], v[14:15], v[8:9] neg_lo:[0,0,1] neg_hi:[0,0,1]
	s_wait_loadcnt_dscnt 0x0
	s_wait_xcnt 0x0
	v_pk_mul_f32 v[16:17], v[6:7], v[12:13]
	s_delay_alu instid0(VALU_DEP_1) | instskip(SKIP_1) | instid1(VALU_DEP_2)
	v_pk_fma_f32 v[48:49], v[6:7], v[18:19], v[16:17] op_sel:[0,0,1] op_sel_hi:[1,1,0]
	v_pk_fma_f32 v[6:7], v[6:7], v[18:19], v[16:17] op_sel:[0,0,1] op_sel_hi:[1,1,0] neg_lo:[0,0,1] neg_hi:[0,0,1]
	v_dual_mov_b32 v9, v47 :: v_dual_mov_b32 v7, v49
	s_delay_alu instid0(VALU_DEP_1)
	v_pk_add_f32 v[6:7], v[8:9], v[6:7]
	v_pk_mul_f32 v[8:9], v[42:43], v[10:11] op_sel_hi:[0,1]
	flat_store_b64 v[56:57], v[6:7] offset:384
	flat_load_b64 v[6:7], v[2:3]
	v_pk_fma_f32 v[42:43], v[40:41], v[14:15], v[8:9] op_sel_hi:[0,1,1]
	v_pk_fma_f32 v[8:9], v[40:41], v[14:15], v[8:9] neg_lo:[0,0,1] neg_hi:[0,0,1]
	s_wait_loadcnt_dscnt 0x0
	v_pk_mul_f32 v[16:17], v[6:7], v[12:13]
	s_delay_alu instid0(VALU_DEP_1) | instskip(SKIP_1) | instid1(VALU_DEP_2)
	v_pk_fma_f32 v[44:45], v[6:7], v[18:19], v[16:17] op_sel:[0,0,1] op_sel_hi:[1,1,0]
	v_pk_fma_f32 v[6:7], v[6:7], v[18:19], v[16:17] op_sel:[0,0,1] op_sel_hi:[1,1,0] neg_lo:[0,0,1] neg_hi:[0,0,1]
	v_dual_mov_b32 v9, v43 :: v_dual_mov_b32 v7, v45
	s_delay_alu instid0(VALU_DEP_1)
	v_pk_add_f32 v[4:5], v[8:9], v[6:7]
	v_pk_mul_f32 v[6:7], v[38:39], v[10:11] op_sel_hi:[0,1]
	flat_store_b64 v[0:1], v[4:5]
	flat_load_b64 v[4:5], v[2:3] offset:128
	v_pk_fma_f32 v[16:17], v[36:37], v[14:15], v[6:7] op_sel_hi:[0,1,1]
	v_pk_fma_f32 v[6:7], v[36:37], v[14:15], v[6:7] neg_lo:[0,0,1] neg_hi:[0,0,1]
	s_wait_loadcnt_dscnt 0x0
	v_pk_mul_f32 v[8:9], v[4:5], v[12:13]
	s_delay_alu instid0(VALU_DEP_1) | instskip(SKIP_1) | instid1(VALU_DEP_2)
	v_pk_fma_f32 v[42:43], v[4:5], v[18:19], v[8:9] op_sel:[0,0,1] op_sel_hi:[1,1,0]
	v_pk_fma_f32 v[4:5], v[4:5], v[18:19], v[8:9] op_sel:[0,0,1] op_sel_hi:[1,1,0] neg_lo:[0,0,1] neg_hi:[0,0,1]
	v_dual_mov_b32 v7, v17 :: v_dual_mov_b32 v5, v43
	s_delay_alu instid0(VALU_DEP_1)
	v_pk_add_f32 v[4:5], v[6:7], v[4:5]
	v_pk_mul_f32 v[6:7], v[34:35], v[10:11] op_sel_hi:[0,1]
	flat_store_b64 v[0:1], v[4:5] offset:128
	flat_load_b64 v[4:5], v[2:3] offset:256
	v_pk_fma_f32 v[10:11], v[20:21], v[14:15], v[6:7] op_sel_hi:[0,1,1]
	v_pk_fma_f32 v[6:7], v[20:21], v[14:15], v[6:7] neg_lo:[0,0,1] neg_hi:[0,0,1]
	s_wait_loadcnt_dscnt 0x0
	v_pk_mul_f32 v[8:9], v[4:5], v[12:13]
	s_delay_alu instid0(VALU_DEP_1) | instskip(SKIP_2) | instid1(VALU_DEP_3)
	v_pk_fma_f32 v[12:13], v[4:5], v[18:19], v[8:9] op_sel:[0,0,1] op_sel_hi:[1,1,0]
	v_pk_fma_f32 v[4:5], v[4:5], v[18:19], v[8:9] op_sel:[0,0,1] op_sel_hi:[1,1,0] neg_lo:[0,0,1] neg_hi:[0,0,1]
	v_dual_mov_b32 v7, v11 :: v_dual_mul_f32 v9, s22, v32
	v_mov_b32_e32 v5, v13
	s_delay_alu instid0(VALU_DEP_2) | instskip(NEXT) | instid1(VALU_DEP_2)
	v_fma_f32 v9, -v33, s28, v9
	v_pk_add_f32 v[4:5], v[6:7], v[4:5]
	flat_store_b64 v[0:1], v[4:5] offset:256
	flat_load_b64 v[2:3], v[2:3] offset:384
	s_wait_xcnt 0x1
	v_mov_b64_e32 v[4:5], s[24:25]
	s_wait_loadcnt_dscnt 0x0
	v_dual_mul_f32 v6, s35, v3 :: v_dual_mov_b32 v7, v2
	s_delay_alu instid0(VALU_DEP_1) | instskip(SKIP_2) | instid1(VALU_DEP_1)
	v_fma_f32 v8, v2, s34, -v6
	s_wait_xcnt 0x0
	v_dual_mov_b32 v2, v33 :: v_dual_mov_b32 v6, v32
	v_pk_mul_f32 v[2:3], v[2:3], v[4:5]
	v_mov_b64_e32 v[4:5], s[14:15]
	s_delay_alu instid0(VALU_DEP_1) | instskip(SKIP_1) | instid1(VALU_DEP_2)
	v_pk_fma_f32 v[4:5], v[6:7], v[4:5], v[2:3]
	v_add_nc_u64_e32 v[2:3], 0x180, v[0:1]
	v_dual_add_f32 v6, v9, v8 :: v_dual_add_f32 v4, v4, v5
	flat_store_b32 v[0:1], v6 offset:384
	s_branch .LBB223_2
.LBB223_10:
	s_sendmsg sendmsg(MSG_DEALLOC_VGPRS)
	s_endpgm
	.section	.rodata,"a",@progbits
	.p2align	6, 0x0
	.amdhsa_kernel _ZN12_GLOBAL__N_127rocblas_gemm_batched_kernelI19rocblas_complex_numIfELi16ELi16ELi64ELi64ELi4ELi64ELi4ELi4ELi64ELc78ELc78EKPKS2_S5_KPS2_EEvlllT_PT11_llSA_llS8_PT12_llPT13_lli
		.amdhsa_group_segment_fixed_size 4096
		.amdhsa_private_segment_fixed_size 0
		.amdhsa_kernarg_size 140
		.amdhsa_user_sgpr_count 2
		.amdhsa_user_sgpr_dispatch_ptr 0
		.amdhsa_user_sgpr_queue_ptr 0
		.amdhsa_user_sgpr_kernarg_segment_ptr 1
		.amdhsa_user_sgpr_dispatch_id 0
		.amdhsa_user_sgpr_kernarg_preload_length 0
		.amdhsa_user_sgpr_kernarg_preload_offset 0
		.amdhsa_user_sgpr_private_segment_size 0
		.amdhsa_wavefront_size32 1
		.amdhsa_uses_dynamic_stack 0
		.amdhsa_enable_private_segment 0
		.amdhsa_system_sgpr_workgroup_id_x 1
		.amdhsa_system_sgpr_workgroup_id_y 1
		.amdhsa_system_sgpr_workgroup_id_z 1
		.amdhsa_system_sgpr_workgroup_info 0
		.amdhsa_system_vgpr_workitem_id 1
		.amdhsa_next_free_vgpr 198
		.amdhsa_next_free_sgpr 44
		.amdhsa_named_barrier_count 0
		.amdhsa_reserve_vcc 1
		.amdhsa_float_round_mode_32 0
		.amdhsa_float_round_mode_16_64 0
		.amdhsa_float_denorm_mode_32 3
		.amdhsa_float_denorm_mode_16_64 3
		.amdhsa_fp16_overflow 0
		.amdhsa_memory_ordered 1
		.amdhsa_forward_progress 1
		.amdhsa_inst_pref_size 48
		.amdhsa_round_robin_scheduling 0
		.amdhsa_exception_fp_ieee_invalid_op 0
		.amdhsa_exception_fp_denorm_src 0
		.amdhsa_exception_fp_ieee_div_zero 0
		.amdhsa_exception_fp_ieee_overflow 0
		.amdhsa_exception_fp_ieee_underflow 0
		.amdhsa_exception_fp_ieee_inexact 0
		.amdhsa_exception_int_div_zero 0
	.end_amdhsa_kernel
	.section	.text._ZN12_GLOBAL__N_127rocblas_gemm_batched_kernelI19rocblas_complex_numIfELi16ELi16ELi64ELi64ELi4ELi64ELi4ELi4ELi64ELc78ELc78EKPKS2_S5_KPS2_EEvlllT_PT11_llSA_llS8_PT12_llPT13_lli,"axG",@progbits,_ZN12_GLOBAL__N_127rocblas_gemm_batched_kernelI19rocblas_complex_numIfELi16ELi16ELi64ELi64ELi4ELi64ELi4ELi4ELi64ELc78ELc78EKPKS2_S5_KPS2_EEvlllT_PT11_llSA_llS8_PT12_llPT13_lli,comdat
.Lfunc_end223:
	.size	_ZN12_GLOBAL__N_127rocblas_gemm_batched_kernelI19rocblas_complex_numIfELi16ELi16ELi64ELi64ELi4ELi64ELi4ELi4ELi64ELc78ELc78EKPKS2_S5_KPS2_EEvlllT_PT11_llSA_llS8_PT12_llPT13_lli, .Lfunc_end223-_ZN12_GLOBAL__N_127rocblas_gemm_batched_kernelI19rocblas_complex_numIfELi16ELi16ELi64ELi64ELi4ELi64ELi4ELi4ELi64ELc78ELc78EKPKS2_S5_KPS2_EEvlllT_PT11_llSA_llS8_PT12_llPT13_lli
                                        ; -- End function
	.set _ZN12_GLOBAL__N_127rocblas_gemm_batched_kernelI19rocblas_complex_numIfELi16ELi16ELi64ELi64ELi4ELi64ELi4ELi4ELi64ELc78ELc78EKPKS2_S5_KPS2_EEvlllT_PT11_llSA_llS8_PT12_llPT13_lli.num_vgpr, 198
	.set _ZN12_GLOBAL__N_127rocblas_gemm_batched_kernelI19rocblas_complex_numIfELi16ELi16ELi64ELi64ELi4ELi64ELi4ELi4ELi64ELc78ELc78EKPKS2_S5_KPS2_EEvlllT_PT11_llSA_llS8_PT12_llPT13_lli.num_agpr, 0
	.set _ZN12_GLOBAL__N_127rocblas_gemm_batched_kernelI19rocblas_complex_numIfELi16ELi16ELi64ELi64ELi4ELi64ELi4ELi4ELi64ELc78ELc78EKPKS2_S5_KPS2_EEvlllT_PT11_llSA_llS8_PT12_llPT13_lli.numbered_sgpr, 44
	.set _ZN12_GLOBAL__N_127rocblas_gemm_batched_kernelI19rocblas_complex_numIfELi16ELi16ELi64ELi64ELi4ELi64ELi4ELi4ELi64ELc78ELc78EKPKS2_S5_KPS2_EEvlllT_PT11_llSA_llS8_PT12_llPT13_lli.num_named_barrier, 0
	.set _ZN12_GLOBAL__N_127rocblas_gemm_batched_kernelI19rocblas_complex_numIfELi16ELi16ELi64ELi64ELi4ELi64ELi4ELi4ELi64ELc78ELc78EKPKS2_S5_KPS2_EEvlllT_PT11_llSA_llS8_PT12_llPT13_lli.private_seg_size, 0
	.set _ZN12_GLOBAL__N_127rocblas_gemm_batched_kernelI19rocblas_complex_numIfELi16ELi16ELi64ELi64ELi4ELi64ELi4ELi4ELi64ELc78ELc78EKPKS2_S5_KPS2_EEvlllT_PT11_llSA_llS8_PT12_llPT13_lli.uses_vcc, 1
	.set _ZN12_GLOBAL__N_127rocblas_gemm_batched_kernelI19rocblas_complex_numIfELi16ELi16ELi64ELi64ELi4ELi64ELi4ELi4ELi64ELc78ELc78EKPKS2_S5_KPS2_EEvlllT_PT11_llSA_llS8_PT12_llPT13_lli.uses_flat_scratch, 1
	.set _ZN12_GLOBAL__N_127rocblas_gemm_batched_kernelI19rocblas_complex_numIfELi16ELi16ELi64ELi64ELi4ELi64ELi4ELi4ELi64ELc78ELc78EKPKS2_S5_KPS2_EEvlllT_PT11_llSA_llS8_PT12_llPT13_lli.has_dyn_sized_stack, 0
	.set _ZN12_GLOBAL__N_127rocblas_gemm_batched_kernelI19rocblas_complex_numIfELi16ELi16ELi64ELi64ELi4ELi64ELi4ELi4ELi64ELc78ELc78EKPKS2_S5_KPS2_EEvlllT_PT11_llSA_llS8_PT12_llPT13_lli.has_recursion, 0
	.set _ZN12_GLOBAL__N_127rocblas_gemm_batched_kernelI19rocblas_complex_numIfELi16ELi16ELi64ELi64ELi4ELi64ELi4ELi4ELi64ELc78ELc78EKPKS2_S5_KPS2_EEvlllT_PT11_llSA_llS8_PT12_llPT13_lli.has_indirect_call, 0
	.section	.AMDGPU.csdata,"",@progbits
; Kernel info:
; codeLenInByte = 6036
; TotalNumSgprs: 46
; NumVgprs: 198
; ScratchSize: 0
; MemoryBound: 0
; FloatMode: 240
; IeeeMode: 1
; LDSByteSize: 4096 bytes/workgroup (compile time only)
; SGPRBlocks: 0
; VGPRBlocks: 12
; NumSGPRsForWavesPerEU: 46
; NumVGPRsForWavesPerEU: 198
; NamedBarCnt: 0
; Occupancy: 4
; WaveLimiterHint : 1
; COMPUTE_PGM_RSRC2:SCRATCH_EN: 0
; COMPUTE_PGM_RSRC2:USER_SGPR: 2
; COMPUTE_PGM_RSRC2:TRAP_HANDLER: 0
; COMPUTE_PGM_RSRC2:TGID_X_EN: 1
; COMPUTE_PGM_RSRC2:TGID_Y_EN: 1
; COMPUTE_PGM_RSRC2:TGID_Z_EN: 1
; COMPUTE_PGM_RSRC2:TIDIG_COMP_CNT: 1
	.section	.text._ZN12_GLOBAL__N_127rocblas_gemm_batched_kernelI19rocblas_complex_numIfELi16ELi16ELi64ELi64ELi4ELi64ELi4ELi4ELi64ELc84ELc78EKPKS2_S5_KPS2_EEvlllT_PT11_llSA_llS8_PT12_llPT13_lli,"axG",@progbits,_ZN12_GLOBAL__N_127rocblas_gemm_batched_kernelI19rocblas_complex_numIfELi16ELi16ELi64ELi64ELi4ELi64ELi4ELi4ELi64ELc84ELc78EKPKS2_S5_KPS2_EEvlllT_PT11_llSA_llS8_PT12_llPT13_lli,comdat
	.globl	_ZN12_GLOBAL__N_127rocblas_gemm_batched_kernelI19rocblas_complex_numIfELi16ELi16ELi64ELi64ELi4ELi64ELi4ELi4ELi64ELc84ELc78EKPKS2_S5_KPS2_EEvlllT_PT11_llSA_llS8_PT12_llPT13_lli ; -- Begin function _ZN12_GLOBAL__N_127rocblas_gemm_batched_kernelI19rocblas_complex_numIfELi16ELi16ELi64ELi64ELi4ELi64ELi4ELi4ELi64ELc84ELc78EKPKS2_S5_KPS2_EEvlllT_PT11_llSA_llS8_PT12_llPT13_lli
	.p2align	8
	.type	_ZN12_GLOBAL__N_127rocblas_gemm_batched_kernelI19rocblas_complex_numIfELi16ELi16ELi64ELi64ELi4ELi64ELi4ELi4ELi64ELc84ELc78EKPKS2_S5_KPS2_EEvlllT_PT11_llSA_llS8_PT12_llPT13_lli,@function
_ZN12_GLOBAL__N_127rocblas_gemm_batched_kernelI19rocblas_complex_numIfELi16ELi16ELi64ELi64ELi4ELi64ELi4ELi4ELi64ELc84ELc78EKPKS2_S5_KPS2_EEvlllT_PT11_llSA_llS8_PT12_llPT13_lli: ; @_ZN12_GLOBAL__N_127rocblas_gemm_batched_kernelI19rocblas_complex_numIfELi16ELi16ELi64ELi64ELi4ELi64ELi4ELi4ELi64ELc84ELc78EKPKS2_S5_KPS2_EEvlllT_PT11_llSA_llS8_PT12_llPT13_lli
; %bb.0:
	s_load_b32 s33, s[0:1], 0x88
	s_bfe_u32 s2, ttmp6, 0x40014
	s_lshr_b32 s3, ttmp7, 16
	s_add_co_i32 s2, s2, 1
	s_bfe_u32 s4, ttmp6, 0x40008
	s_mul_i32 s2, s3, s2
	s_getreg_b32 s20, hwreg(HW_REG_IB_STS2, 6, 4)
	s_add_co_i32 s4, s4, s2
	s_cmp_eq_u32 s20, 0
	s_cselect_b32 s2, s3, s4
	s_mov_b32 s3, 0
	s_wait_kmcnt 0x0
	s_cmp_ge_i32 s2, s33
	s_cbranch_scc1 .LBB224_10
; %bb.1:
	v_bfe_u32 v20, v0, 10, 10
	v_and_b32_e32 v2, 0x3ff, v0
	s_bfe_u32 s21, ttmp6, 0x4000c
	s_bfe_u32 s23, ttmp6, 0x40010
	s_clause 0x3
	s_load_b256 s[4:11], s[0:1], 0x20
	s_load_b128 s[24:27], s[0:1], 0x78
	s_load_b128 s[28:31], s[0:1], 0x40
	s_load_b64 s[34:35], s[0:1], 0x50
	s_add_co_i32 s21, s21, 1
	s_and_b32 s36, ttmp7, 0xffff
	s_add_co_i32 s23, s23, 1
	v_lshl_add_u32 v3, v20, 4, v2
	v_mov_b32_e32 v21, 0
	s_and_b32 s22, ttmp6, 15
	s_mul_i32 s21, ttmp9, s21
	s_mul_i32 s23, s36, s23
	s_bfe_u32 s37, ttmp6, 0x40004
	s_add_co_i32 s22, s22, s21
	s_add_co_i32 s37, s37, s23
	s_cmp_eq_u32 s20, 0
	v_dual_lshrrev_b32 v4, 2, v3 :: v_dual_bitop2_b32 v10, 63, v3 bitop3:0x40
	v_mov_b32_e32 v5, v21
	s_cselect_b32 s20, ttmp9, s22
	s_cselect_b32 s22, s36, s37
	s_ashr_i32 s21, s20, 31
	s_lshl_b32 s36, s22, 6
	s_mov_b32 s37, s3
	s_load_b256 s[12:19], s[0:1], 0x58
	s_lshl_b64 s[38:39], s[20:21], 6
	v_add_nc_u64_e32 v[6:7], s[36:37], v[4:5]
	v_dual_mov_b32 v9, s39 :: v_dual_bitop2_b32 v8, s38, v10 bitop3:0x54
	v_dual_lshlrev_b32 v5, 3, v0 :: v_dual_lshlrev_b32 v10, 3, v10
	s_load_b128 s[20:23], s[0:1], 0x10
	s_wait_kmcnt 0x0
	s_or_b32 s0, s34, s35
	v_mul_u64_e32 v[0:1], s[6:7], v[8:9]
	v_dual_lshrrev_b32 v9, 6, v3 :: v_dual_bitop2_b32 v8, 24, v5 bitop3:0x40
	v_mul_u64_e32 v[6:7], s[28:29], v[6:7]
	s_bitset0_b32 s0, 31
	v_dual_mov_b32 v3, v21 :: v_dual_lshlrev_b32 v39, 3, v2
	s_delay_alu instid0(VALU_DEP_3)
	v_lshl_or_b32 v11, v4, 5, v8
	v_add_nc_u64_e32 v[4:5], s[36:37], v[20:21]
	s_cmp_eq_u32 s0, 0
	v_lshl_or_b32 v35, v9, 9, v10
	s_cselect_b32 s1, -1, 0
	s_lshl_b64 s[40:41], s[8:9], 3
	s_lshl_b64 s[30:31], s[30:31], 3
	v_lshl_add_u32 v41, v20, 5, 0x800
	v_mul_u64_e32 v[22:23], s[24:25], v[4:5]
	v_mul_u64_e32 v[24:25], s[14:15], v[4:5]
	v_add_nc_u64_e32 v[26:27], s[38:39], v[2:3]
	v_cmp_gt_i64_e64 s0, s[20:21], 0
	v_dual_mov_b32 v9, v21 :: v_dual_lshlrev_b32 v20, 3, v9
	v_add_nc_u32_e32 v37, 0x800, v11
	s_lshl_b64 s[36:37], s[24:25], 4
	s_lshl_b64 s[38:39], s[14:15], 4
	s_mov_b32 s6, s23
	v_cndmask_b32_e64 v4, 0, 1, s0
	s_mov_b32 s7, s22
	s_mov_b32 s14, s23
	;; [unrolled: 1-line block ×4, first 2 shown]
	v_cmp_ne_u32_e64 s0, 1, v4
	s_mov_b32 s25, s34
	v_lshl_add_u64 v[0:1], v[0:1], 3, s[40:41]
	s_mov_b32 s28, s34
	s_mov_b32 s29, s34
	v_lshl_add_u64 v[2:3], v[6:7], 3, s[30:31]
	s_mov_b32 s8, s35
	v_add_nc_u64_e32 v[28:29], v[0:1], v[20:21]
	s_mov_b32 s9, s35
	s_lshl_b64 s[26:27], s[26:27], 3
	v_add_nc_u64_e32 v[30:31], v[2:3], v[8:9]
	s_lshl_b64 s[16:17], s[16:17], 3
	s_lshl_b64 s[30:31], s[38:39], 3
	;; [unrolled: 1-line block ×3, first 2 shown]
	s_branch .LBB224_3
.LBB224_2:                              ;   in Loop: Header=BB224_3 Depth=1
	s_add_co_i32 s2, s2, 0x10000
	flat_store_b32 v[2:3], v4 offset:4
	s_cmp_lt_i32 s2, s33
	s_cbranch_scc0 .LBB224_10
.LBB224_3:                              ; =>This Loop Header: Depth=1
                                        ;     Child Loop BB224_5 Depth 2
	s_wait_xcnt 0x1
	v_dual_mov_b32 v0, s2 :: v_dual_mov_b32 v33, 0
	v_dual_mov_b32 v32, 0 :: v_dual_mov_b32 v90, 0
	;; [unrolled: 1-line block ×3, first 2 shown]
	s_clause 0x1
	global_load_b64 v[68:69], v0, s[12:13] scale_offset
	global_load_b64 v[92:93], v0, s[18:19] scale_offset
	v_dual_mov_b32 v88, 0 :: v_dual_mov_b32 v82, 0
	v_dual_mov_b32 v84, 0 :: v_dual_mov_b32 v78, 0
	;; [unrolled: 1-line block ×13, first 2 shown]
	v_mov_b32_e32 v34, 0
	s_and_b32 vcc_lo, exec_lo, s0
	s_cbranch_vccnz .LBB224_6
; %bb.4:                                ;   in Loop: Header=BB224_3 Depth=1
	s_lshl_b64 s[38:39], s[2:3], 3
	v_dual_mov_b32 v34, 0 :: v_dual_mov_b32 v20, 0
	s_add_nc_u64 s[40:41], s[4:5], s[38:39]
	s_add_nc_u64 s[38:39], s[10:11], s[38:39]
	s_clause 0x1
	global_load_b64 v[0:1], v21, s[40:41]
	global_load_b64 v[2:3], v21, s[38:39]
	v_dual_mov_b32 v38, 0 :: v_dual_mov_b32 v36, 0
	v_dual_mov_b32 v42, 0 :: v_dual_mov_b32 v40, 0
	;; [unrolled: 1-line block ×15, first 2 shown]
	s_wait_xcnt 0x0
	s_mov_b64 s[38:39], 0
	s_wait_loadcnt 0x1
	v_add_nc_u64_e32 v[96:97], v[0:1], v[28:29]
	s_wait_loadcnt 0x0
	v_add_nc_u64_e32 v[98:99], v[2:3], v[30:31]
.LBB224_5:                              ;   Parent Loop BB224_3 Depth=1
                                        ; =>  This Inner Loop Header: Depth=2
	flat_load_b64 v[0:1], v[96:97]
	s_add_nc_u64 s[38:39], s[38:39], 4
	s_wait_xcnt 0x0
	v_add_nc_u64_e32 v[96:97], 32, v[96:97]
	v_cmp_lt_i64_e64 s40, s[38:39], s[20:21]
	s_and_b32 vcc_lo, exec_lo, s40
	s_wait_loadcnt_dscnt 0x0
	ds_store_b64 v35, v[0:1]
	flat_load_b64 v[0:1], v[98:99]
	s_wait_xcnt 0x0
	v_add_nc_u64_e32 v[98:99], 32, v[98:99]
	s_wait_loadcnt_dscnt 0x0
	ds_store_b64 v37, v[0:1]
	s_wait_dscnt 0x0
	s_barrier_signal -1
	s_barrier_wait -1
	ds_load_2addr_b64 v[0:3], v39 offset1:16
	ds_load_b128 v[8:11], v41
	ds_load_2addr_b64 v[4:7], v39 offset0:32 offset1:48
	ds_load_2addr_b64 v[12:15], v39 offset0:64 offset1:80
	;; [unrolled: 1-line block ×3, first 2 shown]
	ds_load_b128 v[100:103], v41 offset:16
	ds_load_2addr_b64 v[104:107], v39 offset0:128 offset1:144
	ds_load_2addr_b64 v[108:111], v39 offset0:160 offset1:176
	;; [unrolled: 1-line block ×4, first 2 shown]
	ds_load_b128 v[120:123], v41 offset:512
	ds_load_b128 v[124:127], v41 offset:528
	;; [unrolled: 1-line block ×6, first 2 shown]
	s_wait_dscnt 0x0
	s_barrier_signal -1
	s_barrier_wait -1
	v_dual_mul_f32 v43, v9, v1 :: v_dual_mul_f32 v45, v8, v1
	v_dual_mul_f32 v47, v9, v3 :: v_dual_mul_f32 v49, v8, v3
	;; [unrolled: 1-line block ×27, first 2 shown]
	v_dual_fma_f32 v43, v8, v0, -v43 :: v_dual_fmac_f32 v45, v9, v0
	v_dual_fma_f32 v47, v8, v2, -v47 :: v_dual_fmac_f32 v49, v9, v2
	;; [unrolled: 1-line block ×6, first 2 shown]
	v_dual_fma_f32 v67, v10, v16, -v67 :: v_dual_fma_f32 v73, v10, v18, -v73
	v_dual_fmac_f32 v71, v11, v16 :: v_dual_mul_f32 v171, v138, v13
	v_dual_fmac_f32 v75, v11, v18 :: v_dual_fma_f32 v77, v120, v0, -v77
	v_pk_mul_f32 v[8:9], v[136:137], v[6:7] op_sel:[1,1] op_sel_hi:[0,1]
	v_dual_mul_f32 v5, v139, v13 :: v_dual_fmac_f32 v79, v121, v0
	v_dual_mov_b32 v10, v139 :: v_dual_mov_b32 v11, v138
	v_dual_fma_f32 v81, v120, v2, -v81 :: v_dual_fmac_f32 v83, v121, v2
	v_dual_fma_f32 v85, v120, v4, -v85 :: v_dual_fmac_f32 v87, v121, v4
	;; [unrolled: 1-line block ×16, first 2 shown]
	v_dual_fma_f32 v159, v136, v2, -v1 :: v_dual_mul_f32 v161, v101, v107
	v_dual_fmac_f32 v169, v137, v2 :: v_dual_mul_f32 v163, v100, v107
	v_dual_fma_f32 v165, v136, v4, -v3 :: v_dual_fmac_f32 v170, v137, v4
	v_pk_fma_f32 v[0:1], v[136:137], v[6:7], v[8:9] neg_lo:[0,0,1] neg_hi:[0,0,1]
	v_pk_fma_f32 v[2:3], v[136:137], v[6:7], v[8:9] op_sel_hi:[1,0,1]
	v_dual_fma_f32 v137, v138, v12, -v5 :: v_dual_fmac_f32 v171, v139, v12
	v_pk_mul_f32 v[4:5], v[10:11], v[18:19] op_sel:[0,1]
	v_dual_mul_f32 v13, v139, v15 :: v_dual_mul_f32 v123, v138, v15
	v_dual_mul_f32 v15, v139, v17 :: v_dual_mul_f32 v17, v138, v17
	s_delay_alu instid0(VALU_DEP_3)
	v_pk_fma_f32 v[6:7], v[138:139], v[18:19], v[4:5] neg_lo:[0,0,1] neg_hi:[0,0,1]
	v_pk_fma_f32 v[4:5], v[138:139], v[18:19], v[4:5] op_sel_hi:[1,0,1]
	v_dual_mul_f32 v131, v101, v105 :: v_dual_mul_f32 v155, v100, v105
	v_dual_mul_f32 v1, v101, v109 :: v_dual_mul_f32 v2, v100, v109
	;; [unrolled: 1-line block ×4, first 2 shown]
	v_dual_mul_f32 v136, v100, v111 :: v_dual_fma_f32 v167, v138, v14, -v13
	v_fmac_f32_e32 v123, v139, v14
	v_dual_mul_f32 v9, v103, v113 :: v_dual_mul_f32 v172, v102, v113
	v_dual_fma_f32 v173, v138, v16, -v15 :: v_dual_fmac_f32 v17, v139, v16
	v_mul_f32_e32 v16, v102, v115
	v_dual_mul_f32 v10, v103, v119 :: v_dual_mul_f32 v19, v102, v119
	v_dual_fma_f32 v131, v100, v104, -v131 :: v_dual_fma_f32 v139, v100, v106, -v161
	v_dual_fmac_f32 v163, v101, v106 :: v_dual_fma_f32 v161, v100, v108, -v1
	v_dual_fma_f32 v4, v102, v114, -v4 :: v_dual_fma_f32 v174, v102, v116, -v7
	v_dual_mul_f32 v1, v125, v107 :: v_dual_mul_f32 v7, v125, v109
	v_mul_f32_e32 v175, v124, v109
	v_dual_mul_f32 v11, v125, v105 :: v_dual_mul_f32 v138, v124, v105
	v_dual_fmac_f32 v155, v101, v104 :: v_dual_fma_f32 v100, v100, v110, -v8
	v_dual_fmac_f32 v2, v101, v108 :: v_dual_fmac_f32 v136, v101, v110
	v_dual_fma_f32 v101, v102, v112, -v9 :: v_dual_fmac_f32 v172, v103, v112
	v_dual_fmac_f32 v16, v103, v114 :: v_dual_fmac_f32 v18, v103, v116
	v_dual_fma_f32 v102, v102, v118, -v10 :: v_dual_fmac_f32 v19, v103, v118
	v_dual_mul_f32 v103, v124, v107 :: v_dual_fma_f32 v177, v124, v106, -v1
	v_dual_fma_f32 v178, v124, v108, -v7 :: v_dual_mul_f32 v1, v125, v111
	v_dual_fma_f32 v176, v124, v104, -v11 :: v_dual_fmac_f32 v138, v125, v104
	v_fmac_f32_e32 v175, v125, v108
	s_delay_alu instid0(VALU_DEP_4) | instskip(NEXT) | instid1(VALU_DEP_4)
	v_fmac_f32_e32 v103, v125, v106
	v_dual_fma_f32 v179, v124, v110, -v1 :: v_dual_mul_f32 v124, v124, v111
	v_dual_mul_f32 v1, v127, v113 :: v_dual_mul_f32 v180, v126, v113
	v_dual_mul_f32 v182, v126, v115 :: v_dual_mul_f32 v184, v126, v117
	s_delay_alu instid0(VALU_DEP_2) | instskip(NEXT) | instid1(VALU_DEP_3)
	v_dual_fmac_f32 v124, v125, v110 :: v_dual_fma_f32 v125, v126, v112, -v1
	v_dual_mul_f32 v1, v127, v115 :: v_dual_fmac_f32 v180, v127, v112
	v_dual_mul_f32 v186, v132, v105 :: v_dual_mul_f32 v188, v132, v107
	s_delay_alu instid0(VALU_DEP_2) | instskip(SKIP_3) | instid1(VALU_DEP_3)
	v_dual_mul_f32 v190, v132, v109 :: v_dual_fma_f32 v181, v126, v114, -v1
	v_dual_mul_f32 v1, v127, v117 :: v_dual_fmac_f32 v182, v127, v114
	v_dual_mul_f32 v192, v134, v113 :: v_dual_mul_f32 v194, v134, v115
	v_mul_f32_e32 v196, v134, v117
	v_dual_fma_f32 v183, v126, v116, -v1 :: v_dual_mul_f32 v1, v127, v119
	v_fmac_f32_e32 v184, v127, v116
	v_pk_mul_f32 v[8:9], v[140:141], v[110:111] op_sel:[1,1] op_sel_hi:[0,1]
	v_dual_mov_b32 v12, v143 :: v_dual_mov_b32 v13, v142
	s_delay_alu instid0(VALU_DEP_4) | instskip(SKIP_1) | instid1(VALU_DEP_4)
	v_dual_fma_f32 v185, v126, v118, -v1 :: v_dual_mul_f32 v126, v126, v119
	v_mul_f32_e32 v1, v133, v105
	v_pk_fma_f32 v[10:11], v[140:141], v[110:111], v[8:9] neg_lo:[0,0,1] neg_hi:[0,0,1]
	v_pk_fma_f32 v[8:9], v[140:141], v[110:111], v[8:9] op_sel_hi:[1,0,1]
	v_pk_mul_f32 v[12:13], v[12:13], v[118:119] op_sel:[0,1]
	s_delay_alu instid0(VALU_DEP_4) | instskip(SKIP_2) | instid1(VALU_DEP_4)
	v_dual_fmac_f32 v126, v127, v118 :: v_dual_fma_f32 v127, v132, v104, -v1
	v_dual_mul_f32 v1, v133, v107 :: v_dual_fmac_f32 v186, v133, v104
	v_add_f32_e32 v42, v42, v168
	v_pk_fma_f32 v[14:15], v[142:143], v[118:119], v[12:13] neg_lo:[0,0,1] neg_hi:[0,0,1]
	v_pk_fma_f32 v[12:13], v[142:143], v[118:119], v[12:13] op_sel_hi:[1,0,1]
	s_delay_alu instid0(VALU_DEP_4) | instskip(SKIP_2) | instid1(VALU_DEP_3)
	v_dual_fma_f32 v187, v132, v106, -v1 :: v_dual_mul_f32 v1, v133, v109
	v_dual_fmac_f32 v188, v133, v106 :: v_dual_add_f32 v12, v90, v43
	v_dual_add_f32 v43, v94, v45 :: v_dual_add_f32 v72, v72, v83
	v_dual_fma_f32 v189, v132, v108, -v1 :: v_dual_mul_f32 v1, v133, v111
	v_dual_fmac_f32 v190, v133, v108 :: v_dual_add_f32 v45, v86, v47
	v_dual_add_f32 v47, v88, v49 :: v_dual_add_f32 v49, v82, v51
	s_delay_alu instid0(VALU_DEP_3) | instskip(SKIP_2) | instid1(VALU_DEP_2)
	v_dual_fma_f32 v191, v132, v110, -v1 :: v_dual_mul_f32 v132, v132, v111
	v_dual_mul_f32 v1, v135, v113 :: v_dual_mul_f32 v111, v142, v115
	v_dual_add_f32 v51, v84, v53 :: v_dual_add_f32 v53, v78, v55
	v_dual_fmac_f32 v132, v133, v110 :: v_dual_fma_f32 v133, v134, v112, -v1
	v_dual_mul_f32 v1, v135, v115 :: v_dual_fmac_f32 v192, v135, v112
	v_add_f32_e32 v55, v80, v57
	v_dual_add_f32 v57, v76, v77 :: v_dual_add_f32 v74, v74, v79
	s_delay_alu instid0(VALU_DEP_3) | instskip(SKIP_3) | instid1(VALU_DEP_3)
	v_dual_add_f32 v64, v64, v85 :: v_dual_fma_f32 v193, v134, v114, -v1
	v_dual_mul_f32 v1, v135, v117 :: v_dual_fmac_f32 v194, v135, v114
	v_dual_add_f32 v70, v70, v81 :: v_dual_add_f32 v52, v52, v147
	v_dual_add_f32 v66, v66, v87 :: v_dual_add_f32 v60, v60, v89
	v_dual_fma_f32 v195, v134, v116, -v1 :: v_dual_mul_f32 v1, v135, v119
	v_dual_fmac_f32 v196, v135, v116 :: v_dual_add_f32 v62, v62, v91
	v_dual_add_f32 v56, v56, v145 :: v_dual_add_f32 v58, v58, v152
	s_delay_alu instid0(VALU_DEP_3) | instskip(SKIP_2) | instid1(VALU_DEP_2)
	v_dual_add_f32 v48, v48, v149 :: v_dual_fma_f32 v197, v134, v118, -v1
	v_dual_mul_f32 v134, v134, v119 :: v_dual_mul_f32 v1, v141, v105
	v_dual_mul_f32 v105, v140, v105 :: v_dual_add_f32 v54, v54, v154
	v_dual_add_f32 v44, v44, v128 :: v_dual_fmac_f32 v134, v135, v118
	s_delay_alu instid0(VALU_DEP_3) | instskip(NEXT) | instid1(VALU_DEP_3)
	v_dual_fma_f32 v135, v140, v104, -v1 :: v_dual_mul_f32 v1, v141, v107
	v_dual_fmac_f32 v105, v141, v104 :: v_dual_mul_f32 v107, v140, v107
	v_dual_add_f32 v50, v50, v156 :: v_dual_add_f32 v40, v40, v157
	s_delay_alu instid0(VALU_DEP_3) | instskip(NEXT) | instid1(VALU_DEP_3)
	v_dual_fma_f32 v104, v140, v106, -v1 :: v_dual_mul_f32 v1, v141, v109
	v_dual_mul_f32 v109, v140, v109 :: v_dual_fmac_f32 v107, v141, v106
	v_dual_add_f32 v46, v46, v158 :: v_dual_add_f32 v36, v36, v159
	s_delay_alu instid0(VALU_DEP_3) | instskip(NEXT) | instid1(VALU_DEP_3)
	v_dual_fma_f32 v106, v140, v108, -v1 :: v_dual_mul_f32 v1, v143, v113
	v_dual_fmac_f32 v109, v141, v108 :: v_dual_mul_f32 v108, v142, v113
	v_mul_f32_e32 v113, v142, v117
	v_dual_add_f32 v20, v20, v165 :: v_dual_add_f32 v34, v34, v170
	s_delay_alu instid0(VALU_DEP_3) | instskip(NEXT) | instid1(VALU_DEP_3)
	v_dual_fma_f32 v8, v142, v112, -v1 :: v_dual_fmac_f32 v108, v143, v112
	v_dual_mul_f32 v1, v143, v115 :: v_dual_fmac_f32 v113, v143, v116
	v_dual_mov_b32 v7, v5 :: v_dual_mov_b32 v15, v13
	s_delay_alu instid0(VALU_DEP_2) | instskip(SKIP_3) | instid1(VALU_DEP_3)
	v_dual_mov_b32 v11, v9 :: v_dual_fma_f32 v110, v142, v114, -v1
	v_dual_fmac_f32 v111, v143, v114 :: v_dual_mul_f32 v1, v143, v117
	v_dual_add_f32 v5, v12, v59 :: v_dual_add_f32 v9, v43, v61
	v_dual_add_f32 v12, v45, v63 :: v_dual_add_f32 v13, v47, v65
	v_dual_fma_f32 v112, v142, v116, -v1 :: v_dual_mov_b32 v1, v3
	v_add_f32_e32 v3, v38, v169
	v_dual_add_f32 v38, v53, v73 :: v_dual_add_f32 v43, v55, v75
	v_add_f32_e32 v45, v57, v95
	s_delay_alu instid0(VALU_DEP_4)
	v_pk_add_f32 v[0:1], v[32:33], v[0:1]
	v_dual_add_f32 v32, v49, v67 :: v_dual_add_f32 v47, v74, v144
	v_dual_add_f32 v33, v51, v71 :: v_dual_add_f32 v49, v70, v120
	v_add_f32_e32 v51, v72, v146
	v_dual_add_f32 v53, v64, v121 :: v_dual_add_f32 v55, v66, v148
	v_dual_add_f32 v57, v60, v122 :: v_dual_add_f32 v58, v58, v160
	;; [unrolled: 1-line block ×9, first 2 shown]
	v_pk_add_f32 v[0:1], v[0:1], v[6:7]
	v_add_f32_e32 v5, v5, v131
	v_add_f32_e32 v6, v9, v155
	v_dual_add_f32 v7, v12, v139 :: v_dual_add_f32 v2, v33, v2
	v_dual_add_f32 v9, v13, v163 :: v_dual_add_f32 v12, v32, v161
	v_add_f32_e32 v13, v38, v100
	v_add_f32_e32 v32, v43, v136
	v_dual_add_f32 v33, v45, v176 :: v_dual_add_f32 v34, v47, v138
	v_dual_add_f32 v38, v49, v177 :: v_dual_add_f32 v43, v51, v103
	;; [unrolled: 1-line block ×11, first 2 shown]
	v_pk_add_f32 v[0:1], v[0:1], v[10:11]
	v_dual_add_f32 v90, v5, v101 :: v_dual_add_f32 v94, v6, v172
	v_dual_add_f32 v86, v7, v4 :: v_dual_add_f32 v82, v12, v174
	;; [unrolled: 1-line block ×15, first 2 shown]
	v_pk_add_f32 v[32:33], v[0:1], v[14:15]
	s_cbranch_vccnz .LBB224_5
.LBB224_6:                              ;   in Loop: Header=BB224_3 Depth=1
	s_wait_loadcnt 0x0
	s_wait_xcnt 0x0
	v_add_nc_u64_e32 v[0:1], s[26:27], v[92:93]
	s_and_not1_b32 vcc_lo, exec_lo, s1
	s_mov_b32 s38, -1
                                        ; implicit-def: $vgpr4
                                        ; implicit-def: $vgpr2_vgpr3
	s_cbranch_vccz .LBB224_8
; %bb.7:                                ;   in Loop: Header=BB224_3 Depth=1
	s_and_not1_b32 vcc_lo, exec_lo, s38
	s_cbranch_vccnz .LBB224_2
	s_branch .LBB224_9
.LBB224_8:                              ;   in Loop: Header=BB224_3 Depth=1
	v_mov_b64_e32 v[2:3], s[6:7]
	v_mov_b64_e32 v[8:9], s[22:23]
	v_lshlrev_b64_e32 v[4:5], 3, v[26:27]
	v_lshl_add_u64 v[6:7], v[22:23], 3, v[0:1]
	s_delay_alu instid0(VALU_DEP_4)
	v_pk_mul_f32 v[10:11], v[94:95], v[2:3] op_sel_hi:[0,1]
	v_pk_mul_f32 v[12:13], v[88:89], v[2:3] op_sel_hi:[0,1]
	;; [unrolled: 1-line block ×4, first 2 shown]
	v_add_nc_u64_e32 v[18:19], v[6:7], v[4:5]
	v_pk_fma_f32 v[92:93], v[90:91], v[8:9], v[10:11] neg_lo:[0,0,1] neg_hi:[0,0,1]
	v_pk_fma_f32 v[10:11], v[90:91], v[8:9], v[10:11] op_sel_hi:[0,1,1]
	v_pk_fma_f32 v[96:97], v[86:87], v[8:9], v[12:13] op_sel_hi:[0,1,1]
	;; [unrolled: 1-line block ×4, first 2 shown]
	v_pk_fma_f32 v[12:13], v[86:87], v[8:9], v[12:13] neg_lo:[0,0,1] neg_hi:[0,0,1]
	s_delay_alu instid0(VALU_DEP_4)
	v_dual_mov_b32 v93, v11 :: v_dual_mov_b32 v13, v97
	v_pk_fma_f32 v[10:11], v[82:83], v[8:9], v[14:15] neg_lo:[0,0,1] neg_hi:[0,0,1]
	v_mov_b32_e32 v11, v99
	v_pk_fma_f32 v[14:15], v[78:79], v[8:9], v[16:17] neg_lo:[0,0,1] neg_hi:[0,0,1]
	v_mov_b32_e32 v15, v101
	v_pk_mul_f32 v[16:17], v[74:75], v[2:3] op_sel_hi:[0,1]
	s_clause 0x3
	flat_store_b64 v[18:19], v[92:93]
	flat_store_b64 v[18:19], v[12:13] offset:128
	flat_store_b64 v[18:19], v[10:11] offset:256
	;; [unrolled: 1-line block ×3, first 2 shown]
	s_wait_xcnt 0x1
	v_pk_mul_f32 v[10:11], v[72:73], v[2:3] op_sel_hi:[0,1]
	s_wait_xcnt 0x0
	v_pk_mul_f32 v[18:19], v[66:67], v[2:3] op_sel_hi:[0,1]
	v_add_nc_u64_e32 v[6:7], s[36:37], v[6:7]
	v_pk_fma_f32 v[14:15], v[76:77], v[8:9], v[16:17] op_sel_hi:[0,1,1]
	v_pk_mul_f32 v[96:97], v[62:63], v[2:3] op_sel_hi:[0,1]
	v_pk_fma_f32 v[92:93], v[70:71], v[8:9], v[10:11] op_sel_hi:[0,1,1]
	v_pk_fma_f32 v[16:17], v[76:77], v[8:9], v[16:17] neg_lo:[0,0,1] neg_hi:[0,0,1]
	v_pk_fma_f32 v[10:11], v[70:71], v[8:9], v[10:11] neg_lo:[0,0,1] neg_hi:[0,0,1]
	v_mov_b32_e32 v17, v15
	v_pk_fma_f32 v[14:15], v[64:65], v[8:9], v[18:19] op_sel_hi:[0,1,1]
	v_mov_b32_e32 v11, v93
	v_pk_fma_f32 v[92:93], v[60:61], v[8:9], v[96:97] op_sel_hi:[0,1,1]
	v_add_nc_u64_e32 v[12:13], v[6:7], v[4:5]
	v_pk_fma_f32 v[18:19], v[64:65], v[8:9], v[18:19] neg_lo:[0,0,1] neg_hi:[0,0,1]
	v_mov_b32_e32 v19, v15
	v_pk_fma_f32 v[14:15], v[60:61], v[8:9], v[96:97] neg_lo:[0,0,1] neg_hi:[0,0,1]
	v_mov_b32_e32 v15, v93
	v_pk_mul_f32 v[92:93], v[58:59], v[2:3] op_sel_hi:[0,1]
	v_add_nc_u64_e32 v[6:7], s[36:37], v[6:7]
	s_clause 0x3
	flat_store_b64 v[12:13], v[16:17]
	flat_store_b64 v[12:13], v[10:11] offset:128
	flat_store_b64 v[12:13], v[18:19] offset:256
	;; [unrolled: 1-line block ×3, first 2 shown]
	s_wait_xcnt 0x0
	v_pk_mul_f32 v[12:13], v[54:55], v[2:3] op_sel_hi:[0,1]
	v_pk_mul_f32 v[16:17], v[50:51], v[2:3] op_sel_hi:[0,1]
	v_pk_fma_f32 v[14:15], v[56:57], v[8:9], v[92:93] op_sel_hi:[0,1,1]
	v_pk_fma_f32 v[18:19], v[56:57], v[8:9], v[92:93] neg_lo:[0,0,1] neg_hi:[0,0,1]
	v_pk_mul_f32 v[92:93], v[46:47], v[2:3] op_sel_hi:[0,1]
	v_pk_fma_f32 v[96:97], v[52:53], v[8:9], v[12:13] op_sel_hi:[0,1,1]
	v_add_nc_u64_e32 v[10:11], v[6:7], v[4:5]
	v_mov_b32_e32 v19, v15
	v_pk_fma_f32 v[14:15], v[48:49], v[8:9], v[16:17] op_sel_hi:[0,1,1]
	v_pk_fma_f32 v[98:99], v[44:45], v[8:9], v[92:93] op_sel_hi:[0,1,1]
	v_pk_fma_f32 v[12:13], v[52:53], v[8:9], v[12:13] neg_lo:[0,0,1] neg_hi:[0,0,1]
	v_mov_b32_e32 v13, v97
	v_pk_fma_f32 v[16:17], v[48:49], v[8:9], v[16:17] neg_lo:[0,0,1] neg_hi:[0,0,1]
	v_mov_b32_e32 v17, v15
	;; [unrolled: 2-line block ×3, first 2 shown]
	v_add_nc_u64_e32 v[6:7], s[36:37], v[6:7]
	v_pk_mul_f32 v[92:93], v[42:43], v[2:3] op_sel_hi:[0,1]
	s_clause 0x3
	flat_store_b64 v[10:11], v[18:19]
	flat_store_b64 v[10:11], v[12:13] offset:128
	flat_store_b64 v[10:11], v[16:17] offset:256
	;; [unrolled: 1-line block ×3, first 2 shown]
	s_wait_xcnt 0x0
	v_pk_mul_f32 v[10:11], v[38:39], v[2:3] op_sel_hi:[0,1]
	v_pk_fma_f32 v[12:13], v[40:41], v[8:9], v[92:93] op_sel_hi:[0,1,1]
	v_add_nc_u64_e32 v[6:7], v[6:7], v[4:5]
	v_pk_mul_f32 v[4:5], v[34:35], v[2:3] op_sel_hi:[0,1]
	s_delay_alu instid0(VALU_DEP_4)
	v_pk_fma_f32 v[16:17], v[36:37], v[8:9], v[10:11] op_sel_hi:[0,1,1]
	v_pk_fma_f32 v[14:15], v[40:41], v[8:9], v[92:93] neg_lo:[0,0,1] neg_hi:[0,0,1]
	v_pk_fma_f32 v[10:11], v[36:37], v[8:9], v[10:11] neg_lo:[0,0,1] neg_hi:[0,0,1]
	v_mov_b32_e32 v15, v13
	v_pk_fma_f32 v[12:13], v[20:21], v[8:9], v[4:5] op_sel_hi:[0,1,1]
	v_mov_b32_e32 v11, v17
	v_pk_mul_f32 v[16:17], v[32:33], v[2:3]
	v_mul_f32_e32 v12, s22, v32
	v_add_nc_u64_e32 v[2:3], 0x180, v[6:7]
	v_pk_fma_f32 v[8:9], v[20:21], v[8:9], v[4:5] neg_lo:[0,0,1] neg_hi:[0,0,1]
	s_delay_alu instid0(VALU_DEP_4) | instskip(NEXT) | instid1(VALU_DEP_4)
	v_dual_mov_b32 v9, v13 :: v_dual_add_f32 v4, v16, v17
	v_fma_f32 v5, -v33, s6, v12
	s_clause 0x3
	flat_store_b64 v[6:7], v[14:15]
	flat_store_b64 v[6:7], v[10:11] offset:128
	flat_store_b64 v[6:7], v[8:9] offset:256
	flat_store_b32 v[6:7], v5 offset:384
	s_cbranch_execnz .LBB224_2
.LBB224_9:                              ;   in Loop: Header=BB224_3 Depth=1
	v_add_nc_u64_e32 v[2:3], s[16:17], v[68:69]
	s_wait_xcnt 0x0
	v_lshlrev_b64_e32 v[4:5], 3, v[26:27]
	v_mov_b64_e32 v[10:11], s[6:7]
	v_mov_b64_e32 v[12:13], s[8:9]
	;; [unrolled: 1-line block ×4, first 2 shown]
	v_lshl_add_u64 v[0:1], v[22:23], 3, v[0:1]
	v_lshl_add_u64 v[2:3], v[24:25], 3, v[2:3]
	v_pk_mul_f32 v[16:17], v[94:95], v[10:11] op_sel_hi:[0,1]
	s_delay_alu instid0(VALU_DEP_2) | instskip(SKIP_1) | instid1(VALU_DEP_3)
	v_add_nc_u64_e32 v[6:7], v[2:3], v[4:5]
	v_add_nc_u64_e32 v[2:3], s[30:31], v[2:3]
	v_pk_fma_f32 v[92:93], v[90:91], v[14:15], v[16:17] op_sel_hi:[0,1,1]
	v_pk_fma_f32 v[16:17], v[90:91], v[14:15], v[16:17] neg_lo:[0,0,1] neg_hi:[0,0,1]
	flat_load_b64 v[8:9], v[6:7]
	s_wait_loadcnt_dscnt 0x0
	v_pk_mul_f32 v[68:69], v[8:9], v[12:13]
	s_delay_alu instid0(VALU_DEP_1)
	v_pk_fma_f32 v[94:95], v[8:9], v[18:19], v[68:69] op_sel:[0,0,1] op_sel_hi:[1,1,0]
	v_pk_fma_f32 v[8:9], v[8:9], v[18:19], v[68:69] op_sel:[0,0,1] op_sel_hi:[1,1,0] neg_lo:[0,0,1] neg_hi:[0,0,1]
	v_mov_b32_e32 v17, v93
	v_add_nc_u64_e32 v[68:69], v[0:1], v[4:5]
	v_add_nc_u64_e32 v[0:1], s[36:37], v[0:1]
	v_mov_b32_e32 v9, v95
	s_delay_alu instid0(VALU_DEP_1)
	v_pk_add_f32 v[8:9], v[16:17], v[8:9]
	v_pk_mul_f32 v[16:17], v[88:89], v[10:11] op_sel_hi:[0,1]
	flat_store_b64 v[68:69], v[8:9]
	flat_load_b64 v[8:9], v[6:7] offset:128
	v_pk_fma_f32 v[90:91], v[86:87], v[14:15], v[16:17] op_sel_hi:[0,1,1]
	v_pk_fma_f32 v[16:17], v[86:87], v[14:15], v[16:17] neg_lo:[0,0,1] neg_hi:[0,0,1]
	s_wait_loadcnt_dscnt 0x0
	v_pk_mul_f32 v[88:89], v[8:9], v[12:13]
	s_delay_alu instid0(VALU_DEP_1) | instskip(SKIP_1) | instid1(VALU_DEP_2)
	v_pk_fma_f32 v[92:93], v[8:9], v[18:19], v[88:89] op_sel:[0,0,1] op_sel_hi:[1,1,0]
	v_pk_fma_f32 v[8:9], v[8:9], v[18:19], v[88:89] op_sel:[0,0,1] op_sel_hi:[1,1,0] neg_lo:[0,0,1] neg_hi:[0,0,1]
	v_dual_mov_b32 v17, v91 :: v_dual_mov_b32 v9, v93
	s_delay_alu instid0(VALU_DEP_1)
	v_pk_add_f32 v[8:9], v[16:17], v[8:9]
	v_pk_mul_f32 v[16:17], v[84:85], v[10:11] op_sel_hi:[0,1]
	flat_store_b64 v[68:69], v[8:9] offset:128
	flat_load_b64 v[8:9], v[6:7] offset:256
	v_pk_fma_f32 v[86:87], v[82:83], v[14:15], v[16:17] op_sel_hi:[0,1,1]
	v_pk_fma_f32 v[16:17], v[82:83], v[14:15], v[16:17] neg_lo:[0,0,1] neg_hi:[0,0,1]
	s_wait_loadcnt_dscnt 0x0
	v_pk_mul_f32 v[84:85], v[8:9], v[12:13]
	s_delay_alu instid0(VALU_DEP_1) | instskip(SKIP_1) | instid1(VALU_DEP_2)
	v_pk_fma_f32 v[88:89], v[8:9], v[18:19], v[84:85] op_sel:[0,0,1] op_sel_hi:[1,1,0]
	v_pk_fma_f32 v[8:9], v[8:9], v[18:19], v[84:85] op_sel:[0,0,1] op_sel_hi:[1,1,0] neg_lo:[0,0,1] neg_hi:[0,0,1]
	v_dual_mov_b32 v17, v87 :: v_dual_mov_b32 v9, v89
	s_delay_alu instid0(VALU_DEP_1) | instskip(SKIP_4) | instid1(VALU_DEP_1)
	v_pk_add_f32 v[8:9], v[16:17], v[8:9]
	flat_store_b64 v[68:69], v[8:9] offset:256
	flat_load_b64 v[6:7], v[6:7] offset:384
	s_wait_xcnt 0x1
	v_pk_mul_f32 v[8:9], v[80:81], v[10:11] op_sel_hi:[0,1]
	v_pk_fma_f32 v[80:81], v[78:79], v[14:15], v[8:9] op_sel_hi:[0,1,1]
	v_pk_fma_f32 v[8:9], v[78:79], v[14:15], v[8:9] neg_lo:[0,0,1] neg_hi:[0,0,1]
	s_wait_loadcnt_dscnt 0x0
	v_pk_mul_f32 v[16:17], v[6:7], v[12:13]
	s_delay_alu instid0(VALU_DEP_1)
	v_pk_fma_f32 v[82:83], v[6:7], v[18:19], v[16:17] op_sel:[0,0,1] op_sel_hi:[1,1,0]
	s_wait_xcnt 0x0
	v_pk_fma_f32 v[6:7], v[6:7], v[18:19], v[16:17] op_sel:[0,0,1] op_sel_hi:[1,1,0] neg_lo:[0,0,1] neg_hi:[0,0,1]
	v_mov_b32_e32 v9, v81
	v_add_nc_u64_e32 v[16:17], v[2:3], v[4:5]
	v_add_nc_u64_e32 v[2:3], s[30:31], v[2:3]
	v_mov_b32_e32 v7, v83
	s_delay_alu instid0(VALU_DEP_1)
	v_pk_add_f32 v[6:7], v[8:9], v[6:7]
	v_pk_mul_f32 v[8:9], v[74:75], v[10:11] op_sel_hi:[0,1]
	flat_store_b64 v[68:69], v[6:7] offset:384
	flat_load_b64 v[6:7], v[16:17]
	v_pk_fma_f32 v[74:75], v[76:77], v[14:15], v[8:9] op_sel_hi:[0,1,1]
	v_pk_fma_f32 v[8:9], v[76:77], v[14:15], v[8:9] neg_lo:[0,0,1] neg_hi:[0,0,1]
	s_wait_loadcnt_dscnt 0x0
	v_pk_mul_f32 v[68:69], v[6:7], v[12:13]
	s_delay_alu instid0(VALU_DEP_1)
	v_pk_fma_f32 v[78:79], v[6:7], v[18:19], v[68:69] op_sel:[0,0,1] op_sel_hi:[1,1,0]
	v_pk_fma_f32 v[6:7], v[6:7], v[18:19], v[68:69] op_sel:[0,0,1] op_sel_hi:[1,1,0] neg_lo:[0,0,1] neg_hi:[0,0,1]
	v_mov_b32_e32 v9, v75
	v_add_nc_u64_e32 v[68:69], v[0:1], v[4:5]
	v_add_nc_u64_e32 v[0:1], s[36:37], v[0:1]
	v_mov_b32_e32 v7, v79
	s_delay_alu instid0(VALU_DEP_1)
	v_pk_add_f32 v[6:7], v[8:9], v[6:7]
	v_pk_mul_f32 v[8:9], v[72:73], v[10:11] op_sel_hi:[0,1]
	flat_store_b64 v[68:69], v[6:7]
	flat_load_b64 v[6:7], v[16:17] offset:128
	v_pk_fma_f32 v[74:75], v[70:71], v[14:15], v[8:9] op_sel_hi:[0,1,1]
	v_pk_fma_f32 v[8:9], v[70:71], v[14:15], v[8:9] neg_lo:[0,0,1] neg_hi:[0,0,1]
	s_wait_loadcnt_dscnt 0x0
	v_pk_mul_f32 v[72:73], v[6:7], v[12:13]
	s_delay_alu instid0(VALU_DEP_1) | instskip(SKIP_1) | instid1(VALU_DEP_2)
	v_pk_fma_f32 v[76:77], v[6:7], v[18:19], v[72:73] op_sel:[0,0,1] op_sel_hi:[1,1,0]
	v_pk_fma_f32 v[6:7], v[6:7], v[18:19], v[72:73] op_sel:[0,0,1] op_sel_hi:[1,1,0] neg_lo:[0,0,1] neg_hi:[0,0,1]
	v_dual_mov_b32 v9, v75 :: v_dual_mov_b32 v7, v77
	s_delay_alu instid0(VALU_DEP_1)
	v_pk_add_f32 v[6:7], v[8:9], v[6:7]
	v_pk_mul_f32 v[8:9], v[66:67], v[10:11] op_sel_hi:[0,1]
	flat_store_b64 v[68:69], v[6:7] offset:128
	flat_load_b64 v[6:7], v[16:17] offset:256
	v_pk_fma_f32 v[70:71], v[64:65], v[14:15], v[8:9] op_sel_hi:[0,1,1]
	v_pk_fma_f32 v[8:9], v[64:65], v[14:15], v[8:9] neg_lo:[0,0,1] neg_hi:[0,0,1]
	s_wait_loadcnt_dscnt 0x0
	v_pk_mul_f32 v[66:67], v[6:7], v[12:13]
	s_delay_alu instid0(VALU_DEP_1) | instskip(SKIP_1) | instid1(VALU_DEP_2)
	v_pk_fma_f32 v[72:73], v[6:7], v[18:19], v[66:67] op_sel:[0,0,1] op_sel_hi:[1,1,0]
	v_pk_fma_f32 v[6:7], v[6:7], v[18:19], v[66:67] op_sel:[0,0,1] op_sel_hi:[1,1,0] neg_lo:[0,0,1] neg_hi:[0,0,1]
	v_dual_mov_b32 v9, v71 :: v_dual_mov_b32 v7, v73
	s_delay_alu instid0(VALU_DEP_1)
	v_pk_add_f32 v[6:7], v[8:9], v[6:7]
	v_pk_mul_f32 v[8:9], v[62:63], v[10:11] op_sel_hi:[0,1]
	flat_store_b64 v[68:69], v[6:7] offset:256
	flat_load_b64 v[6:7], v[16:17] offset:384
	v_pk_fma_f32 v[62:63], v[60:61], v[14:15], v[8:9] op_sel_hi:[0,1,1]
	v_pk_fma_f32 v[8:9], v[60:61], v[14:15], v[8:9] neg_lo:[0,0,1] neg_hi:[0,0,1]
	s_wait_loadcnt_dscnt 0x0
	s_wait_xcnt 0x0
	v_pk_mul_f32 v[16:17], v[6:7], v[12:13]
	s_delay_alu instid0(VALU_DEP_1)
	v_pk_fma_f32 v[64:65], v[6:7], v[18:19], v[16:17] op_sel:[0,0,1] op_sel_hi:[1,1,0]
	v_pk_fma_f32 v[6:7], v[6:7], v[18:19], v[16:17] op_sel:[0,0,1] op_sel_hi:[1,1,0] neg_lo:[0,0,1] neg_hi:[0,0,1]
	v_mov_b32_e32 v9, v63
	v_add_nc_u64_e32 v[16:17], v[2:3], v[4:5]
	v_add_nc_u64_e32 v[2:3], s[30:31], v[2:3]
	v_mov_b32_e32 v7, v65
	s_delay_alu instid0(VALU_DEP_1) | instskip(SKIP_1) | instid1(VALU_DEP_4)
	v_pk_add_f32 v[6:7], v[8:9], v[6:7]
	v_pk_mul_f32 v[8:9], v[58:59], v[10:11] op_sel_hi:[0,1]
	v_add_nc_u64_e32 v[2:3], v[2:3], v[4:5]
	flat_store_b64 v[68:69], v[6:7] offset:384
	flat_load_b64 v[6:7], v[16:17]
	v_pk_fma_f32 v[60:61], v[56:57], v[14:15], v[8:9] op_sel_hi:[0,1,1]
	v_pk_fma_f32 v[8:9], v[56:57], v[14:15], v[8:9] neg_lo:[0,0,1] neg_hi:[0,0,1]
	v_add_nc_u64_e32 v[56:57], v[0:1], v[4:5]
	v_add_nc_u64_e32 v[0:1], s[36:37], v[0:1]
	s_delay_alu instid0(VALU_DEP_1) | instskip(SKIP_2) | instid1(VALU_DEP_1)
	v_add_nc_u64_e32 v[0:1], v[0:1], v[4:5]
	s_wait_loadcnt_dscnt 0x0
	v_pk_mul_f32 v[58:59], v[6:7], v[12:13]
	v_pk_fma_f32 v[62:63], v[6:7], v[18:19], v[58:59] op_sel:[0,0,1] op_sel_hi:[1,1,0]
	v_pk_fma_f32 v[6:7], v[6:7], v[18:19], v[58:59] op_sel:[0,0,1] op_sel_hi:[1,1,0] neg_lo:[0,0,1] neg_hi:[0,0,1]
	s_delay_alu instid0(VALU_DEP_2) | instskip(NEXT) | instid1(VALU_DEP_1)
	v_dual_mov_b32 v9, v61 :: v_dual_mov_b32 v7, v63
	v_pk_add_f32 v[6:7], v[8:9], v[6:7]
	v_pk_mul_f32 v[8:9], v[54:55], v[10:11] op_sel_hi:[0,1]
	flat_store_b64 v[56:57], v[6:7]
	flat_load_b64 v[6:7], v[16:17] offset:128
	v_pk_fma_f32 v[58:59], v[52:53], v[14:15], v[8:9] op_sel_hi:[0,1,1]
	v_pk_fma_f32 v[8:9], v[52:53], v[14:15], v[8:9] neg_lo:[0,0,1] neg_hi:[0,0,1]
	s_wait_loadcnt_dscnt 0x0
	v_pk_mul_f32 v[54:55], v[6:7], v[12:13]
	s_delay_alu instid0(VALU_DEP_1) | instskip(SKIP_1) | instid1(VALU_DEP_2)
	v_pk_fma_f32 v[60:61], v[6:7], v[18:19], v[54:55] op_sel:[0,0,1] op_sel_hi:[1,1,0]
	v_pk_fma_f32 v[6:7], v[6:7], v[18:19], v[54:55] op_sel:[0,0,1] op_sel_hi:[1,1,0] neg_lo:[0,0,1] neg_hi:[0,0,1]
	v_dual_mov_b32 v9, v59 :: v_dual_mov_b32 v7, v61
	s_delay_alu instid0(VALU_DEP_1)
	v_pk_add_f32 v[6:7], v[8:9], v[6:7]
	v_pk_mul_f32 v[8:9], v[50:51], v[10:11] op_sel_hi:[0,1]
	flat_store_b64 v[56:57], v[6:7] offset:128
	flat_load_b64 v[6:7], v[16:17] offset:256
	v_pk_fma_f32 v[52:53], v[48:49], v[14:15], v[8:9] op_sel_hi:[0,1,1]
	v_pk_fma_f32 v[8:9], v[48:49], v[14:15], v[8:9] neg_lo:[0,0,1] neg_hi:[0,0,1]
	s_wait_loadcnt_dscnt 0x0
	v_pk_mul_f32 v[50:51], v[6:7], v[12:13]
	s_delay_alu instid0(VALU_DEP_1) | instskip(SKIP_1) | instid1(VALU_DEP_2)
	v_pk_fma_f32 v[54:55], v[6:7], v[18:19], v[50:51] op_sel:[0,0,1] op_sel_hi:[1,1,0]
	v_pk_fma_f32 v[6:7], v[6:7], v[18:19], v[50:51] op_sel:[0,0,1] op_sel_hi:[1,1,0] neg_lo:[0,0,1] neg_hi:[0,0,1]
	v_dual_mov_b32 v9, v53 :: v_dual_mov_b32 v7, v55
	s_delay_alu instid0(VALU_DEP_1)
	v_pk_add_f32 v[6:7], v[8:9], v[6:7]
	v_pk_mul_f32 v[8:9], v[46:47], v[10:11] op_sel_hi:[0,1]
	flat_store_b64 v[56:57], v[6:7] offset:256
	flat_load_b64 v[6:7], v[16:17] offset:384
	v_pk_fma_f32 v[46:47], v[44:45], v[14:15], v[8:9] op_sel_hi:[0,1,1]
	v_pk_fma_f32 v[8:9], v[44:45], v[14:15], v[8:9] neg_lo:[0,0,1] neg_hi:[0,0,1]
	s_wait_loadcnt_dscnt 0x0
	s_wait_xcnt 0x0
	v_pk_mul_f32 v[16:17], v[6:7], v[12:13]
	s_delay_alu instid0(VALU_DEP_1) | instskip(SKIP_1) | instid1(VALU_DEP_2)
	v_pk_fma_f32 v[48:49], v[6:7], v[18:19], v[16:17] op_sel:[0,0,1] op_sel_hi:[1,1,0]
	v_pk_fma_f32 v[6:7], v[6:7], v[18:19], v[16:17] op_sel:[0,0,1] op_sel_hi:[1,1,0] neg_lo:[0,0,1] neg_hi:[0,0,1]
	v_dual_mov_b32 v9, v47 :: v_dual_mov_b32 v7, v49
	s_delay_alu instid0(VALU_DEP_1)
	v_pk_add_f32 v[6:7], v[8:9], v[6:7]
	v_pk_mul_f32 v[8:9], v[42:43], v[10:11] op_sel_hi:[0,1]
	flat_store_b64 v[56:57], v[6:7] offset:384
	flat_load_b64 v[6:7], v[2:3]
	v_pk_fma_f32 v[42:43], v[40:41], v[14:15], v[8:9] op_sel_hi:[0,1,1]
	v_pk_fma_f32 v[8:9], v[40:41], v[14:15], v[8:9] neg_lo:[0,0,1] neg_hi:[0,0,1]
	s_wait_loadcnt_dscnt 0x0
	v_pk_mul_f32 v[16:17], v[6:7], v[12:13]
	s_delay_alu instid0(VALU_DEP_1) | instskip(SKIP_1) | instid1(VALU_DEP_2)
	v_pk_fma_f32 v[44:45], v[6:7], v[18:19], v[16:17] op_sel:[0,0,1] op_sel_hi:[1,1,0]
	v_pk_fma_f32 v[6:7], v[6:7], v[18:19], v[16:17] op_sel:[0,0,1] op_sel_hi:[1,1,0] neg_lo:[0,0,1] neg_hi:[0,0,1]
	v_dual_mov_b32 v9, v43 :: v_dual_mov_b32 v7, v45
	s_delay_alu instid0(VALU_DEP_1)
	v_pk_add_f32 v[4:5], v[8:9], v[6:7]
	v_pk_mul_f32 v[6:7], v[38:39], v[10:11] op_sel_hi:[0,1]
	flat_store_b64 v[0:1], v[4:5]
	flat_load_b64 v[4:5], v[2:3] offset:128
	v_pk_fma_f32 v[16:17], v[36:37], v[14:15], v[6:7] op_sel_hi:[0,1,1]
	v_pk_fma_f32 v[6:7], v[36:37], v[14:15], v[6:7] neg_lo:[0,0,1] neg_hi:[0,0,1]
	s_wait_loadcnt_dscnt 0x0
	v_pk_mul_f32 v[8:9], v[4:5], v[12:13]
	s_delay_alu instid0(VALU_DEP_1) | instskip(SKIP_1) | instid1(VALU_DEP_2)
	v_pk_fma_f32 v[42:43], v[4:5], v[18:19], v[8:9] op_sel:[0,0,1] op_sel_hi:[1,1,0]
	v_pk_fma_f32 v[4:5], v[4:5], v[18:19], v[8:9] op_sel:[0,0,1] op_sel_hi:[1,1,0] neg_lo:[0,0,1] neg_hi:[0,0,1]
	v_dual_mov_b32 v7, v17 :: v_dual_mov_b32 v5, v43
	s_delay_alu instid0(VALU_DEP_1)
	v_pk_add_f32 v[4:5], v[6:7], v[4:5]
	v_pk_mul_f32 v[6:7], v[34:35], v[10:11] op_sel_hi:[0,1]
	flat_store_b64 v[0:1], v[4:5] offset:128
	flat_load_b64 v[4:5], v[2:3] offset:256
	v_pk_fma_f32 v[10:11], v[20:21], v[14:15], v[6:7] op_sel_hi:[0,1,1]
	v_pk_fma_f32 v[6:7], v[20:21], v[14:15], v[6:7] neg_lo:[0,0,1] neg_hi:[0,0,1]
	s_wait_loadcnt_dscnt 0x0
	v_pk_mul_f32 v[8:9], v[4:5], v[12:13]
	s_delay_alu instid0(VALU_DEP_1) | instskip(SKIP_2) | instid1(VALU_DEP_3)
	v_pk_fma_f32 v[12:13], v[4:5], v[18:19], v[8:9] op_sel:[0,0,1] op_sel_hi:[1,1,0]
	v_pk_fma_f32 v[4:5], v[4:5], v[18:19], v[8:9] op_sel:[0,0,1] op_sel_hi:[1,1,0] neg_lo:[0,0,1] neg_hi:[0,0,1]
	v_dual_mov_b32 v7, v11 :: v_dual_mul_f32 v9, s22, v32
	v_mov_b32_e32 v5, v13
	s_delay_alu instid0(VALU_DEP_2) | instskip(NEXT) | instid1(VALU_DEP_2)
	v_fma_f32 v9, -v33, s6, v9
	v_pk_add_f32 v[4:5], v[6:7], v[4:5]
	flat_store_b64 v[0:1], v[4:5] offset:256
	flat_load_b64 v[2:3], v[2:3] offset:384
	s_wait_xcnt 0x1
	v_mov_b64_e32 v[4:5], s[24:25]
	s_wait_loadcnt_dscnt 0x0
	v_dual_mul_f32 v6, s35, v3 :: v_dual_mov_b32 v7, v2
	s_delay_alu instid0(VALU_DEP_1) | instskip(SKIP_2) | instid1(VALU_DEP_1)
	v_fma_f32 v8, v2, s34, -v6
	s_wait_xcnt 0x0
	v_dual_mov_b32 v2, v33 :: v_dual_mov_b32 v6, v32
	v_pk_mul_f32 v[2:3], v[2:3], v[4:5]
	v_mov_b64_e32 v[4:5], s[14:15]
	s_delay_alu instid0(VALU_DEP_1) | instskip(SKIP_1) | instid1(VALU_DEP_2)
	v_pk_fma_f32 v[4:5], v[6:7], v[4:5], v[2:3]
	v_add_nc_u64_e32 v[2:3], 0x180, v[0:1]
	v_dual_add_f32 v6, v9, v8 :: v_dual_add_f32 v4, v4, v5
	flat_store_b32 v[0:1], v6 offset:384
	s_branch .LBB224_2
.LBB224_10:
	s_sendmsg sendmsg(MSG_DEALLOC_VGPRS)
	s_endpgm
	.section	.rodata,"a",@progbits
	.p2align	6, 0x0
	.amdhsa_kernel _ZN12_GLOBAL__N_127rocblas_gemm_batched_kernelI19rocblas_complex_numIfELi16ELi16ELi64ELi64ELi4ELi64ELi4ELi4ELi64ELc84ELc78EKPKS2_S5_KPS2_EEvlllT_PT11_llSA_llS8_PT12_llPT13_lli
		.amdhsa_group_segment_fixed_size 4096
		.amdhsa_private_segment_fixed_size 0
		.amdhsa_kernarg_size 140
		.amdhsa_user_sgpr_count 2
		.amdhsa_user_sgpr_dispatch_ptr 0
		.amdhsa_user_sgpr_queue_ptr 0
		.amdhsa_user_sgpr_kernarg_segment_ptr 1
		.amdhsa_user_sgpr_dispatch_id 0
		.amdhsa_user_sgpr_kernarg_preload_length 0
		.amdhsa_user_sgpr_kernarg_preload_offset 0
		.amdhsa_user_sgpr_private_segment_size 0
		.amdhsa_wavefront_size32 1
		.amdhsa_uses_dynamic_stack 0
		.amdhsa_enable_private_segment 0
		.amdhsa_system_sgpr_workgroup_id_x 1
		.amdhsa_system_sgpr_workgroup_id_y 1
		.amdhsa_system_sgpr_workgroup_id_z 1
		.amdhsa_system_sgpr_workgroup_info 0
		.amdhsa_system_vgpr_workitem_id 1
		.amdhsa_next_free_vgpr 198
		.amdhsa_next_free_sgpr 42
		.amdhsa_named_barrier_count 0
		.amdhsa_reserve_vcc 1
		.amdhsa_float_round_mode_32 0
		.amdhsa_float_round_mode_16_64 0
		.amdhsa_float_denorm_mode_32 3
		.amdhsa_float_denorm_mode_16_64 3
		.amdhsa_fp16_overflow 0
		.amdhsa_memory_ordered 1
		.amdhsa_forward_progress 1
		.amdhsa_inst_pref_size 48
		.amdhsa_round_robin_scheduling 0
		.amdhsa_exception_fp_ieee_invalid_op 0
		.amdhsa_exception_fp_denorm_src 0
		.amdhsa_exception_fp_ieee_div_zero 0
		.amdhsa_exception_fp_ieee_overflow 0
		.amdhsa_exception_fp_ieee_underflow 0
		.amdhsa_exception_fp_ieee_inexact 0
		.amdhsa_exception_int_div_zero 0
	.end_amdhsa_kernel
	.section	.text._ZN12_GLOBAL__N_127rocblas_gemm_batched_kernelI19rocblas_complex_numIfELi16ELi16ELi64ELi64ELi4ELi64ELi4ELi4ELi64ELc84ELc78EKPKS2_S5_KPS2_EEvlllT_PT11_llSA_llS8_PT12_llPT13_lli,"axG",@progbits,_ZN12_GLOBAL__N_127rocblas_gemm_batched_kernelI19rocblas_complex_numIfELi16ELi16ELi64ELi64ELi4ELi64ELi4ELi4ELi64ELc84ELc78EKPKS2_S5_KPS2_EEvlllT_PT11_llSA_llS8_PT12_llPT13_lli,comdat
.Lfunc_end224:
	.size	_ZN12_GLOBAL__N_127rocblas_gemm_batched_kernelI19rocblas_complex_numIfELi16ELi16ELi64ELi64ELi4ELi64ELi4ELi4ELi64ELc84ELc78EKPKS2_S5_KPS2_EEvlllT_PT11_llSA_llS8_PT12_llPT13_lli, .Lfunc_end224-_ZN12_GLOBAL__N_127rocblas_gemm_batched_kernelI19rocblas_complex_numIfELi16ELi16ELi64ELi64ELi4ELi64ELi4ELi4ELi64ELc84ELc78EKPKS2_S5_KPS2_EEvlllT_PT11_llSA_llS8_PT12_llPT13_lli
                                        ; -- End function
	.set _ZN12_GLOBAL__N_127rocblas_gemm_batched_kernelI19rocblas_complex_numIfELi16ELi16ELi64ELi64ELi4ELi64ELi4ELi4ELi64ELc84ELc78EKPKS2_S5_KPS2_EEvlllT_PT11_llSA_llS8_PT12_llPT13_lli.num_vgpr, 198
	.set _ZN12_GLOBAL__N_127rocblas_gemm_batched_kernelI19rocblas_complex_numIfELi16ELi16ELi64ELi64ELi4ELi64ELi4ELi4ELi64ELc84ELc78EKPKS2_S5_KPS2_EEvlllT_PT11_llSA_llS8_PT12_llPT13_lli.num_agpr, 0
	.set _ZN12_GLOBAL__N_127rocblas_gemm_batched_kernelI19rocblas_complex_numIfELi16ELi16ELi64ELi64ELi4ELi64ELi4ELi4ELi64ELc84ELc78EKPKS2_S5_KPS2_EEvlllT_PT11_llSA_llS8_PT12_llPT13_lli.numbered_sgpr, 42
	.set _ZN12_GLOBAL__N_127rocblas_gemm_batched_kernelI19rocblas_complex_numIfELi16ELi16ELi64ELi64ELi4ELi64ELi4ELi4ELi64ELc84ELc78EKPKS2_S5_KPS2_EEvlllT_PT11_llSA_llS8_PT12_llPT13_lli.num_named_barrier, 0
	.set _ZN12_GLOBAL__N_127rocblas_gemm_batched_kernelI19rocblas_complex_numIfELi16ELi16ELi64ELi64ELi4ELi64ELi4ELi4ELi64ELc84ELc78EKPKS2_S5_KPS2_EEvlllT_PT11_llSA_llS8_PT12_llPT13_lli.private_seg_size, 0
	.set _ZN12_GLOBAL__N_127rocblas_gemm_batched_kernelI19rocblas_complex_numIfELi16ELi16ELi64ELi64ELi4ELi64ELi4ELi4ELi64ELc84ELc78EKPKS2_S5_KPS2_EEvlllT_PT11_llSA_llS8_PT12_llPT13_lli.uses_vcc, 1
	.set _ZN12_GLOBAL__N_127rocblas_gemm_batched_kernelI19rocblas_complex_numIfELi16ELi16ELi64ELi64ELi4ELi64ELi4ELi4ELi64ELc84ELc78EKPKS2_S5_KPS2_EEvlllT_PT11_llSA_llS8_PT12_llPT13_lli.uses_flat_scratch, 1
	.set _ZN12_GLOBAL__N_127rocblas_gemm_batched_kernelI19rocblas_complex_numIfELi16ELi16ELi64ELi64ELi4ELi64ELi4ELi4ELi64ELc84ELc78EKPKS2_S5_KPS2_EEvlllT_PT11_llSA_llS8_PT12_llPT13_lli.has_dyn_sized_stack, 0
	.set _ZN12_GLOBAL__N_127rocblas_gemm_batched_kernelI19rocblas_complex_numIfELi16ELi16ELi64ELi64ELi4ELi64ELi4ELi4ELi64ELc84ELc78EKPKS2_S5_KPS2_EEvlllT_PT11_llSA_llS8_PT12_llPT13_lli.has_recursion, 0
	.set _ZN12_GLOBAL__N_127rocblas_gemm_batched_kernelI19rocblas_complex_numIfELi16ELi16ELi64ELi64ELi4ELi64ELi4ELi4ELi64ELc84ELc78EKPKS2_S5_KPS2_EEvlllT_PT11_llSA_llS8_PT12_llPT13_lli.has_indirect_call, 0
	.section	.AMDGPU.csdata,"",@progbits
; Kernel info:
; codeLenInByte = 6036
; TotalNumSgprs: 44
; NumVgprs: 198
; ScratchSize: 0
; MemoryBound: 0
; FloatMode: 240
; IeeeMode: 1
; LDSByteSize: 4096 bytes/workgroup (compile time only)
; SGPRBlocks: 0
; VGPRBlocks: 12
; NumSGPRsForWavesPerEU: 44
; NumVGPRsForWavesPerEU: 198
; NamedBarCnt: 0
; Occupancy: 4
; WaveLimiterHint : 1
; COMPUTE_PGM_RSRC2:SCRATCH_EN: 0
; COMPUTE_PGM_RSRC2:USER_SGPR: 2
; COMPUTE_PGM_RSRC2:TRAP_HANDLER: 0
; COMPUTE_PGM_RSRC2:TGID_X_EN: 1
; COMPUTE_PGM_RSRC2:TGID_Y_EN: 1
; COMPUTE_PGM_RSRC2:TGID_Z_EN: 1
; COMPUTE_PGM_RSRC2:TIDIG_COMP_CNT: 1
	.section	.text._ZN12_GLOBAL__N_127rocblas_gemm_batched_kernelI19rocblas_complex_numIfELi16ELi16ELi64ELi64ELi4ELi64ELi4ELi4ELi64ELc78ELc84EKPKS2_S5_KPS2_EEvlllT_PT11_llSA_llS8_PT12_llPT13_lli,"axG",@progbits,_ZN12_GLOBAL__N_127rocblas_gemm_batched_kernelI19rocblas_complex_numIfELi16ELi16ELi64ELi64ELi4ELi64ELi4ELi4ELi64ELc78ELc84EKPKS2_S5_KPS2_EEvlllT_PT11_llSA_llS8_PT12_llPT13_lli,comdat
	.globl	_ZN12_GLOBAL__N_127rocblas_gemm_batched_kernelI19rocblas_complex_numIfELi16ELi16ELi64ELi64ELi4ELi64ELi4ELi4ELi64ELc78ELc84EKPKS2_S5_KPS2_EEvlllT_PT11_llSA_llS8_PT12_llPT13_lli ; -- Begin function _ZN12_GLOBAL__N_127rocblas_gemm_batched_kernelI19rocblas_complex_numIfELi16ELi16ELi64ELi64ELi4ELi64ELi4ELi4ELi64ELc78ELc84EKPKS2_S5_KPS2_EEvlllT_PT11_llSA_llS8_PT12_llPT13_lli
	.p2align	8
	.type	_ZN12_GLOBAL__N_127rocblas_gemm_batched_kernelI19rocblas_complex_numIfELi16ELi16ELi64ELi64ELi4ELi64ELi4ELi4ELi64ELc78ELc84EKPKS2_S5_KPS2_EEvlllT_PT11_llSA_llS8_PT12_llPT13_lli,@function
_ZN12_GLOBAL__N_127rocblas_gemm_batched_kernelI19rocblas_complex_numIfELi16ELi16ELi64ELi64ELi4ELi64ELi4ELi4ELi64ELc78ELc84EKPKS2_S5_KPS2_EEvlllT_PT11_llSA_llS8_PT12_llPT13_lli: ; @_ZN12_GLOBAL__N_127rocblas_gemm_batched_kernelI19rocblas_complex_numIfELi16ELi16ELi64ELi64ELi4ELi64ELi4ELi4ELi64ELc78ELc84EKPKS2_S5_KPS2_EEvlllT_PT11_llSA_llS8_PT12_llPT13_lli
; %bb.0:
	s_load_b32 s33, s[0:1], 0x88
	s_bfe_u32 s2, ttmp6, 0x40014
	s_lshr_b32 s3, ttmp7, 16
	s_add_co_i32 s2, s2, 1
	s_bfe_u32 s4, ttmp6, 0x40008
	s_mul_i32 s2, s3, s2
	s_getreg_b32 s12, hwreg(HW_REG_IB_STS2, 6, 4)
	s_add_co_i32 s4, s4, s2
	s_cmp_eq_u32 s12, 0
	s_cselect_b32 s2, s3, s4
	s_mov_b32 s3, 0
	s_wait_kmcnt 0x0
	s_cmp_ge_i32 s2, s33
	s_cbranch_scc1 .LBB225_10
; %bb.1:
	v_bfe_u32 v20, v0, 10, 10
	v_and_b32_e32 v2, 0x3ff, v0
	s_clause 0x1
	s_load_b256 s[4:11], s[0:1], 0x20
	s_load_b128 s[24:27], s[0:1], 0x40
	s_bfe_u32 s14, ttmp6, 0x4000c
	s_bfe_u32 s15, ttmp6, 0x40010
	s_add_co_i32 s14, s14, 1
	s_and_b32 s16, ttmp7, 0xffff
	s_add_co_i32 s15, s15, 1
	v_lshl_add_u32 v3, v20, 4, v2
	v_mov_b32_e32 v21, 0
	s_and_b32 s13, ttmp6, 15
	s_mul_i32 s14, ttmp9, s14
	s_mul_i32 s15, s16, s15
	s_bfe_u32 s17, ttmp6, 0x40004
	s_add_co_i32 s13, s13, s14
	s_add_co_i32 s17, s17, s15
	s_cmp_eq_u32 s12, 0
	v_dual_mov_b32 v5, v21 :: v_dual_lshrrev_b32 v4, 2, v3
	v_lshrrev_b32_e32 v10, 6, v3
	s_cselect_b32 s12, s16, s17
	s_cselect_b32 s20, ttmp9, s13
	s_lshl_b32 s36, s12, 6
	s_mov_b32 s37, s3
	s_load_b128 s[28:31], s[0:1], 0x78
	v_add_nc_u64_e32 v[6:7], s[36:37], v[4:5]
	v_and_b32_e32 v5, 3, v0
	s_clause 0x1
	s_load_b64 s[34:35], s[0:1], 0x50
	s_load_b256 s[12:19], s[0:1], 0x58
	s_ashr_i32 s21, s20, 31
	v_lshlrev_b32_e32 v39, 3, v2
	s_lshl_b64 s[38:39], s[20:21], 6
	s_load_b128 s[20:23], s[0:1], 0x10
	s_wait_kmcnt 0x0
	v_mad_nc_u64_u32 v[0:1], s24, v5, v[6:7]
	v_mad_nc_u64_u32 v[8:9], s6, v10, s[38:39]
	v_dual_mov_b32 v3, v21 :: v_dual_bitop2_b32 v6, 63, v3 bitop3:0x40
	v_lshlrev_b32_e32 v7, 3, v5
	v_lshl_add_u32 v41, v20, 5, 0x800
	s_delay_alu instid0(VALU_DEP_3) | instskip(NEXT) | instid1(VALU_DEP_4)
	v_lshlrev_b32_e32 v11, 3, v6
	v_add_nc_u64_e32 v[26:27], s[38:39], v[2:3]
	s_delay_alu instid0(VALU_DEP_4)
	v_lshl_or_b32 v12, v4, 5, v7
	v_mov_b32_e32 v7, v21
	v_mad_u32 v1, s25, v5, v1
	v_add_nc_u64_e32 v[4:5], s[36:37], v[20:21]
	v_mad_u32 v9, s7, v10, v9
	s_or_b32 s0, s34, s35
	v_lshl_or_b32 v35, v10, 9, v11
	s_bitset0_b32 s0, 31
	v_add_nc_u32_e32 v37, 0x800, v12
	s_cmp_eq_u32 s0, 0
	v_mul_u64_e32 v[22:23], s[28:29], v[4:5]
	v_mul_u64_e32 v[24:25], s[14:15], v[4:5]
	v_cmp_gt_i64_e64 s0, s[20:21], 0
	v_lshlrev_b64_e32 v[0:1], 3, v[0:1]
	s_cselect_b32 s1, -1, 0
	v_add_nc_u64_e32 v[2:3], v[8:9], v[6:7]
	s_lshl_b64 s[42:43], s[28:29], 4
	s_lshl_b64 s[44:45], s[14:15], 4
	s_mov_b32 s36, s23
	s_mov_b32 s37, s22
	v_lshl_add_u64 v[30:31], s[26:27], 3, v[0:1]
	s_mov_b32 s14, s23
	v_lshlrev_b64_e32 v[2:3], 3, v[2:3]
	s_mov_b32 s15, s35
	s_mov_b32 s28, s22
	;; [unrolled: 1-line block ×6, first 2 shown]
	v_lshl_add_u64 v[28:29], s[8:9], 3, v[2:3]
	v_cndmask_b32_e64 v2, 0, 1, s0
	s_mov_b32 s41, s35
	s_lshl_b64 s[6:7], s[6:7], 5
	s_lshl_b64 s[8:9], s[24:25], 5
	;; [unrolled: 1-line block ×3, first 2 shown]
	v_cmp_ne_u32_e64 s0, 1, v2
	s_lshl_b64 s[16:17], s[16:17], 3
	s_lshl_b64 s[26:27], s[44:45], 3
	;; [unrolled: 1-line block ×3, first 2 shown]
	s_branch .LBB225_3
.LBB225_2:                              ;   in Loop: Header=BB225_3 Depth=1
	s_add_co_i32 s2, s2, 0x10000
	flat_store_b32 v[2:3], v4 offset:4
	s_cmp_lt_i32 s2, s33
	s_cbranch_scc0 .LBB225_10
.LBB225_3:                              ; =>This Loop Header: Depth=1
                                        ;     Child Loop BB225_5 Depth 2
	s_wait_xcnt 0x1
	v_dual_mov_b32 v0, s2 :: v_dual_mov_b32 v33, 0
	v_dual_mov_b32 v32, 0 :: v_dual_mov_b32 v90, 0
	;; [unrolled: 1-line block ×3, first 2 shown]
	s_clause 0x1
	global_load_b64 v[68:69], v0, s[12:13] scale_offset
	global_load_b64 v[92:93], v0, s[18:19] scale_offset
	v_dual_mov_b32 v88, 0 :: v_dual_mov_b32 v82, 0
	v_dual_mov_b32 v84, 0 :: v_dual_mov_b32 v78, 0
	;; [unrolled: 1-line block ×13, first 2 shown]
	v_mov_b32_e32 v34, 0
	s_and_b32 vcc_lo, exec_lo, s0
	s_cbranch_vccnz .LBB225_6
; %bb.4:                                ;   in Loop: Header=BB225_3 Depth=1
	s_lshl_b64 s[42:43], s[2:3], 3
	v_dual_mov_b32 v34, 0 :: v_dual_mov_b32 v20, 0
	s_add_nc_u64 s[44:45], s[4:5], s[42:43]
	s_add_nc_u64 s[42:43], s[10:11], s[42:43]
	s_clause 0x1
	global_load_b64 v[0:1], v21, s[44:45]
	global_load_b64 v[2:3], v21, s[42:43]
	v_dual_mov_b32 v38, 0 :: v_dual_mov_b32 v36, 0
	v_dual_mov_b32 v42, 0 :: v_dual_mov_b32 v40, 0
	;; [unrolled: 1-line block ×15, first 2 shown]
	s_wait_xcnt 0x0
	s_mov_b64 s[42:43], 0
	s_wait_loadcnt 0x1
	v_add_nc_u64_e32 v[96:97], v[0:1], v[28:29]
	s_wait_loadcnt 0x0
	v_add_nc_u64_e32 v[98:99], v[2:3], v[30:31]
.LBB225_5:                              ;   Parent Loop BB225_3 Depth=1
                                        ; =>  This Inner Loop Header: Depth=2
	flat_load_b64 v[0:1], v[96:97]
	s_add_nc_u64 s[42:43], s[42:43], 4
	s_wait_xcnt 0x0
	v_add_nc_u64_e32 v[96:97], s[6:7], v[96:97]
	v_cmp_lt_i64_e64 s44, s[42:43], s[20:21]
	s_and_b32 vcc_lo, exec_lo, s44
	s_wait_loadcnt_dscnt 0x0
	ds_store_b64 v35, v[0:1]
	flat_load_b64 v[0:1], v[98:99]
	s_wait_xcnt 0x0
	v_add_nc_u64_e32 v[98:99], s[8:9], v[98:99]
	s_wait_loadcnt_dscnt 0x0
	ds_store_b64 v37, v[0:1]
	s_wait_dscnt 0x0
	s_barrier_signal -1
	s_barrier_wait -1
	ds_load_2addr_b64 v[0:3], v39 offset1:16
	ds_load_b128 v[8:11], v41
	ds_load_2addr_b64 v[4:7], v39 offset0:32 offset1:48
	ds_load_2addr_b64 v[12:15], v39 offset0:64 offset1:80
	;; [unrolled: 1-line block ×3, first 2 shown]
	ds_load_b128 v[100:103], v41 offset:16
	ds_load_2addr_b64 v[104:107], v39 offset0:128 offset1:144
	ds_load_2addr_b64 v[108:111], v39 offset0:160 offset1:176
	;; [unrolled: 1-line block ×4, first 2 shown]
	ds_load_b128 v[120:123], v41 offset:512
	ds_load_b128 v[124:127], v41 offset:528
	;; [unrolled: 1-line block ×6, first 2 shown]
	s_wait_dscnt 0x0
	s_barrier_signal -1
	s_barrier_wait -1
	v_dual_mul_f32 v43, v9, v1 :: v_dual_mul_f32 v45, v8, v1
	v_dual_mul_f32 v47, v9, v3 :: v_dual_mul_f32 v49, v8, v3
	;; [unrolled: 1-line block ×27, first 2 shown]
	v_dual_fma_f32 v43, v8, v0, -v43 :: v_dual_fmac_f32 v45, v9, v0
	v_dual_fma_f32 v47, v8, v2, -v47 :: v_dual_fmac_f32 v49, v9, v2
	;; [unrolled: 1-line block ×6, first 2 shown]
	v_dual_fma_f32 v67, v10, v16, -v67 :: v_dual_fma_f32 v73, v10, v18, -v73
	v_dual_fmac_f32 v71, v11, v16 :: v_dual_mul_f32 v171, v138, v13
	v_dual_fmac_f32 v75, v11, v18 :: v_dual_fma_f32 v77, v120, v0, -v77
	v_pk_mul_f32 v[8:9], v[136:137], v[6:7] op_sel:[1,1] op_sel_hi:[0,1]
	v_dual_mul_f32 v5, v139, v13 :: v_dual_fmac_f32 v79, v121, v0
	v_dual_mov_b32 v10, v139 :: v_dual_mov_b32 v11, v138
	v_dual_fma_f32 v81, v120, v2, -v81 :: v_dual_fmac_f32 v83, v121, v2
	v_dual_fma_f32 v85, v120, v4, -v85 :: v_dual_fmac_f32 v87, v121, v4
	;; [unrolled: 1-line block ×16, first 2 shown]
	v_dual_fma_f32 v159, v136, v2, -v1 :: v_dual_mul_f32 v161, v101, v107
	v_dual_fmac_f32 v169, v137, v2 :: v_dual_mul_f32 v163, v100, v107
	v_dual_fma_f32 v165, v136, v4, -v3 :: v_dual_fmac_f32 v170, v137, v4
	v_pk_fma_f32 v[0:1], v[136:137], v[6:7], v[8:9] neg_lo:[0,0,1] neg_hi:[0,0,1]
	v_pk_fma_f32 v[2:3], v[136:137], v[6:7], v[8:9] op_sel_hi:[1,0,1]
	v_dual_fma_f32 v137, v138, v12, -v5 :: v_dual_fmac_f32 v171, v139, v12
	v_pk_mul_f32 v[4:5], v[10:11], v[18:19] op_sel:[0,1]
	v_dual_mul_f32 v13, v139, v15 :: v_dual_mul_f32 v123, v138, v15
	v_dual_mul_f32 v15, v139, v17 :: v_dual_mul_f32 v17, v138, v17
	s_delay_alu instid0(VALU_DEP_3)
	v_pk_fma_f32 v[6:7], v[138:139], v[18:19], v[4:5] neg_lo:[0,0,1] neg_hi:[0,0,1]
	v_pk_fma_f32 v[4:5], v[138:139], v[18:19], v[4:5] op_sel_hi:[1,0,1]
	v_dual_mul_f32 v131, v101, v105 :: v_dual_mul_f32 v155, v100, v105
	v_dual_mul_f32 v1, v101, v109 :: v_dual_mul_f32 v2, v100, v109
	;; [unrolled: 1-line block ×4, first 2 shown]
	v_dual_mul_f32 v136, v100, v111 :: v_dual_fma_f32 v167, v138, v14, -v13
	v_fmac_f32_e32 v123, v139, v14
	v_dual_mul_f32 v9, v103, v113 :: v_dual_mul_f32 v172, v102, v113
	v_dual_fma_f32 v173, v138, v16, -v15 :: v_dual_fmac_f32 v17, v139, v16
	v_mul_f32_e32 v16, v102, v115
	v_dual_mul_f32 v10, v103, v119 :: v_dual_mul_f32 v19, v102, v119
	v_dual_fma_f32 v131, v100, v104, -v131 :: v_dual_fma_f32 v139, v100, v106, -v161
	v_dual_fmac_f32 v163, v101, v106 :: v_dual_fma_f32 v161, v100, v108, -v1
	v_dual_fma_f32 v4, v102, v114, -v4 :: v_dual_fma_f32 v174, v102, v116, -v7
	v_dual_mul_f32 v1, v125, v107 :: v_dual_mul_f32 v7, v125, v109
	v_mul_f32_e32 v175, v124, v109
	v_dual_mul_f32 v11, v125, v105 :: v_dual_mul_f32 v138, v124, v105
	v_dual_fmac_f32 v155, v101, v104 :: v_dual_fma_f32 v100, v100, v110, -v8
	v_dual_fmac_f32 v2, v101, v108 :: v_dual_fmac_f32 v136, v101, v110
	v_dual_fma_f32 v101, v102, v112, -v9 :: v_dual_fmac_f32 v172, v103, v112
	v_dual_fmac_f32 v16, v103, v114 :: v_dual_fmac_f32 v18, v103, v116
	v_dual_fma_f32 v102, v102, v118, -v10 :: v_dual_fmac_f32 v19, v103, v118
	v_dual_mul_f32 v103, v124, v107 :: v_dual_fma_f32 v177, v124, v106, -v1
	v_dual_fma_f32 v178, v124, v108, -v7 :: v_dual_mul_f32 v1, v125, v111
	v_dual_fma_f32 v176, v124, v104, -v11 :: v_dual_fmac_f32 v138, v125, v104
	v_fmac_f32_e32 v175, v125, v108
	s_delay_alu instid0(VALU_DEP_4) | instskip(NEXT) | instid1(VALU_DEP_4)
	v_fmac_f32_e32 v103, v125, v106
	v_dual_fma_f32 v179, v124, v110, -v1 :: v_dual_mul_f32 v124, v124, v111
	v_dual_mul_f32 v1, v127, v113 :: v_dual_mul_f32 v180, v126, v113
	v_dual_mul_f32 v182, v126, v115 :: v_dual_mul_f32 v184, v126, v117
	s_delay_alu instid0(VALU_DEP_2) | instskip(NEXT) | instid1(VALU_DEP_3)
	v_dual_fmac_f32 v124, v125, v110 :: v_dual_fma_f32 v125, v126, v112, -v1
	v_dual_mul_f32 v1, v127, v115 :: v_dual_fmac_f32 v180, v127, v112
	v_dual_mul_f32 v186, v132, v105 :: v_dual_mul_f32 v188, v132, v107
	s_delay_alu instid0(VALU_DEP_2) | instskip(SKIP_3) | instid1(VALU_DEP_3)
	v_dual_mul_f32 v190, v132, v109 :: v_dual_fma_f32 v181, v126, v114, -v1
	v_dual_mul_f32 v1, v127, v117 :: v_dual_fmac_f32 v182, v127, v114
	v_dual_mul_f32 v192, v134, v113 :: v_dual_mul_f32 v194, v134, v115
	v_mul_f32_e32 v196, v134, v117
	v_dual_fma_f32 v183, v126, v116, -v1 :: v_dual_mul_f32 v1, v127, v119
	v_fmac_f32_e32 v184, v127, v116
	v_pk_mul_f32 v[8:9], v[140:141], v[110:111] op_sel:[1,1] op_sel_hi:[0,1]
	v_dual_mov_b32 v12, v143 :: v_dual_mov_b32 v13, v142
	s_delay_alu instid0(VALU_DEP_4) | instskip(SKIP_1) | instid1(VALU_DEP_4)
	v_dual_fma_f32 v185, v126, v118, -v1 :: v_dual_mul_f32 v126, v126, v119
	v_mul_f32_e32 v1, v133, v105
	v_pk_fma_f32 v[10:11], v[140:141], v[110:111], v[8:9] neg_lo:[0,0,1] neg_hi:[0,0,1]
	v_pk_fma_f32 v[8:9], v[140:141], v[110:111], v[8:9] op_sel_hi:[1,0,1]
	v_pk_mul_f32 v[12:13], v[12:13], v[118:119] op_sel:[0,1]
	s_delay_alu instid0(VALU_DEP_4) | instskip(SKIP_2) | instid1(VALU_DEP_4)
	v_dual_fmac_f32 v126, v127, v118 :: v_dual_fma_f32 v127, v132, v104, -v1
	v_dual_mul_f32 v1, v133, v107 :: v_dual_fmac_f32 v186, v133, v104
	v_add_f32_e32 v42, v42, v168
	v_pk_fma_f32 v[14:15], v[142:143], v[118:119], v[12:13] neg_lo:[0,0,1] neg_hi:[0,0,1]
	v_pk_fma_f32 v[12:13], v[142:143], v[118:119], v[12:13] op_sel_hi:[1,0,1]
	s_delay_alu instid0(VALU_DEP_4) | instskip(SKIP_2) | instid1(VALU_DEP_3)
	v_dual_fma_f32 v187, v132, v106, -v1 :: v_dual_mul_f32 v1, v133, v109
	v_dual_fmac_f32 v188, v133, v106 :: v_dual_add_f32 v12, v90, v43
	v_dual_add_f32 v43, v94, v45 :: v_dual_add_f32 v72, v72, v83
	v_dual_fma_f32 v189, v132, v108, -v1 :: v_dual_mul_f32 v1, v133, v111
	v_dual_fmac_f32 v190, v133, v108 :: v_dual_add_f32 v45, v86, v47
	v_dual_add_f32 v47, v88, v49 :: v_dual_add_f32 v49, v82, v51
	s_delay_alu instid0(VALU_DEP_3) | instskip(SKIP_2) | instid1(VALU_DEP_2)
	v_dual_fma_f32 v191, v132, v110, -v1 :: v_dual_mul_f32 v132, v132, v111
	v_dual_mul_f32 v1, v135, v113 :: v_dual_mul_f32 v111, v142, v115
	v_dual_add_f32 v51, v84, v53 :: v_dual_add_f32 v53, v78, v55
	v_dual_fmac_f32 v132, v133, v110 :: v_dual_fma_f32 v133, v134, v112, -v1
	v_dual_mul_f32 v1, v135, v115 :: v_dual_fmac_f32 v192, v135, v112
	v_add_f32_e32 v55, v80, v57
	v_dual_add_f32 v57, v76, v77 :: v_dual_add_f32 v74, v74, v79
	s_delay_alu instid0(VALU_DEP_3) | instskip(SKIP_3) | instid1(VALU_DEP_3)
	v_dual_add_f32 v64, v64, v85 :: v_dual_fma_f32 v193, v134, v114, -v1
	v_dual_mul_f32 v1, v135, v117 :: v_dual_fmac_f32 v194, v135, v114
	v_dual_add_f32 v70, v70, v81 :: v_dual_add_f32 v52, v52, v147
	v_dual_add_f32 v66, v66, v87 :: v_dual_add_f32 v60, v60, v89
	v_dual_fma_f32 v195, v134, v116, -v1 :: v_dual_mul_f32 v1, v135, v119
	v_dual_fmac_f32 v196, v135, v116 :: v_dual_add_f32 v62, v62, v91
	v_dual_add_f32 v56, v56, v145 :: v_dual_add_f32 v58, v58, v152
	s_delay_alu instid0(VALU_DEP_3) | instskip(SKIP_2) | instid1(VALU_DEP_2)
	v_dual_add_f32 v48, v48, v149 :: v_dual_fma_f32 v197, v134, v118, -v1
	v_dual_mul_f32 v134, v134, v119 :: v_dual_mul_f32 v1, v141, v105
	v_dual_mul_f32 v105, v140, v105 :: v_dual_add_f32 v54, v54, v154
	v_dual_add_f32 v44, v44, v128 :: v_dual_fmac_f32 v134, v135, v118
	s_delay_alu instid0(VALU_DEP_3) | instskip(NEXT) | instid1(VALU_DEP_3)
	v_dual_fma_f32 v135, v140, v104, -v1 :: v_dual_mul_f32 v1, v141, v107
	v_dual_fmac_f32 v105, v141, v104 :: v_dual_mul_f32 v107, v140, v107
	v_dual_add_f32 v50, v50, v156 :: v_dual_add_f32 v40, v40, v157
	s_delay_alu instid0(VALU_DEP_3) | instskip(NEXT) | instid1(VALU_DEP_3)
	v_dual_fma_f32 v104, v140, v106, -v1 :: v_dual_mul_f32 v1, v141, v109
	v_dual_mul_f32 v109, v140, v109 :: v_dual_fmac_f32 v107, v141, v106
	v_dual_add_f32 v46, v46, v158 :: v_dual_add_f32 v36, v36, v159
	s_delay_alu instid0(VALU_DEP_3) | instskip(NEXT) | instid1(VALU_DEP_3)
	v_dual_fma_f32 v106, v140, v108, -v1 :: v_dual_mul_f32 v1, v143, v113
	v_dual_fmac_f32 v109, v141, v108 :: v_dual_mul_f32 v108, v142, v113
	v_mul_f32_e32 v113, v142, v117
	v_dual_add_f32 v20, v20, v165 :: v_dual_add_f32 v34, v34, v170
	s_delay_alu instid0(VALU_DEP_3) | instskip(NEXT) | instid1(VALU_DEP_3)
	v_dual_fma_f32 v8, v142, v112, -v1 :: v_dual_fmac_f32 v108, v143, v112
	v_dual_mul_f32 v1, v143, v115 :: v_dual_fmac_f32 v113, v143, v116
	v_dual_mov_b32 v7, v5 :: v_dual_mov_b32 v15, v13
	s_delay_alu instid0(VALU_DEP_2) | instskip(SKIP_3) | instid1(VALU_DEP_3)
	v_dual_mov_b32 v11, v9 :: v_dual_fma_f32 v110, v142, v114, -v1
	v_dual_fmac_f32 v111, v143, v114 :: v_dual_mul_f32 v1, v143, v117
	v_dual_add_f32 v5, v12, v59 :: v_dual_add_f32 v9, v43, v61
	v_dual_add_f32 v12, v45, v63 :: v_dual_add_f32 v13, v47, v65
	v_dual_fma_f32 v112, v142, v116, -v1 :: v_dual_mov_b32 v1, v3
	v_add_f32_e32 v3, v38, v169
	v_dual_add_f32 v38, v53, v73 :: v_dual_add_f32 v43, v55, v75
	v_add_f32_e32 v45, v57, v95
	s_delay_alu instid0(VALU_DEP_4)
	v_pk_add_f32 v[0:1], v[32:33], v[0:1]
	v_dual_add_f32 v32, v49, v67 :: v_dual_add_f32 v47, v74, v144
	v_dual_add_f32 v33, v51, v71 :: v_dual_add_f32 v49, v70, v120
	v_add_f32_e32 v51, v72, v146
	v_dual_add_f32 v53, v64, v121 :: v_dual_add_f32 v55, v66, v148
	v_dual_add_f32 v57, v60, v122 :: v_dual_add_f32 v58, v58, v160
	v_dual_add_f32 v59, v62, v150 :: v_dual_add_f32 v56, v56, v129
	v_dual_add_f32 v52, v52, v151 :: v_dual_add_f32 v54, v54, v162
	v_dual_add_f32 v48, v48, v153 :: v_dual_add_f32 v50, v50, v164
	v_dual_add_f32 v44, v44, v130 :: v_dual_add_f32 v42, v42, v171
	v_dual_add_f32 v46, v46, v166 :: v_dual_add_f32 v40, v40, v137
	v_dual_add_f32 v36, v36, v167 :: v_dual_add_f32 v17, v34, v17
	v_dual_add_f32 v3, v3, v123 :: v_dual_add_f32 v20, v20, v173
	v_pk_add_f32 v[0:1], v[0:1], v[6:7]
	v_add_f32_e32 v5, v5, v131
	v_add_f32_e32 v6, v9, v155
	v_dual_add_f32 v7, v12, v139 :: v_dual_add_f32 v2, v33, v2
	v_dual_add_f32 v9, v13, v163 :: v_dual_add_f32 v12, v32, v161
	v_add_f32_e32 v13, v38, v100
	v_add_f32_e32 v32, v43, v136
	v_dual_add_f32 v33, v45, v176 :: v_dual_add_f32 v34, v47, v138
	v_dual_add_f32 v38, v49, v177 :: v_dual_add_f32 v43, v51, v103
	;; [unrolled: 1-line block ×11, first 2 shown]
	v_pk_add_f32 v[0:1], v[0:1], v[10:11]
	v_dual_add_f32 v90, v5, v101 :: v_dual_add_f32 v94, v6, v172
	v_dual_add_f32 v86, v7, v4 :: v_dual_add_f32 v82, v12, v174
	;; [unrolled: 1-line block ×15, first 2 shown]
	v_pk_add_f32 v[32:33], v[0:1], v[14:15]
	s_cbranch_vccnz .LBB225_5
.LBB225_6:                              ;   in Loop: Header=BB225_3 Depth=1
	s_wait_loadcnt 0x0
	s_wait_xcnt 0x0
	v_add_nc_u64_e32 v[0:1], s[24:25], v[92:93]
	s_and_not1_b32 vcc_lo, exec_lo, s1
	s_mov_b32 s42, -1
                                        ; implicit-def: $vgpr4
                                        ; implicit-def: $vgpr2_vgpr3
	s_cbranch_vccz .LBB225_8
; %bb.7:                                ;   in Loop: Header=BB225_3 Depth=1
	s_and_not1_b32 vcc_lo, exec_lo, s42
	s_cbranch_vccnz .LBB225_2
	s_branch .LBB225_9
.LBB225_8:                              ;   in Loop: Header=BB225_3 Depth=1
	v_mov_b64_e32 v[2:3], s[36:37]
	v_mov_b64_e32 v[8:9], s[22:23]
	v_lshlrev_b64_e32 v[4:5], 3, v[26:27]
	v_lshl_add_u64 v[6:7], v[22:23], 3, v[0:1]
	s_delay_alu instid0(VALU_DEP_4)
	v_pk_mul_f32 v[10:11], v[94:95], v[2:3] op_sel_hi:[0,1]
	v_pk_mul_f32 v[12:13], v[88:89], v[2:3] op_sel_hi:[0,1]
	;; [unrolled: 1-line block ×4, first 2 shown]
	v_add_nc_u64_e32 v[18:19], v[6:7], v[4:5]
	v_pk_fma_f32 v[92:93], v[90:91], v[8:9], v[10:11] neg_lo:[0,0,1] neg_hi:[0,0,1]
	v_pk_fma_f32 v[10:11], v[90:91], v[8:9], v[10:11] op_sel_hi:[0,1,1]
	v_pk_fma_f32 v[96:97], v[86:87], v[8:9], v[12:13] op_sel_hi:[0,1,1]
	;; [unrolled: 1-line block ×4, first 2 shown]
	v_pk_fma_f32 v[12:13], v[86:87], v[8:9], v[12:13] neg_lo:[0,0,1] neg_hi:[0,0,1]
	s_delay_alu instid0(VALU_DEP_4)
	v_dual_mov_b32 v93, v11 :: v_dual_mov_b32 v13, v97
	v_pk_fma_f32 v[10:11], v[82:83], v[8:9], v[14:15] neg_lo:[0,0,1] neg_hi:[0,0,1]
	v_mov_b32_e32 v11, v99
	v_pk_fma_f32 v[14:15], v[78:79], v[8:9], v[16:17] neg_lo:[0,0,1] neg_hi:[0,0,1]
	v_mov_b32_e32 v15, v101
	v_pk_mul_f32 v[16:17], v[74:75], v[2:3] op_sel_hi:[0,1]
	s_clause 0x3
	flat_store_b64 v[18:19], v[92:93]
	flat_store_b64 v[18:19], v[12:13] offset:128
	flat_store_b64 v[18:19], v[10:11] offset:256
	flat_store_b64 v[18:19], v[14:15] offset:384
	s_wait_xcnt 0x1
	v_pk_mul_f32 v[10:11], v[72:73], v[2:3] op_sel_hi:[0,1]
	s_wait_xcnt 0x0
	v_pk_mul_f32 v[18:19], v[66:67], v[2:3] op_sel_hi:[0,1]
	v_add_nc_u64_e32 v[6:7], s[30:31], v[6:7]
	v_pk_fma_f32 v[14:15], v[76:77], v[8:9], v[16:17] op_sel_hi:[0,1,1]
	v_pk_mul_f32 v[96:97], v[62:63], v[2:3] op_sel_hi:[0,1]
	v_pk_fma_f32 v[92:93], v[70:71], v[8:9], v[10:11] op_sel_hi:[0,1,1]
	v_pk_fma_f32 v[16:17], v[76:77], v[8:9], v[16:17] neg_lo:[0,0,1] neg_hi:[0,0,1]
	v_pk_fma_f32 v[10:11], v[70:71], v[8:9], v[10:11] neg_lo:[0,0,1] neg_hi:[0,0,1]
	v_mov_b32_e32 v17, v15
	v_pk_fma_f32 v[14:15], v[64:65], v[8:9], v[18:19] op_sel_hi:[0,1,1]
	v_mov_b32_e32 v11, v93
	v_pk_fma_f32 v[92:93], v[60:61], v[8:9], v[96:97] op_sel_hi:[0,1,1]
	v_add_nc_u64_e32 v[12:13], v[6:7], v[4:5]
	v_pk_fma_f32 v[18:19], v[64:65], v[8:9], v[18:19] neg_lo:[0,0,1] neg_hi:[0,0,1]
	v_mov_b32_e32 v19, v15
	v_pk_fma_f32 v[14:15], v[60:61], v[8:9], v[96:97] neg_lo:[0,0,1] neg_hi:[0,0,1]
	v_mov_b32_e32 v15, v93
	v_pk_mul_f32 v[92:93], v[58:59], v[2:3] op_sel_hi:[0,1]
	v_add_nc_u64_e32 v[6:7], s[30:31], v[6:7]
	s_clause 0x3
	flat_store_b64 v[12:13], v[16:17]
	flat_store_b64 v[12:13], v[10:11] offset:128
	flat_store_b64 v[12:13], v[18:19] offset:256
	;; [unrolled: 1-line block ×3, first 2 shown]
	s_wait_xcnt 0x0
	v_pk_mul_f32 v[12:13], v[54:55], v[2:3] op_sel_hi:[0,1]
	v_pk_mul_f32 v[16:17], v[50:51], v[2:3] op_sel_hi:[0,1]
	v_pk_fma_f32 v[14:15], v[56:57], v[8:9], v[92:93] op_sel_hi:[0,1,1]
	v_pk_fma_f32 v[18:19], v[56:57], v[8:9], v[92:93] neg_lo:[0,0,1] neg_hi:[0,0,1]
	v_pk_mul_f32 v[92:93], v[46:47], v[2:3] op_sel_hi:[0,1]
	v_pk_fma_f32 v[96:97], v[52:53], v[8:9], v[12:13] op_sel_hi:[0,1,1]
	v_add_nc_u64_e32 v[10:11], v[6:7], v[4:5]
	v_mov_b32_e32 v19, v15
	v_pk_fma_f32 v[14:15], v[48:49], v[8:9], v[16:17] op_sel_hi:[0,1,1]
	v_pk_fma_f32 v[98:99], v[44:45], v[8:9], v[92:93] op_sel_hi:[0,1,1]
	v_pk_fma_f32 v[12:13], v[52:53], v[8:9], v[12:13] neg_lo:[0,0,1] neg_hi:[0,0,1]
	v_mov_b32_e32 v13, v97
	v_pk_fma_f32 v[16:17], v[48:49], v[8:9], v[16:17] neg_lo:[0,0,1] neg_hi:[0,0,1]
	v_mov_b32_e32 v17, v15
	;; [unrolled: 2-line block ×3, first 2 shown]
	v_add_nc_u64_e32 v[6:7], s[30:31], v[6:7]
	v_pk_mul_f32 v[92:93], v[42:43], v[2:3] op_sel_hi:[0,1]
	s_clause 0x3
	flat_store_b64 v[10:11], v[18:19]
	flat_store_b64 v[10:11], v[12:13] offset:128
	flat_store_b64 v[10:11], v[16:17] offset:256
	;; [unrolled: 1-line block ×3, first 2 shown]
	s_wait_xcnt 0x0
	v_pk_mul_f32 v[10:11], v[38:39], v[2:3] op_sel_hi:[0,1]
	v_pk_fma_f32 v[12:13], v[40:41], v[8:9], v[92:93] op_sel_hi:[0,1,1]
	v_add_nc_u64_e32 v[6:7], v[6:7], v[4:5]
	v_pk_mul_f32 v[4:5], v[34:35], v[2:3] op_sel_hi:[0,1]
	s_delay_alu instid0(VALU_DEP_4)
	v_pk_fma_f32 v[16:17], v[36:37], v[8:9], v[10:11] op_sel_hi:[0,1,1]
	v_pk_fma_f32 v[14:15], v[40:41], v[8:9], v[92:93] neg_lo:[0,0,1] neg_hi:[0,0,1]
	v_pk_fma_f32 v[10:11], v[36:37], v[8:9], v[10:11] neg_lo:[0,0,1] neg_hi:[0,0,1]
	v_mov_b32_e32 v15, v13
	v_pk_fma_f32 v[12:13], v[20:21], v[8:9], v[4:5] op_sel_hi:[0,1,1]
	v_mov_b32_e32 v11, v17
	v_pk_mul_f32 v[16:17], v[32:33], v[2:3]
	v_mul_f32_e32 v12, s22, v32
	v_add_nc_u64_e32 v[2:3], 0x180, v[6:7]
	v_pk_fma_f32 v[8:9], v[20:21], v[8:9], v[4:5] neg_lo:[0,0,1] neg_hi:[0,0,1]
	s_delay_alu instid0(VALU_DEP_4) | instskip(NEXT) | instid1(VALU_DEP_4)
	v_dual_mov_b32 v9, v13 :: v_dual_add_f32 v4, v16, v17
	v_fma_f32 v5, -v33, s36, v12
	s_clause 0x3
	flat_store_b64 v[6:7], v[14:15]
	flat_store_b64 v[6:7], v[10:11] offset:128
	flat_store_b64 v[6:7], v[8:9] offset:256
	flat_store_b32 v[6:7], v5 offset:384
	s_cbranch_execnz .LBB225_2
.LBB225_9:                              ;   in Loop: Header=BB225_3 Depth=1
	v_add_nc_u64_e32 v[2:3], s[16:17], v[68:69]
	s_wait_xcnt 0x0
	v_lshlrev_b64_e32 v[4:5], 3, v[26:27]
	v_mov_b64_e32 v[10:11], s[36:37]
	v_mov_b64_e32 v[12:13], s[40:41]
	;; [unrolled: 1-line block ×4, first 2 shown]
	v_lshl_add_u64 v[0:1], v[22:23], 3, v[0:1]
	v_lshl_add_u64 v[2:3], v[24:25], 3, v[2:3]
	v_pk_mul_f32 v[16:17], v[94:95], v[10:11] op_sel_hi:[0,1]
	s_delay_alu instid0(VALU_DEP_2) | instskip(SKIP_1) | instid1(VALU_DEP_3)
	v_add_nc_u64_e32 v[6:7], v[2:3], v[4:5]
	v_add_nc_u64_e32 v[2:3], s[26:27], v[2:3]
	v_pk_fma_f32 v[92:93], v[90:91], v[14:15], v[16:17] op_sel_hi:[0,1,1]
	v_pk_fma_f32 v[16:17], v[90:91], v[14:15], v[16:17] neg_lo:[0,0,1] neg_hi:[0,0,1]
	flat_load_b64 v[8:9], v[6:7]
	s_wait_loadcnt_dscnt 0x0
	v_pk_mul_f32 v[68:69], v[8:9], v[12:13]
	s_delay_alu instid0(VALU_DEP_1)
	v_pk_fma_f32 v[94:95], v[8:9], v[18:19], v[68:69] op_sel:[0,0,1] op_sel_hi:[1,1,0]
	v_pk_fma_f32 v[8:9], v[8:9], v[18:19], v[68:69] op_sel:[0,0,1] op_sel_hi:[1,1,0] neg_lo:[0,0,1] neg_hi:[0,0,1]
	v_mov_b32_e32 v17, v93
	v_add_nc_u64_e32 v[68:69], v[0:1], v[4:5]
	v_add_nc_u64_e32 v[0:1], s[30:31], v[0:1]
	v_mov_b32_e32 v9, v95
	s_delay_alu instid0(VALU_DEP_1)
	v_pk_add_f32 v[8:9], v[16:17], v[8:9]
	v_pk_mul_f32 v[16:17], v[88:89], v[10:11] op_sel_hi:[0,1]
	flat_store_b64 v[68:69], v[8:9]
	flat_load_b64 v[8:9], v[6:7] offset:128
	v_pk_fma_f32 v[90:91], v[86:87], v[14:15], v[16:17] op_sel_hi:[0,1,1]
	v_pk_fma_f32 v[16:17], v[86:87], v[14:15], v[16:17] neg_lo:[0,0,1] neg_hi:[0,0,1]
	s_wait_loadcnt_dscnt 0x0
	v_pk_mul_f32 v[88:89], v[8:9], v[12:13]
	s_delay_alu instid0(VALU_DEP_1) | instskip(SKIP_1) | instid1(VALU_DEP_2)
	v_pk_fma_f32 v[92:93], v[8:9], v[18:19], v[88:89] op_sel:[0,0,1] op_sel_hi:[1,1,0]
	v_pk_fma_f32 v[8:9], v[8:9], v[18:19], v[88:89] op_sel:[0,0,1] op_sel_hi:[1,1,0] neg_lo:[0,0,1] neg_hi:[0,0,1]
	v_dual_mov_b32 v17, v91 :: v_dual_mov_b32 v9, v93
	s_delay_alu instid0(VALU_DEP_1)
	v_pk_add_f32 v[8:9], v[16:17], v[8:9]
	v_pk_mul_f32 v[16:17], v[84:85], v[10:11] op_sel_hi:[0,1]
	flat_store_b64 v[68:69], v[8:9] offset:128
	flat_load_b64 v[8:9], v[6:7] offset:256
	v_pk_fma_f32 v[86:87], v[82:83], v[14:15], v[16:17] op_sel_hi:[0,1,1]
	v_pk_fma_f32 v[16:17], v[82:83], v[14:15], v[16:17] neg_lo:[0,0,1] neg_hi:[0,0,1]
	s_wait_loadcnt_dscnt 0x0
	v_pk_mul_f32 v[84:85], v[8:9], v[12:13]
	s_delay_alu instid0(VALU_DEP_1) | instskip(SKIP_1) | instid1(VALU_DEP_2)
	v_pk_fma_f32 v[88:89], v[8:9], v[18:19], v[84:85] op_sel:[0,0,1] op_sel_hi:[1,1,0]
	v_pk_fma_f32 v[8:9], v[8:9], v[18:19], v[84:85] op_sel:[0,0,1] op_sel_hi:[1,1,0] neg_lo:[0,0,1] neg_hi:[0,0,1]
	v_dual_mov_b32 v17, v87 :: v_dual_mov_b32 v9, v89
	s_delay_alu instid0(VALU_DEP_1) | instskip(SKIP_4) | instid1(VALU_DEP_1)
	v_pk_add_f32 v[8:9], v[16:17], v[8:9]
	flat_store_b64 v[68:69], v[8:9] offset:256
	flat_load_b64 v[6:7], v[6:7] offset:384
	s_wait_xcnt 0x1
	v_pk_mul_f32 v[8:9], v[80:81], v[10:11] op_sel_hi:[0,1]
	v_pk_fma_f32 v[80:81], v[78:79], v[14:15], v[8:9] op_sel_hi:[0,1,1]
	v_pk_fma_f32 v[8:9], v[78:79], v[14:15], v[8:9] neg_lo:[0,0,1] neg_hi:[0,0,1]
	s_wait_loadcnt_dscnt 0x0
	v_pk_mul_f32 v[16:17], v[6:7], v[12:13]
	s_delay_alu instid0(VALU_DEP_1)
	v_pk_fma_f32 v[82:83], v[6:7], v[18:19], v[16:17] op_sel:[0,0,1] op_sel_hi:[1,1,0]
	s_wait_xcnt 0x0
	v_pk_fma_f32 v[6:7], v[6:7], v[18:19], v[16:17] op_sel:[0,0,1] op_sel_hi:[1,1,0] neg_lo:[0,0,1] neg_hi:[0,0,1]
	v_mov_b32_e32 v9, v81
	v_add_nc_u64_e32 v[16:17], v[2:3], v[4:5]
	v_add_nc_u64_e32 v[2:3], s[26:27], v[2:3]
	v_mov_b32_e32 v7, v83
	s_delay_alu instid0(VALU_DEP_1)
	v_pk_add_f32 v[6:7], v[8:9], v[6:7]
	v_pk_mul_f32 v[8:9], v[74:75], v[10:11] op_sel_hi:[0,1]
	flat_store_b64 v[68:69], v[6:7] offset:384
	flat_load_b64 v[6:7], v[16:17]
	v_pk_fma_f32 v[74:75], v[76:77], v[14:15], v[8:9] op_sel_hi:[0,1,1]
	v_pk_fma_f32 v[8:9], v[76:77], v[14:15], v[8:9] neg_lo:[0,0,1] neg_hi:[0,0,1]
	s_wait_loadcnt_dscnt 0x0
	v_pk_mul_f32 v[68:69], v[6:7], v[12:13]
	s_delay_alu instid0(VALU_DEP_1)
	v_pk_fma_f32 v[78:79], v[6:7], v[18:19], v[68:69] op_sel:[0,0,1] op_sel_hi:[1,1,0]
	v_pk_fma_f32 v[6:7], v[6:7], v[18:19], v[68:69] op_sel:[0,0,1] op_sel_hi:[1,1,0] neg_lo:[0,0,1] neg_hi:[0,0,1]
	v_mov_b32_e32 v9, v75
	v_add_nc_u64_e32 v[68:69], v[0:1], v[4:5]
	v_add_nc_u64_e32 v[0:1], s[30:31], v[0:1]
	v_mov_b32_e32 v7, v79
	s_delay_alu instid0(VALU_DEP_1)
	v_pk_add_f32 v[6:7], v[8:9], v[6:7]
	v_pk_mul_f32 v[8:9], v[72:73], v[10:11] op_sel_hi:[0,1]
	flat_store_b64 v[68:69], v[6:7]
	flat_load_b64 v[6:7], v[16:17] offset:128
	v_pk_fma_f32 v[74:75], v[70:71], v[14:15], v[8:9] op_sel_hi:[0,1,1]
	v_pk_fma_f32 v[8:9], v[70:71], v[14:15], v[8:9] neg_lo:[0,0,1] neg_hi:[0,0,1]
	s_wait_loadcnt_dscnt 0x0
	v_pk_mul_f32 v[72:73], v[6:7], v[12:13]
	s_delay_alu instid0(VALU_DEP_1) | instskip(SKIP_1) | instid1(VALU_DEP_2)
	v_pk_fma_f32 v[76:77], v[6:7], v[18:19], v[72:73] op_sel:[0,0,1] op_sel_hi:[1,1,0]
	v_pk_fma_f32 v[6:7], v[6:7], v[18:19], v[72:73] op_sel:[0,0,1] op_sel_hi:[1,1,0] neg_lo:[0,0,1] neg_hi:[0,0,1]
	v_dual_mov_b32 v9, v75 :: v_dual_mov_b32 v7, v77
	s_delay_alu instid0(VALU_DEP_1)
	v_pk_add_f32 v[6:7], v[8:9], v[6:7]
	v_pk_mul_f32 v[8:9], v[66:67], v[10:11] op_sel_hi:[0,1]
	flat_store_b64 v[68:69], v[6:7] offset:128
	flat_load_b64 v[6:7], v[16:17] offset:256
	v_pk_fma_f32 v[70:71], v[64:65], v[14:15], v[8:9] op_sel_hi:[0,1,1]
	v_pk_fma_f32 v[8:9], v[64:65], v[14:15], v[8:9] neg_lo:[0,0,1] neg_hi:[0,0,1]
	s_wait_loadcnt_dscnt 0x0
	v_pk_mul_f32 v[66:67], v[6:7], v[12:13]
	s_delay_alu instid0(VALU_DEP_1) | instskip(SKIP_1) | instid1(VALU_DEP_2)
	v_pk_fma_f32 v[72:73], v[6:7], v[18:19], v[66:67] op_sel:[0,0,1] op_sel_hi:[1,1,0]
	v_pk_fma_f32 v[6:7], v[6:7], v[18:19], v[66:67] op_sel:[0,0,1] op_sel_hi:[1,1,0] neg_lo:[0,0,1] neg_hi:[0,0,1]
	v_dual_mov_b32 v9, v71 :: v_dual_mov_b32 v7, v73
	s_delay_alu instid0(VALU_DEP_1)
	v_pk_add_f32 v[6:7], v[8:9], v[6:7]
	v_pk_mul_f32 v[8:9], v[62:63], v[10:11] op_sel_hi:[0,1]
	flat_store_b64 v[68:69], v[6:7] offset:256
	flat_load_b64 v[6:7], v[16:17] offset:384
	v_pk_fma_f32 v[62:63], v[60:61], v[14:15], v[8:9] op_sel_hi:[0,1,1]
	v_pk_fma_f32 v[8:9], v[60:61], v[14:15], v[8:9] neg_lo:[0,0,1] neg_hi:[0,0,1]
	s_wait_loadcnt_dscnt 0x0
	s_wait_xcnt 0x0
	v_pk_mul_f32 v[16:17], v[6:7], v[12:13]
	s_delay_alu instid0(VALU_DEP_1)
	v_pk_fma_f32 v[64:65], v[6:7], v[18:19], v[16:17] op_sel:[0,0,1] op_sel_hi:[1,1,0]
	v_pk_fma_f32 v[6:7], v[6:7], v[18:19], v[16:17] op_sel:[0,0,1] op_sel_hi:[1,1,0] neg_lo:[0,0,1] neg_hi:[0,0,1]
	v_mov_b32_e32 v9, v63
	v_add_nc_u64_e32 v[16:17], v[2:3], v[4:5]
	v_add_nc_u64_e32 v[2:3], s[26:27], v[2:3]
	v_mov_b32_e32 v7, v65
	s_delay_alu instid0(VALU_DEP_1) | instskip(SKIP_1) | instid1(VALU_DEP_4)
	v_pk_add_f32 v[6:7], v[8:9], v[6:7]
	v_pk_mul_f32 v[8:9], v[58:59], v[10:11] op_sel_hi:[0,1]
	v_add_nc_u64_e32 v[2:3], v[2:3], v[4:5]
	flat_store_b64 v[68:69], v[6:7] offset:384
	flat_load_b64 v[6:7], v[16:17]
	v_pk_fma_f32 v[60:61], v[56:57], v[14:15], v[8:9] op_sel_hi:[0,1,1]
	v_pk_fma_f32 v[8:9], v[56:57], v[14:15], v[8:9] neg_lo:[0,0,1] neg_hi:[0,0,1]
	v_add_nc_u64_e32 v[56:57], v[0:1], v[4:5]
	v_add_nc_u64_e32 v[0:1], s[30:31], v[0:1]
	s_delay_alu instid0(VALU_DEP_1) | instskip(SKIP_2) | instid1(VALU_DEP_1)
	v_add_nc_u64_e32 v[0:1], v[0:1], v[4:5]
	s_wait_loadcnt_dscnt 0x0
	v_pk_mul_f32 v[58:59], v[6:7], v[12:13]
	v_pk_fma_f32 v[62:63], v[6:7], v[18:19], v[58:59] op_sel:[0,0,1] op_sel_hi:[1,1,0]
	v_pk_fma_f32 v[6:7], v[6:7], v[18:19], v[58:59] op_sel:[0,0,1] op_sel_hi:[1,1,0] neg_lo:[0,0,1] neg_hi:[0,0,1]
	s_delay_alu instid0(VALU_DEP_2) | instskip(NEXT) | instid1(VALU_DEP_1)
	v_dual_mov_b32 v9, v61 :: v_dual_mov_b32 v7, v63
	v_pk_add_f32 v[6:7], v[8:9], v[6:7]
	v_pk_mul_f32 v[8:9], v[54:55], v[10:11] op_sel_hi:[0,1]
	flat_store_b64 v[56:57], v[6:7]
	flat_load_b64 v[6:7], v[16:17] offset:128
	v_pk_fma_f32 v[58:59], v[52:53], v[14:15], v[8:9] op_sel_hi:[0,1,1]
	v_pk_fma_f32 v[8:9], v[52:53], v[14:15], v[8:9] neg_lo:[0,0,1] neg_hi:[0,0,1]
	s_wait_loadcnt_dscnt 0x0
	v_pk_mul_f32 v[54:55], v[6:7], v[12:13]
	s_delay_alu instid0(VALU_DEP_1) | instskip(SKIP_1) | instid1(VALU_DEP_2)
	v_pk_fma_f32 v[60:61], v[6:7], v[18:19], v[54:55] op_sel:[0,0,1] op_sel_hi:[1,1,0]
	v_pk_fma_f32 v[6:7], v[6:7], v[18:19], v[54:55] op_sel:[0,0,1] op_sel_hi:[1,1,0] neg_lo:[0,0,1] neg_hi:[0,0,1]
	v_dual_mov_b32 v9, v59 :: v_dual_mov_b32 v7, v61
	s_delay_alu instid0(VALU_DEP_1)
	v_pk_add_f32 v[6:7], v[8:9], v[6:7]
	v_pk_mul_f32 v[8:9], v[50:51], v[10:11] op_sel_hi:[0,1]
	flat_store_b64 v[56:57], v[6:7] offset:128
	flat_load_b64 v[6:7], v[16:17] offset:256
	v_pk_fma_f32 v[52:53], v[48:49], v[14:15], v[8:9] op_sel_hi:[0,1,1]
	v_pk_fma_f32 v[8:9], v[48:49], v[14:15], v[8:9] neg_lo:[0,0,1] neg_hi:[0,0,1]
	s_wait_loadcnt_dscnt 0x0
	v_pk_mul_f32 v[50:51], v[6:7], v[12:13]
	s_delay_alu instid0(VALU_DEP_1) | instskip(SKIP_1) | instid1(VALU_DEP_2)
	v_pk_fma_f32 v[54:55], v[6:7], v[18:19], v[50:51] op_sel:[0,0,1] op_sel_hi:[1,1,0]
	v_pk_fma_f32 v[6:7], v[6:7], v[18:19], v[50:51] op_sel:[0,0,1] op_sel_hi:[1,1,0] neg_lo:[0,0,1] neg_hi:[0,0,1]
	v_dual_mov_b32 v9, v53 :: v_dual_mov_b32 v7, v55
	s_delay_alu instid0(VALU_DEP_1)
	v_pk_add_f32 v[6:7], v[8:9], v[6:7]
	v_pk_mul_f32 v[8:9], v[46:47], v[10:11] op_sel_hi:[0,1]
	flat_store_b64 v[56:57], v[6:7] offset:256
	flat_load_b64 v[6:7], v[16:17] offset:384
	v_pk_fma_f32 v[46:47], v[44:45], v[14:15], v[8:9] op_sel_hi:[0,1,1]
	v_pk_fma_f32 v[8:9], v[44:45], v[14:15], v[8:9] neg_lo:[0,0,1] neg_hi:[0,0,1]
	s_wait_loadcnt_dscnt 0x0
	s_wait_xcnt 0x0
	v_pk_mul_f32 v[16:17], v[6:7], v[12:13]
	s_delay_alu instid0(VALU_DEP_1) | instskip(SKIP_1) | instid1(VALU_DEP_2)
	v_pk_fma_f32 v[48:49], v[6:7], v[18:19], v[16:17] op_sel:[0,0,1] op_sel_hi:[1,1,0]
	v_pk_fma_f32 v[6:7], v[6:7], v[18:19], v[16:17] op_sel:[0,0,1] op_sel_hi:[1,1,0] neg_lo:[0,0,1] neg_hi:[0,0,1]
	v_dual_mov_b32 v9, v47 :: v_dual_mov_b32 v7, v49
	s_delay_alu instid0(VALU_DEP_1)
	v_pk_add_f32 v[6:7], v[8:9], v[6:7]
	v_pk_mul_f32 v[8:9], v[42:43], v[10:11] op_sel_hi:[0,1]
	flat_store_b64 v[56:57], v[6:7] offset:384
	flat_load_b64 v[6:7], v[2:3]
	v_pk_fma_f32 v[42:43], v[40:41], v[14:15], v[8:9] op_sel_hi:[0,1,1]
	v_pk_fma_f32 v[8:9], v[40:41], v[14:15], v[8:9] neg_lo:[0,0,1] neg_hi:[0,0,1]
	s_wait_loadcnt_dscnt 0x0
	v_pk_mul_f32 v[16:17], v[6:7], v[12:13]
	s_delay_alu instid0(VALU_DEP_1) | instskip(SKIP_1) | instid1(VALU_DEP_2)
	v_pk_fma_f32 v[44:45], v[6:7], v[18:19], v[16:17] op_sel:[0,0,1] op_sel_hi:[1,1,0]
	v_pk_fma_f32 v[6:7], v[6:7], v[18:19], v[16:17] op_sel:[0,0,1] op_sel_hi:[1,1,0] neg_lo:[0,0,1] neg_hi:[0,0,1]
	v_dual_mov_b32 v9, v43 :: v_dual_mov_b32 v7, v45
	s_delay_alu instid0(VALU_DEP_1)
	v_pk_add_f32 v[4:5], v[8:9], v[6:7]
	v_pk_mul_f32 v[6:7], v[38:39], v[10:11] op_sel_hi:[0,1]
	flat_store_b64 v[0:1], v[4:5]
	flat_load_b64 v[4:5], v[2:3] offset:128
	v_pk_fma_f32 v[16:17], v[36:37], v[14:15], v[6:7] op_sel_hi:[0,1,1]
	v_pk_fma_f32 v[6:7], v[36:37], v[14:15], v[6:7] neg_lo:[0,0,1] neg_hi:[0,0,1]
	s_wait_loadcnt_dscnt 0x0
	v_pk_mul_f32 v[8:9], v[4:5], v[12:13]
	s_delay_alu instid0(VALU_DEP_1) | instskip(SKIP_1) | instid1(VALU_DEP_2)
	v_pk_fma_f32 v[42:43], v[4:5], v[18:19], v[8:9] op_sel:[0,0,1] op_sel_hi:[1,1,0]
	v_pk_fma_f32 v[4:5], v[4:5], v[18:19], v[8:9] op_sel:[0,0,1] op_sel_hi:[1,1,0] neg_lo:[0,0,1] neg_hi:[0,0,1]
	v_dual_mov_b32 v7, v17 :: v_dual_mov_b32 v5, v43
	s_delay_alu instid0(VALU_DEP_1)
	v_pk_add_f32 v[4:5], v[6:7], v[4:5]
	v_pk_mul_f32 v[6:7], v[34:35], v[10:11] op_sel_hi:[0,1]
	flat_store_b64 v[0:1], v[4:5] offset:128
	flat_load_b64 v[4:5], v[2:3] offset:256
	v_pk_fma_f32 v[10:11], v[20:21], v[14:15], v[6:7] op_sel_hi:[0,1,1]
	v_pk_fma_f32 v[6:7], v[20:21], v[14:15], v[6:7] neg_lo:[0,0,1] neg_hi:[0,0,1]
	s_wait_loadcnt_dscnt 0x0
	v_pk_mul_f32 v[8:9], v[4:5], v[12:13]
	s_delay_alu instid0(VALU_DEP_1) | instskip(SKIP_2) | instid1(VALU_DEP_3)
	v_pk_fma_f32 v[12:13], v[4:5], v[18:19], v[8:9] op_sel:[0,0,1] op_sel_hi:[1,1,0]
	v_pk_fma_f32 v[4:5], v[4:5], v[18:19], v[8:9] op_sel:[0,0,1] op_sel_hi:[1,1,0] neg_lo:[0,0,1] neg_hi:[0,0,1]
	v_dual_mov_b32 v7, v11 :: v_dual_mul_f32 v9, s22, v32
	v_mov_b32_e32 v5, v13
	s_delay_alu instid0(VALU_DEP_2) | instskip(NEXT) | instid1(VALU_DEP_2)
	v_fma_f32 v9, -v33, s36, v9
	v_pk_add_f32 v[4:5], v[6:7], v[4:5]
	flat_store_b64 v[0:1], v[4:5] offset:256
	flat_load_b64 v[2:3], v[2:3] offset:384
	s_wait_xcnt 0x1
	v_mov_b64_e32 v[4:5], s[28:29]
	s_wait_loadcnt_dscnt 0x0
	v_dual_mul_f32 v6, s35, v3 :: v_dual_mov_b32 v7, v2
	s_delay_alu instid0(VALU_DEP_1) | instskip(SKIP_2) | instid1(VALU_DEP_1)
	v_fma_f32 v8, v2, s34, -v6
	s_wait_xcnt 0x0
	v_dual_mov_b32 v2, v33 :: v_dual_mov_b32 v6, v32
	v_pk_mul_f32 v[2:3], v[2:3], v[4:5]
	v_mov_b64_e32 v[4:5], s[14:15]
	s_delay_alu instid0(VALU_DEP_1) | instskip(SKIP_1) | instid1(VALU_DEP_2)
	v_pk_fma_f32 v[4:5], v[6:7], v[4:5], v[2:3]
	v_add_nc_u64_e32 v[2:3], 0x180, v[0:1]
	v_dual_add_f32 v6, v9, v8 :: v_dual_add_f32 v4, v4, v5
	flat_store_b32 v[0:1], v6 offset:384
	s_branch .LBB225_2
.LBB225_10:
	s_sendmsg sendmsg(MSG_DEALLOC_VGPRS)
	s_endpgm
	.section	.rodata,"a",@progbits
	.p2align	6, 0x0
	.amdhsa_kernel _ZN12_GLOBAL__N_127rocblas_gemm_batched_kernelI19rocblas_complex_numIfELi16ELi16ELi64ELi64ELi4ELi64ELi4ELi4ELi64ELc78ELc84EKPKS2_S5_KPS2_EEvlllT_PT11_llSA_llS8_PT12_llPT13_lli
		.amdhsa_group_segment_fixed_size 4096
		.amdhsa_private_segment_fixed_size 0
		.amdhsa_kernarg_size 140
		.amdhsa_user_sgpr_count 2
		.amdhsa_user_sgpr_dispatch_ptr 0
		.amdhsa_user_sgpr_queue_ptr 0
		.amdhsa_user_sgpr_kernarg_segment_ptr 1
		.amdhsa_user_sgpr_dispatch_id 0
		.amdhsa_user_sgpr_kernarg_preload_length 0
		.amdhsa_user_sgpr_kernarg_preload_offset 0
		.amdhsa_user_sgpr_private_segment_size 0
		.amdhsa_wavefront_size32 1
		.amdhsa_uses_dynamic_stack 0
		.amdhsa_enable_private_segment 0
		.amdhsa_system_sgpr_workgroup_id_x 1
		.amdhsa_system_sgpr_workgroup_id_y 1
		.amdhsa_system_sgpr_workgroup_id_z 1
		.amdhsa_system_sgpr_workgroup_info 0
		.amdhsa_system_vgpr_workitem_id 1
		.amdhsa_next_free_vgpr 198
		.amdhsa_next_free_sgpr 46
		.amdhsa_named_barrier_count 0
		.amdhsa_reserve_vcc 1
		.amdhsa_float_round_mode_32 0
		.amdhsa_float_round_mode_16_64 0
		.amdhsa_float_denorm_mode_32 3
		.amdhsa_float_denorm_mode_16_64 3
		.amdhsa_fp16_overflow 0
		.amdhsa_memory_ordered 1
		.amdhsa_forward_progress 1
		.amdhsa_inst_pref_size 48
		.amdhsa_round_robin_scheduling 0
		.amdhsa_exception_fp_ieee_invalid_op 0
		.amdhsa_exception_fp_denorm_src 0
		.amdhsa_exception_fp_ieee_div_zero 0
		.amdhsa_exception_fp_ieee_overflow 0
		.amdhsa_exception_fp_ieee_underflow 0
		.amdhsa_exception_fp_ieee_inexact 0
		.amdhsa_exception_int_div_zero 0
	.end_amdhsa_kernel
	.section	.text._ZN12_GLOBAL__N_127rocblas_gemm_batched_kernelI19rocblas_complex_numIfELi16ELi16ELi64ELi64ELi4ELi64ELi4ELi4ELi64ELc78ELc84EKPKS2_S5_KPS2_EEvlllT_PT11_llSA_llS8_PT12_llPT13_lli,"axG",@progbits,_ZN12_GLOBAL__N_127rocblas_gemm_batched_kernelI19rocblas_complex_numIfELi16ELi16ELi64ELi64ELi4ELi64ELi4ELi4ELi64ELc78ELc84EKPKS2_S5_KPS2_EEvlllT_PT11_llSA_llS8_PT12_llPT13_lli,comdat
.Lfunc_end225:
	.size	_ZN12_GLOBAL__N_127rocblas_gemm_batched_kernelI19rocblas_complex_numIfELi16ELi16ELi64ELi64ELi4ELi64ELi4ELi4ELi64ELc78ELc84EKPKS2_S5_KPS2_EEvlllT_PT11_llSA_llS8_PT12_llPT13_lli, .Lfunc_end225-_ZN12_GLOBAL__N_127rocblas_gemm_batched_kernelI19rocblas_complex_numIfELi16ELi16ELi64ELi64ELi4ELi64ELi4ELi4ELi64ELc78ELc84EKPKS2_S5_KPS2_EEvlllT_PT11_llSA_llS8_PT12_llPT13_lli
                                        ; -- End function
	.set _ZN12_GLOBAL__N_127rocblas_gemm_batched_kernelI19rocblas_complex_numIfELi16ELi16ELi64ELi64ELi4ELi64ELi4ELi4ELi64ELc78ELc84EKPKS2_S5_KPS2_EEvlllT_PT11_llSA_llS8_PT12_llPT13_lli.num_vgpr, 198
	.set _ZN12_GLOBAL__N_127rocblas_gemm_batched_kernelI19rocblas_complex_numIfELi16ELi16ELi64ELi64ELi4ELi64ELi4ELi4ELi64ELc78ELc84EKPKS2_S5_KPS2_EEvlllT_PT11_llSA_llS8_PT12_llPT13_lli.num_agpr, 0
	.set _ZN12_GLOBAL__N_127rocblas_gemm_batched_kernelI19rocblas_complex_numIfELi16ELi16ELi64ELi64ELi4ELi64ELi4ELi4ELi64ELc78ELc84EKPKS2_S5_KPS2_EEvlllT_PT11_llSA_llS8_PT12_llPT13_lli.numbered_sgpr, 46
	.set _ZN12_GLOBAL__N_127rocblas_gemm_batched_kernelI19rocblas_complex_numIfELi16ELi16ELi64ELi64ELi4ELi64ELi4ELi4ELi64ELc78ELc84EKPKS2_S5_KPS2_EEvlllT_PT11_llSA_llS8_PT12_llPT13_lli.num_named_barrier, 0
	.set _ZN12_GLOBAL__N_127rocblas_gemm_batched_kernelI19rocblas_complex_numIfELi16ELi16ELi64ELi64ELi4ELi64ELi4ELi4ELi64ELc78ELc84EKPKS2_S5_KPS2_EEvlllT_PT11_llSA_llS8_PT12_llPT13_lli.private_seg_size, 0
	.set _ZN12_GLOBAL__N_127rocblas_gemm_batched_kernelI19rocblas_complex_numIfELi16ELi16ELi64ELi64ELi4ELi64ELi4ELi4ELi64ELc78ELc84EKPKS2_S5_KPS2_EEvlllT_PT11_llSA_llS8_PT12_llPT13_lli.uses_vcc, 1
	.set _ZN12_GLOBAL__N_127rocblas_gemm_batched_kernelI19rocblas_complex_numIfELi16ELi16ELi64ELi64ELi4ELi64ELi4ELi4ELi64ELc78ELc84EKPKS2_S5_KPS2_EEvlllT_PT11_llSA_llS8_PT12_llPT13_lli.uses_flat_scratch, 1
	.set _ZN12_GLOBAL__N_127rocblas_gemm_batched_kernelI19rocblas_complex_numIfELi16ELi16ELi64ELi64ELi4ELi64ELi4ELi4ELi64ELc78ELc84EKPKS2_S5_KPS2_EEvlllT_PT11_llSA_llS8_PT12_llPT13_lli.has_dyn_sized_stack, 0
	.set _ZN12_GLOBAL__N_127rocblas_gemm_batched_kernelI19rocblas_complex_numIfELi16ELi16ELi64ELi64ELi4ELi64ELi4ELi4ELi64ELc78ELc84EKPKS2_S5_KPS2_EEvlllT_PT11_llSA_llS8_PT12_llPT13_lli.has_recursion, 0
	.set _ZN12_GLOBAL__N_127rocblas_gemm_batched_kernelI19rocblas_complex_numIfELi16ELi16ELi64ELi64ELi4ELi64ELi4ELi4ELi64ELc78ELc84EKPKS2_S5_KPS2_EEvlllT_PT11_llSA_llS8_PT12_llPT13_lli.has_indirect_call, 0
	.section	.AMDGPU.csdata,"",@progbits
; Kernel info:
; codeLenInByte = 6044
; TotalNumSgprs: 48
; NumVgprs: 198
; ScratchSize: 0
; MemoryBound: 0
; FloatMode: 240
; IeeeMode: 1
; LDSByteSize: 4096 bytes/workgroup (compile time only)
; SGPRBlocks: 0
; VGPRBlocks: 12
; NumSGPRsForWavesPerEU: 48
; NumVGPRsForWavesPerEU: 198
; NamedBarCnt: 0
; Occupancy: 4
; WaveLimiterHint : 1
; COMPUTE_PGM_RSRC2:SCRATCH_EN: 0
; COMPUTE_PGM_RSRC2:USER_SGPR: 2
; COMPUTE_PGM_RSRC2:TRAP_HANDLER: 0
; COMPUTE_PGM_RSRC2:TGID_X_EN: 1
; COMPUTE_PGM_RSRC2:TGID_Y_EN: 1
; COMPUTE_PGM_RSRC2:TGID_Z_EN: 1
; COMPUTE_PGM_RSRC2:TIDIG_COMP_CNT: 1
	.section	.text._ZN12_GLOBAL__N_127rocblas_gemm_batched_kernelI19rocblas_complex_numIfELi16ELi16ELi64ELi64ELi4ELi64ELi4ELi4ELi64ELc84ELc84EKPKS2_S5_KPS2_EEvlllT_PT11_llSA_llS8_PT12_llPT13_lli,"axG",@progbits,_ZN12_GLOBAL__N_127rocblas_gemm_batched_kernelI19rocblas_complex_numIfELi16ELi16ELi64ELi64ELi4ELi64ELi4ELi4ELi64ELc84ELc84EKPKS2_S5_KPS2_EEvlllT_PT11_llSA_llS8_PT12_llPT13_lli,comdat
	.globl	_ZN12_GLOBAL__N_127rocblas_gemm_batched_kernelI19rocblas_complex_numIfELi16ELi16ELi64ELi64ELi4ELi64ELi4ELi4ELi64ELc84ELc84EKPKS2_S5_KPS2_EEvlllT_PT11_llSA_llS8_PT12_llPT13_lli ; -- Begin function _ZN12_GLOBAL__N_127rocblas_gemm_batched_kernelI19rocblas_complex_numIfELi16ELi16ELi64ELi64ELi4ELi64ELi4ELi4ELi64ELc84ELc84EKPKS2_S5_KPS2_EEvlllT_PT11_llSA_llS8_PT12_llPT13_lli
	.p2align	8
	.type	_ZN12_GLOBAL__N_127rocblas_gemm_batched_kernelI19rocblas_complex_numIfELi16ELi16ELi64ELi64ELi4ELi64ELi4ELi4ELi64ELc84ELc84EKPKS2_S5_KPS2_EEvlllT_PT11_llSA_llS8_PT12_llPT13_lli,@function
_ZN12_GLOBAL__N_127rocblas_gemm_batched_kernelI19rocblas_complex_numIfELi16ELi16ELi64ELi64ELi4ELi64ELi4ELi4ELi64ELc84ELc84EKPKS2_S5_KPS2_EEvlllT_PT11_llSA_llS8_PT12_llPT13_lli: ; @_ZN12_GLOBAL__N_127rocblas_gemm_batched_kernelI19rocblas_complex_numIfELi16ELi16ELi64ELi64ELi4ELi64ELi4ELi4ELi64ELc84ELc84EKPKS2_S5_KPS2_EEvlllT_PT11_llSA_llS8_PT12_llPT13_lli
; %bb.0:
	s_load_b32 s33, s[0:1], 0x88
	s_bfe_u32 s2, ttmp6, 0x40014
	s_lshr_b32 s3, ttmp7, 16
	s_add_co_i32 s2, s2, 1
	s_bfe_u32 s4, ttmp6, 0x40008
	s_mul_i32 s2, s3, s2
	s_getreg_b32 s12, hwreg(HW_REG_IB_STS2, 6, 4)
	s_add_co_i32 s4, s4, s2
	s_cmp_eq_u32 s12, 0
	s_cselect_b32 s2, s3, s4
	s_mov_b32 s3, 0
	s_wait_kmcnt 0x0
	s_cmp_ge_i32 s2, s33
	s_cbranch_scc1 .LBB226_10
; %bb.1:
	s_bfe_u32 s13, ttmp6, 0x4000c
	s_bfe_u32 s15, ttmp6, 0x40010
	v_bfe_u32 v20, v0, 10, 10
	v_and_b32_e32 v2, 0x3ff, v0
	s_clause 0x1
	s_load_b256 s[4:11], s[0:1], 0x20
	s_load_b128 s[24:27], s[0:1], 0x78
	s_add_co_i32 s13, s13, 1
	s_and_b32 s16, ttmp7, 0xffff
	s_add_co_i32 s15, s15, 1
	s_and_b32 s14, ttmp6, 15
	s_mul_i32 s13, ttmp9, s13
	s_mul_i32 s15, s16, s15
	s_bfe_u32 s17, ttmp6, 0x40004
	v_lshl_add_u32 v3, v20, 4, v2
	s_add_co_i32 s14, s14, s13
	s_add_co_i32 s17, s17, s15
	s_cmp_eq_u32 s12, 0
	s_delay_alu instid0(VALU_DEP_1)
	v_dual_mov_b32 v21, 0 :: v_dual_bitop2_b32 v8, 63, v3 bitop3:0x40
	s_cselect_b32 s13, s16, s17
	s_cselect_b32 s12, ttmp9, s14
	s_lshl_b32 s36, s13, 6
	s_ashr_i32 s13, s12, 31
	s_clause 0x1
	s_load_b128 s[28:31], s[0:1], 0x40
	s_load_b64 s[34:35], s[0:1], 0x50
	s_lshl_b64 s[38:39], s[12:13], 6
	s_load_b256 s[12:19], s[0:1], 0x58
	v_dual_mov_b32 v5, v21 :: v_dual_lshrrev_b32 v4, 2, v3
	v_dual_mov_b32 v1, s39 :: v_dual_bitop2_b32 v9, 3, v0 bitop3:0x40
	v_or_b32_e32 v0, s38, v8
	s_mov_b32 s37, s3
	s_load_b128 s[20:23], s[0:1], 0x10
	v_add_nc_u64_e32 v[6:7], s[36:37], v[4:5]
	v_lshlrev_b32_e32 v5, 3, v9
	s_wait_kmcnt 0x0
	v_mul_u64_e32 v[0:1], s[6:7], v[0:1]
	v_dual_lshrrev_b32 v10, 6, v3 :: v_dual_lshlrev_b32 v8, 3, v8
	v_dual_mov_b32 v3, v21 :: v_dual_lshlrev_b32 v39, 3, v2
	v_lshl_or_b32 v11, v4, 5, v5
	v_add_nc_u64_e32 v[4:5], s[36:37], v[20:21]
	v_mad_nc_u64_u32 v[6:7], s28, v9, v[6:7]
	s_or_b32 s0, s34, s35
	v_lshl_add_u32 v41, v20, 5, 0x800
	s_bitset0_b32 s0, 31
	v_add_nc_u64_e32 v[26:27], s[38:39], v[2:3]
	s_cmp_eq_u32 s0, 0
	v_mul_u64_e32 v[22:23], s[24:25], v[4:5]
	v_mul_u64_e32 v[24:25], s[14:15], v[4:5]
	s_cselect_b32 s1, -1, 0
	s_lshl_b64 s[8:9], s[8:9], 3
	v_cmp_gt_i64_e64 s0, s[20:21], 0
	v_mad_u32 v7, s29, v9, v7
	v_lshlrev_b32_e32 v20, 3, v10
	v_lshl_or_b32 v35, v10, 9, v8
	v_add_nc_u32_e32 v37, 0x800, v11
	s_lshl_b64 s[38:39], s[24:25], 4
	s_lshl_b64 s[40:41], s[14:15], 4
	v_cndmask_b32_e64 v4, 0, 1, s0
	s_mov_b32 s6, s23
	s_mov_b32 s7, s22
	;; [unrolled: 1-line block ×4, first 2 shown]
	v_lshlrev_b64_e32 v[2:3], 3, v[6:7]
	v_cmp_ne_u32_e64 s0, 1, v4
	s_mov_b32 s24, s22
	v_lshl_add_u64 v[0:1], v[0:1], 3, s[8:9]
	s_mov_b32 s25, s34
	s_mov_b32 s36, s34
	;; [unrolled: 1-line block ×3, first 2 shown]
	v_lshl_add_u64 v[30:31], s[30:31], 3, v[2:3]
	v_add_nc_u64_e32 v[28:29], v[0:1], v[20:21]
	s_mov_b32 s8, s35
	s_mov_b32 s9, s35
	s_lshl_b64 s[28:29], s[28:29], 5
	s_lshl_b64 s[26:27], s[26:27], 3
	;; [unrolled: 1-line block ×5, first 2 shown]
	s_branch .LBB226_3
.LBB226_2:                              ;   in Loop: Header=BB226_3 Depth=1
	s_add_co_i32 s2, s2, 0x10000
	flat_store_b32 v[2:3], v4 offset:4
	s_cmp_lt_i32 s2, s33
	s_cbranch_scc0 .LBB226_10
.LBB226_3:                              ; =>This Loop Header: Depth=1
                                        ;     Child Loop BB226_5 Depth 2
	s_wait_xcnt 0x1
	v_dual_mov_b32 v0, s2 :: v_dual_mov_b32 v33, 0
	v_dual_mov_b32 v32, 0 :: v_dual_mov_b32 v90, 0
	;; [unrolled: 1-line block ×3, first 2 shown]
	s_clause 0x1
	global_load_b64 v[68:69], v0, s[12:13] scale_offset
	global_load_b64 v[92:93], v0, s[18:19] scale_offset
	v_dual_mov_b32 v88, 0 :: v_dual_mov_b32 v82, 0
	v_dual_mov_b32 v84, 0 :: v_dual_mov_b32 v78, 0
	;; [unrolled: 1-line block ×13, first 2 shown]
	v_mov_b32_e32 v34, 0
	s_and_b32 vcc_lo, exec_lo, s0
	s_cbranch_vccnz .LBB226_6
; %bb.4:                                ;   in Loop: Header=BB226_3 Depth=1
	s_lshl_b64 s[40:41], s[2:3], 3
	v_dual_mov_b32 v34, 0 :: v_dual_mov_b32 v20, 0
	s_add_nc_u64 s[42:43], s[4:5], s[40:41]
	s_add_nc_u64 s[40:41], s[10:11], s[40:41]
	s_clause 0x1
	global_load_b64 v[0:1], v21, s[42:43]
	global_load_b64 v[2:3], v21, s[40:41]
	v_dual_mov_b32 v38, 0 :: v_dual_mov_b32 v36, 0
	v_dual_mov_b32 v42, 0 :: v_dual_mov_b32 v40, 0
	;; [unrolled: 1-line block ×15, first 2 shown]
	s_wait_xcnt 0x0
	s_mov_b64 s[40:41], 0
	s_wait_loadcnt 0x1
	v_add_nc_u64_e32 v[96:97], v[0:1], v[28:29]
	s_wait_loadcnt 0x0
	v_add_nc_u64_e32 v[98:99], v[2:3], v[30:31]
.LBB226_5:                              ;   Parent Loop BB226_3 Depth=1
                                        ; =>  This Inner Loop Header: Depth=2
	flat_load_b64 v[0:1], v[96:97]
	s_add_nc_u64 s[40:41], s[40:41], 4
	s_wait_xcnt 0x0
	v_add_nc_u64_e32 v[96:97], 32, v[96:97]
	v_cmp_lt_i64_e64 s42, s[40:41], s[20:21]
	s_and_b32 vcc_lo, exec_lo, s42
	s_wait_loadcnt_dscnt 0x0
	ds_store_b64 v35, v[0:1]
	flat_load_b64 v[0:1], v[98:99]
	s_wait_xcnt 0x0
	v_add_nc_u64_e32 v[98:99], s[28:29], v[98:99]
	s_wait_loadcnt_dscnt 0x0
	ds_store_b64 v37, v[0:1]
	s_wait_dscnt 0x0
	s_barrier_signal -1
	s_barrier_wait -1
	ds_load_2addr_b64 v[0:3], v39 offset1:16
	ds_load_b128 v[8:11], v41
	ds_load_2addr_b64 v[4:7], v39 offset0:32 offset1:48
	ds_load_2addr_b64 v[12:15], v39 offset0:64 offset1:80
	;; [unrolled: 1-line block ×3, first 2 shown]
	ds_load_b128 v[100:103], v41 offset:16
	ds_load_2addr_b64 v[104:107], v39 offset0:128 offset1:144
	ds_load_2addr_b64 v[108:111], v39 offset0:160 offset1:176
	;; [unrolled: 1-line block ×4, first 2 shown]
	ds_load_b128 v[120:123], v41 offset:512
	ds_load_b128 v[124:127], v41 offset:528
	;; [unrolled: 1-line block ×6, first 2 shown]
	s_wait_dscnt 0x0
	s_barrier_signal -1
	s_barrier_wait -1
	v_dual_mul_f32 v43, v9, v1 :: v_dual_mul_f32 v45, v8, v1
	v_dual_mul_f32 v47, v9, v3 :: v_dual_mul_f32 v49, v8, v3
	v_dual_mul_f32 v51, v9, v5 :: v_dual_mul_f32 v53, v8, v5
	v_dual_mul_f32 v55, v9, v7 :: v_dual_mul_f32 v57, v8, v7
	v_dual_mul_f32 v59, v11, v13 :: v_dual_mul_f32 v61, v10, v13
	v_dual_mul_f32 v63, v11, v15 :: v_dual_mul_f32 v65, v10, v15
	v_dual_mul_f32 v67, v11, v17 :: v_dual_mul_f32 v71, v10, v17
	v_dual_mul_f32 v73, v11, v19 :: v_dual_mul_f32 v75, v10, v19
	v_dual_mul_f32 v77, v121, v1 :: v_dual_mul_f32 v79, v120, v1
	v_dual_mul_f32 v81, v121, v3 :: v_dual_mul_f32 v83, v120, v3
	v_dual_mul_f32 v85, v121, v5 :: v_dual_mul_f32 v87, v120, v5
	v_dual_mul_f32 v89, v121, v7 :: v_dual_mul_f32 v91, v120, v7
	v_dual_mul_f32 v95, v123, v13 :: v_dual_mul_f32 v144, v122, v13
	v_dual_mul_f32 v145, v123, v15 :: v_dual_mul_f32 v146, v122, v15
	v_dual_mul_f32 v147, v123, v17 :: v_dual_mul_f32 v148, v122, v17
	v_dual_mul_f32 v149, v123, v19 :: v_dual_mul_f32 v150, v122, v19
	v_dual_mul_f32 v151, v129, v1 :: v_dual_mul_f32 v152, v128, v1
	v_dual_mul_f32 v153, v129, v3 :: v_dual_mul_f32 v154, v128, v3
	v_dual_mul_f32 v155, v129, v5 :: v_dual_mul_f32 v156, v128, v5
	v_dual_mul_f32 v157, v129, v7 :: v_dual_mul_f32 v158, v128, v7
	v_dual_mul_f32 v159, v131, v13 :: v_dual_mul_f32 v160, v130, v13
	v_dual_mul_f32 v161, v131, v15 :: v_dual_mul_f32 v162, v130, v15
	v_dual_mul_f32 v163, v131, v17 :: v_dual_mul_f32 v164, v130, v17
	v_dual_mul_f32 v165, v131, v19 :: v_dual_mul_f32 v166, v130, v19
	v_dual_mul_f32 v167, v137, v1 :: v_dual_mul_f32 v168, v136, v1
	v_dual_mul_f32 v1, v137, v3 :: v_dual_mul_f32 v169, v136, v3
	v_dual_mul_f32 v3, v137, v5 :: v_dual_mul_f32 v170, v136, v5
	v_dual_fma_f32 v43, v8, v0, -v43 :: v_dual_fmac_f32 v45, v9, v0
	v_dual_fma_f32 v47, v8, v2, -v47 :: v_dual_fmac_f32 v49, v9, v2
	;; [unrolled: 1-line block ×6, first 2 shown]
	v_dual_fma_f32 v67, v10, v16, -v67 :: v_dual_fma_f32 v73, v10, v18, -v73
	v_dual_fmac_f32 v71, v11, v16 :: v_dual_mul_f32 v171, v138, v13
	v_dual_fmac_f32 v75, v11, v18 :: v_dual_fma_f32 v77, v120, v0, -v77
	v_pk_mul_f32 v[8:9], v[136:137], v[6:7] op_sel:[1,1] op_sel_hi:[0,1]
	v_dual_mul_f32 v5, v139, v13 :: v_dual_fmac_f32 v79, v121, v0
	v_dual_mov_b32 v10, v139 :: v_dual_mov_b32 v11, v138
	v_dual_fma_f32 v81, v120, v2, -v81 :: v_dual_fmac_f32 v83, v121, v2
	v_dual_fma_f32 v85, v120, v4, -v85 :: v_dual_fmac_f32 v87, v121, v4
	;; [unrolled: 1-line block ×16, first 2 shown]
	v_dual_fma_f32 v159, v136, v2, -v1 :: v_dual_mul_f32 v161, v101, v107
	v_dual_fmac_f32 v169, v137, v2 :: v_dual_mul_f32 v163, v100, v107
	v_dual_fma_f32 v165, v136, v4, -v3 :: v_dual_fmac_f32 v170, v137, v4
	v_pk_fma_f32 v[0:1], v[136:137], v[6:7], v[8:9] neg_lo:[0,0,1] neg_hi:[0,0,1]
	v_pk_fma_f32 v[2:3], v[136:137], v[6:7], v[8:9] op_sel_hi:[1,0,1]
	v_dual_fma_f32 v137, v138, v12, -v5 :: v_dual_fmac_f32 v171, v139, v12
	v_pk_mul_f32 v[4:5], v[10:11], v[18:19] op_sel:[0,1]
	v_dual_mul_f32 v13, v139, v15 :: v_dual_mul_f32 v123, v138, v15
	v_dual_mul_f32 v15, v139, v17 :: v_dual_mul_f32 v17, v138, v17
	s_delay_alu instid0(VALU_DEP_3)
	v_pk_fma_f32 v[6:7], v[138:139], v[18:19], v[4:5] neg_lo:[0,0,1] neg_hi:[0,0,1]
	v_pk_fma_f32 v[4:5], v[138:139], v[18:19], v[4:5] op_sel_hi:[1,0,1]
	v_dual_mul_f32 v131, v101, v105 :: v_dual_mul_f32 v155, v100, v105
	v_dual_mul_f32 v1, v101, v109 :: v_dual_mul_f32 v2, v100, v109
	;; [unrolled: 1-line block ×4, first 2 shown]
	v_dual_mul_f32 v136, v100, v111 :: v_dual_fma_f32 v167, v138, v14, -v13
	v_fmac_f32_e32 v123, v139, v14
	v_dual_mul_f32 v9, v103, v113 :: v_dual_mul_f32 v172, v102, v113
	v_dual_fma_f32 v173, v138, v16, -v15 :: v_dual_fmac_f32 v17, v139, v16
	v_mul_f32_e32 v16, v102, v115
	v_dual_mul_f32 v10, v103, v119 :: v_dual_mul_f32 v19, v102, v119
	v_dual_fma_f32 v131, v100, v104, -v131 :: v_dual_fma_f32 v139, v100, v106, -v161
	v_dual_fmac_f32 v163, v101, v106 :: v_dual_fma_f32 v161, v100, v108, -v1
	v_dual_fma_f32 v4, v102, v114, -v4 :: v_dual_fma_f32 v174, v102, v116, -v7
	v_dual_mul_f32 v1, v125, v107 :: v_dual_mul_f32 v7, v125, v109
	v_mul_f32_e32 v175, v124, v109
	v_dual_mul_f32 v11, v125, v105 :: v_dual_mul_f32 v138, v124, v105
	v_dual_fmac_f32 v155, v101, v104 :: v_dual_fma_f32 v100, v100, v110, -v8
	v_dual_fmac_f32 v2, v101, v108 :: v_dual_fmac_f32 v136, v101, v110
	v_dual_fma_f32 v101, v102, v112, -v9 :: v_dual_fmac_f32 v172, v103, v112
	v_dual_fmac_f32 v16, v103, v114 :: v_dual_fmac_f32 v18, v103, v116
	v_dual_fma_f32 v102, v102, v118, -v10 :: v_dual_fmac_f32 v19, v103, v118
	v_dual_mul_f32 v103, v124, v107 :: v_dual_fma_f32 v177, v124, v106, -v1
	v_dual_fma_f32 v178, v124, v108, -v7 :: v_dual_mul_f32 v1, v125, v111
	v_dual_fma_f32 v176, v124, v104, -v11 :: v_dual_fmac_f32 v138, v125, v104
	v_fmac_f32_e32 v175, v125, v108
	s_delay_alu instid0(VALU_DEP_4) | instskip(NEXT) | instid1(VALU_DEP_4)
	v_fmac_f32_e32 v103, v125, v106
	v_dual_fma_f32 v179, v124, v110, -v1 :: v_dual_mul_f32 v124, v124, v111
	v_dual_mul_f32 v1, v127, v113 :: v_dual_mul_f32 v180, v126, v113
	v_dual_mul_f32 v182, v126, v115 :: v_dual_mul_f32 v184, v126, v117
	s_delay_alu instid0(VALU_DEP_2) | instskip(NEXT) | instid1(VALU_DEP_3)
	v_dual_fmac_f32 v124, v125, v110 :: v_dual_fma_f32 v125, v126, v112, -v1
	v_dual_mul_f32 v1, v127, v115 :: v_dual_fmac_f32 v180, v127, v112
	v_dual_mul_f32 v186, v132, v105 :: v_dual_mul_f32 v188, v132, v107
	s_delay_alu instid0(VALU_DEP_2) | instskip(SKIP_3) | instid1(VALU_DEP_3)
	v_dual_mul_f32 v190, v132, v109 :: v_dual_fma_f32 v181, v126, v114, -v1
	v_dual_mul_f32 v1, v127, v117 :: v_dual_fmac_f32 v182, v127, v114
	v_dual_mul_f32 v192, v134, v113 :: v_dual_mul_f32 v194, v134, v115
	v_mul_f32_e32 v196, v134, v117
	v_dual_fma_f32 v183, v126, v116, -v1 :: v_dual_mul_f32 v1, v127, v119
	v_fmac_f32_e32 v184, v127, v116
	v_pk_mul_f32 v[8:9], v[140:141], v[110:111] op_sel:[1,1] op_sel_hi:[0,1]
	v_dual_mov_b32 v12, v143 :: v_dual_mov_b32 v13, v142
	s_delay_alu instid0(VALU_DEP_4) | instskip(SKIP_1) | instid1(VALU_DEP_4)
	v_dual_fma_f32 v185, v126, v118, -v1 :: v_dual_mul_f32 v126, v126, v119
	v_mul_f32_e32 v1, v133, v105
	v_pk_fma_f32 v[10:11], v[140:141], v[110:111], v[8:9] neg_lo:[0,0,1] neg_hi:[0,0,1]
	v_pk_fma_f32 v[8:9], v[140:141], v[110:111], v[8:9] op_sel_hi:[1,0,1]
	v_pk_mul_f32 v[12:13], v[12:13], v[118:119] op_sel:[0,1]
	s_delay_alu instid0(VALU_DEP_4) | instskip(SKIP_2) | instid1(VALU_DEP_4)
	v_dual_fmac_f32 v126, v127, v118 :: v_dual_fma_f32 v127, v132, v104, -v1
	v_dual_mul_f32 v1, v133, v107 :: v_dual_fmac_f32 v186, v133, v104
	v_add_f32_e32 v42, v42, v168
	v_pk_fma_f32 v[14:15], v[142:143], v[118:119], v[12:13] neg_lo:[0,0,1] neg_hi:[0,0,1]
	v_pk_fma_f32 v[12:13], v[142:143], v[118:119], v[12:13] op_sel_hi:[1,0,1]
	s_delay_alu instid0(VALU_DEP_4) | instskip(SKIP_2) | instid1(VALU_DEP_3)
	v_dual_fma_f32 v187, v132, v106, -v1 :: v_dual_mul_f32 v1, v133, v109
	v_dual_fmac_f32 v188, v133, v106 :: v_dual_add_f32 v12, v90, v43
	v_dual_add_f32 v43, v94, v45 :: v_dual_add_f32 v72, v72, v83
	v_dual_fma_f32 v189, v132, v108, -v1 :: v_dual_mul_f32 v1, v133, v111
	v_dual_fmac_f32 v190, v133, v108 :: v_dual_add_f32 v45, v86, v47
	v_dual_add_f32 v47, v88, v49 :: v_dual_add_f32 v49, v82, v51
	s_delay_alu instid0(VALU_DEP_3) | instskip(SKIP_2) | instid1(VALU_DEP_2)
	v_dual_fma_f32 v191, v132, v110, -v1 :: v_dual_mul_f32 v132, v132, v111
	v_dual_mul_f32 v1, v135, v113 :: v_dual_mul_f32 v111, v142, v115
	v_dual_add_f32 v51, v84, v53 :: v_dual_add_f32 v53, v78, v55
	v_dual_fmac_f32 v132, v133, v110 :: v_dual_fma_f32 v133, v134, v112, -v1
	v_dual_mul_f32 v1, v135, v115 :: v_dual_fmac_f32 v192, v135, v112
	v_add_f32_e32 v55, v80, v57
	v_dual_add_f32 v57, v76, v77 :: v_dual_add_f32 v74, v74, v79
	s_delay_alu instid0(VALU_DEP_3) | instskip(SKIP_3) | instid1(VALU_DEP_3)
	v_dual_add_f32 v64, v64, v85 :: v_dual_fma_f32 v193, v134, v114, -v1
	v_dual_mul_f32 v1, v135, v117 :: v_dual_fmac_f32 v194, v135, v114
	v_dual_add_f32 v70, v70, v81 :: v_dual_add_f32 v52, v52, v147
	v_dual_add_f32 v66, v66, v87 :: v_dual_add_f32 v60, v60, v89
	v_dual_fma_f32 v195, v134, v116, -v1 :: v_dual_mul_f32 v1, v135, v119
	v_dual_fmac_f32 v196, v135, v116 :: v_dual_add_f32 v62, v62, v91
	v_dual_add_f32 v56, v56, v145 :: v_dual_add_f32 v58, v58, v152
	s_delay_alu instid0(VALU_DEP_3) | instskip(SKIP_2) | instid1(VALU_DEP_2)
	v_dual_add_f32 v48, v48, v149 :: v_dual_fma_f32 v197, v134, v118, -v1
	v_dual_mul_f32 v134, v134, v119 :: v_dual_mul_f32 v1, v141, v105
	v_dual_mul_f32 v105, v140, v105 :: v_dual_add_f32 v54, v54, v154
	v_dual_add_f32 v44, v44, v128 :: v_dual_fmac_f32 v134, v135, v118
	s_delay_alu instid0(VALU_DEP_3) | instskip(NEXT) | instid1(VALU_DEP_3)
	v_dual_fma_f32 v135, v140, v104, -v1 :: v_dual_mul_f32 v1, v141, v107
	v_dual_fmac_f32 v105, v141, v104 :: v_dual_mul_f32 v107, v140, v107
	v_dual_add_f32 v50, v50, v156 :: v_dual_add_f32 v40, v40, v157
	s_delay_alu instid0(VALU_DEP_3) | instskip(NEXT) | instid1(VALU_DEP_3)
	v_dual_fma_f32 v104, v140, v106, -v1 :: v_dual_mul_f32 v1, v141, v109
	v_dual_mul_f32 v109, v140, v109 :: v_dual_fmac_f32 v107, v141, v106
	v_dual_add_f32 v46, v46, v158 :: v_dual_add_f32 v36, v36, v159
	s_delay_alu instid0(VALU_DEP_3) | instskip(NEXT) | instid1(VALU_DEP_3)
	v_dual_fma_f32 v106, v140, v108, -v1 :: v_dual_mul_f32 v1, v143, v113
	v_dual_fmac_f32 v109, v141, v108 :: v_dual_mul_f32 v108, v142, v113
	v_mul_f32_e32 v113, v142, v117
	v_dual_add_f32 v20, v20, v165 :: v_dual_add_f32 v34, v34, v170
	s_delay_alu instid0(VALU_DEP_3) | instskip(NEXT) | instid1(VALU_DEP_3)
	v_dual_fma_f32 v8, v142, v112, -v1 :: v_dual_fmac_f32 v108, v143, v112
	v_dual_mul_f32 v1, v143, v115 :: v_dual_fmac_f32 v113, v143, v116
	v_dual_mov_b32 v7, v5 :: v_dual_mov_b32 v15, v13
	s_delay_alu instid0(VALU_DEP_2) | instskip(SKIP_3) | instid1(VALU_DEP_3)
	v_dual_mov_b32 v11, v9 :: v_dual_fma_f32 v110, v142, v114, -v1
	v_dual_fmac_f32 v111, v143, v114 :: v_dual_mul_f32 v1, v143, v117
	v_dual_add_f32 v5, v12, v59 :: v_dual_add_f32 v9, v43, v61
	v_dual_add_f32 v12, v45, v63 :: v_dual_add_f32 v13, v47, v65
	v_dual_fma_f32 v112, v142, v116, -v1 :: v_dual_mov_b32 v1, v3
	v_add_f32_e32 v3, v38, v169
	v_dual_add_f32 v38, v53, v73 :: v_dual_add_f32 v43, v55, v75
	v_add_f32_e32 v45, v57, v95
	s_delay_alu instid0(VALU_DEP_4)
	v_pk_add_f32 v[0:1], v[32:33], v[0:1]
	v_dual_add_f32 v32, v49, v67 :: v_dual_add_f32 v47, v74, v144
	v_dual_add_f32 v33, v51, v71 :: v_dual_add_f32 v49, v70, v120
	v_add_f32_e32 v51, v72, v146
	v_dual_add_f32 v53, v64, v121 :: v_dual_add_f32 v55, v66, v148
	v_dual_add_f32 v57, v60, v122 :: v_dual_add_f32 v58, v58, v160
	;; [unrolled: 1-line block ×9, first 2 shown]
	v_pk_add_f32 v[0:1], v[0:1], v[6:7]
	v_add_f32_e32 v5, v5, v131
	v_add_f32_e32 v6, v9, v155
	v_dual_add_f32 v7, v12, v139 :: v_dual_add_f32 v2, v33, v2
	v_dual_add_f32 v9, v13, v163 :: v_dual_add_f32 v12, v32, v161
	v_add_f32_e32 v13, v38, v100
	v_add_f32_e32 v32, v43, v136
	v_dual_add_f32 v33, v45, v176 :: v_dual_add_f32 v34, v47, v138
	v_dual_add_f32 v38, v49, v177 :: v_dual_add_f32 v43, v51, v103
	;; [unrolled: 1-line block ×11, first 2 shown]
	v_pk_add_f32 v[0:1], v[0:1], v[10:11]
	v_dual_add_f32 v90, v5, v101 :: v_dual_add_f32 v94, v6, v172
	v_dual_add_f32 v86, v7, v4 :: v_dual_add_f32 v82, v12, v174
	v_dual_add_f32 v88, v9, v16 :: v_dual_add_f32 v84, v2, v18
	v_dual_add_f32 v78, v13, v102 :: v_dual_add_f32 v80, v32, v19
	v_dual_add_f32 v76, v33, v125 :: v_dual_add_f32 v74, v34, v180
	v_dual_add_f32 v70, v38, v181 :: v_dual_add_f32 v72, v43, v182
	v_dual_add_f32 v64, v45, v183 :: v_dual_add_f32 v66, v47, v184
	v_dual_add_f32 v60, v49, v185 :: v_dual_add_f32 v62, v51, v126
	v_dual_add_f32 v56, v53, v133 :: v_dual_add_f32 v58, v55, v192
	v_dual_add_f32 v52, v52, v193 :: v_dual_add_f32 v54, v54, v194
	v_dual_add_f32 v48, v48, v195 :: v_dual_add_f32 v50, v50, v196
	v_dual_add_f32 v44, v44, v197 :: v_dual_add_f32 v46, v46, v134
	v_dual_add_f32 v40, v40, v8 :: v_dual_add_f32 v38, v3, v111
	v_dual_add_f32 v42, v42, v108 :: v_dual_add_f32 v36, v36, v110
	v_dual_add_f32 v20, v20, v112 :: v_dual_add_f32 v34, v17, v113
	v_pk_add_f32 v[32:33], v[0:1], v[14:15]
	s_cbranch_vccnz .LBB226_5
.LBB226_6:                              ;   in Loop: Header=BB226_3 Depth=1
	s_wait_loadcnt 0x0
	s_wait_xcnt 0x0
	v_add_nc_u64_e32 v[0:1], s[26:27], v[92:93]
	s_and_not1_b32 vcc_lo, exec_lo, s1
	s_mov_b32 s40, -1
                                        ; implicit-def: $vgpr4
                                        ; implicit-def: $vgpr2_vgpr3
	s_cbranch_vccz .LBB226_8
; %bb.7:                                ;   in Loop: Header=BB226_3 Depth=1
	s_and_not1_b32 vcc_lo, exec_lo, s40
	s_cbranch_vccnz .LBB226_2
	s_branch .LBB226_9
.LBB226_8:                              ;   in Loop: Header=BB226_3 Depth=1
	v_mov_b64_e32 v[2:3], s[6:7]
	v_mov_b64_e32 v[8:9], s[22:23]
	v_lshlrev_b64_e32 v[4:5], 3, v[26:27]
	v_lshl_add_u64 v[6:7], v[22:23], 3, v[0:1]
	s_delay_alu instid0(VALU_DEP_4)
	v_pk_mul_f32 v[10:11], v[94:95], v[2:3] op_sel_hi:[0,1]
	v_pk_mul_f32 v[12:13], v[88:89], v[2:3] op_sel_hi:[0,1]
	;; [unrolled: 1-line block ×4, first 2 shown]
	v_add_nc_u64_e32 v[18:19], v[6:7], v[4:5]
	v_pk_fma_f32 v[92:93], v[90:91], v[8:9], v[10:11] neg_lo:[0,0,1] neg_hi:[0,0,1]
	v_pk_fma_f32 v[10:11], v[90:91], v[8:9], v[10:11] op_sel_hi:[0,1,1]
	v_pk_fma_f32 v[96:97], v[86:87], v[8:9], v[12:13] op_sel_hi:[0,1,1]
	;; [unrolled: 1-line block ×4, first 2 shown]
	v_pk_fma_f32 v[12:13], v[86:87], v[8:9], v[12:13] neg_lo:[0,0,1] neg_hi:[0,0,1]
	s_delay_alu instid0(VALU_DEP_4)
	v_dual_mov_b32 v93, v11 :: v_dual_mov_b32 v13, v97
	v_pk_fma_f32 v[10:11], v[82:83], v[8:9], v[14:15] neg_lo:[0,0,1] neg_hi:[0,0,1]
	v_mov_b32_e32 v11, v99
	v_pk_fma_f32 v[14:15], v[78:79], v[8:9], v[16:17] neg_lo:[0,0,1] neg_hi:[0,0,1]
	v_mov_b32_e32 v15, v101
	v_pk_mul_f32 v[16:17], v[74:75], v[2:3] op_sel_hi:[0,1]
	s_clause 0x3
	flat_store_b64 v[18:19], v[92:93]
	flat_store_b64 v[18:19], v[12:13] offset:128
	flat_store_b64 v[18:19], v[10:11] offset:256
	;; [unrolled: 1-line block ×3, first 2 shown]
	s_wait_xcnt 0x1
	v_pk_mul_f32 v[10:11], v[72:73], v[2:3] op_sel_hi:[0,1]
	s_wait_xcnt 0x0
	v_pk_mul_f32 v[18:19], v[66:67], v[2:3] op_sel_hi:[0,1]
	v_add_nc_u64_e32 v[6:7], s[38:39], v[6:7]
	v_pk_fma_f32 v[14:15], v[76:77], v[8:9], v[16:17] op_sel_hi:[0,1,1]
	v_pk_mul_f32 v[96:97], v[62:63], v[2:3] op_sel_hi:[0,1]
	v_pk_fma_f32 v[92:93], v[70:71], v[8:9], v[10:11] op_sel_hi:[0,1,1]
	v_pk_fma_f32 v[16:17], v[76:77], v[8:9], v[16:17] neg_lo:[0,0,1] neg_hi:[0,0,1]
	v_pk_fma_f32 v[10:11], v[70:71], v[8:9], v[10:11] neg_lo:[0,0,1] neg_hi:[0,0,1]
	v_mov_b32_e32 v17, v15
	v_pk_fma_f32 v[14:15], v[64:65], v[8:9], v[18:19] op_sel_hi:[0,1,1]
	v_mov_b32_e32 v11, v93
	v_pk_fma_f32 v[92:93], v[60:61], v[8:9], v[96:97] op_sel_hi:[0,1,1]
	v_add_nc_u64_e32 v[12:13], v[6:7], v[4:5]
	v_pk_fma_f32 v[18:19], v[64:65], v[8:9], v[18:19] neg_lo:[0,0,1] neg_hi:[0,0,1]
	v_mov_b32_e32 v19, v15
	v_pk_fma_f32 v[14:15], v[60:61], v[8:9], v[96:97] neg_lo:[0,0,1] neg_hi:[0,0,1]
	v_mov_b32_e32 v15, v93
	v_pk_mul_f32 v[92:93], v[58:59], v[2:3] op_sel_hi:[0,1]
	v_add_nc_u64_e32 v[6:7], s[38:39], v[6:7]
	s_clause 0x3
	flat_store_b64 v[12:13], v[16:17]
	flat_store_b64 v[12:13], v[10:11] offset:128
	flat_store_b64 v[12:13], v[18:19] offset:256
	;; [unrolled: 1-line block ×3, first 2 shown]
	s_wait_xcnt 0x0
	v_pk_mul_f32 v[12:13], v[54:55], v[2:3] op_sel_hi:[0,1]
	v_pk_mul_f32 v[16:17], v[50:51], v[2:3] op_sel_hi:[0,1]
	v_pk_fma_f32 v[14:15], v[56:57], v[8:9], v[92:93] op_sel_hi:[0,1,1]
	v_pk_fma_f32 v[18:19], v[56:57], v[8:9], v[92:93] neg_lo:[0,0,1] neg_hi:[0,0,1]
	v_pk_mul_f32 v[92:93], v[46:47], v[2:3] op_sel_hi:[0,1]
	v_pk_fma_f32 v[96:97], v[52:53], v[8:9], v[12:13] op_sel_hi:[0,1,1]
	v_add_nc_u64_e32 v[10:11], v[6:7], v[4:5]
	v_mov_b32_e32 v19, v15
	v_pk_fma_f32 v[14:15], v[48:49], v[8:9], v[16:17] op_sel_hi:[0,1,1]
	v_pk_fma_f32 v[98:99], v[44:45], v[8:9], v[92:93] op_sel_hi:[0,1,1]
	v_pk_fma_f32 v[12:13], v[52:53], v[8:9], v[12:13] neg_lo:[0,0,1] neg_hi:[0,0,1]
	v_mov_b32_e32 v13, v97
	v_pk_fma_f32 v[16:17], v[48:49], v[8:9], v[16:17] neg_lo:[0,0,1] neg_hi:[0,0,1]
	v_mov_b32_e32 v17, v15
	;; [unrolled: 2-line block ×3, first 2 shown]
	v_add_nc_u64_e32 v[6:7], s[38:39], v[6:7]
	v_pk_mul_f32 v[92:93], v[42:43], v[2:3] op_sel_hi:[0,1]
	s_clause 0x3
	flat_store_b64 v[10:11], v[18:19]
	flat_store_b64 v[10:11], v[12:13] offset:128
	flat_store_b64 v[10:11], v[16:17] offset:256
	;; [unrolled: 1-line block ×3, first 2 shown]
	s_wait_xcnt 0x0
	v_pk_mul_f32 v[10:11], v[38:39], v[2:3] op_sel_hi:[0,1]
	v_pk_fma_f32 v[12:13], v[40:41], v[8:9], v[92:93] op_sel_hi:[0,1,1]
	v_add_nc_u64_e32 v[6:7], v[6:7], v[4:5]
	v_pk_mul_f32 v[4:5], v[34:35], v[2:3] op_sel_hi:[0,1]
	s_delay_alu instid0(VALU_DEP_4)
	v_pk_fma_f32 v[16:17], v[36:37], v[8:9], v[10:11] op_sel_hi:[0,1,1]
	v_pk_fma_f32 v[14:15], v[40:41], v[8:9], v[92:93] neg_lo:[0,0,1] neg_hi:[0,0,1]
	v_pk_fma_f32 v[10:11], v[36:37], v[8:9], v[10:11] neg_lo:[0,0,1] neg_hi:[0,0,1]
	v_mov_b32_e32 v15, v13
	v_pk_fma_f32 v[12:13], v[20:21], v[8:9], v[4:5] op_sel_hi:[0,1,1]
	v_mov_b32_e32 v11, v17
	v_pk_mul_f32 v[16:17], v[32:33], v[2:3]
	v_mul_f32_e32 v12, s22, v32
	v_add_nc_u64_e32 v[2:3], 0x180, v[6:7]
	v_pk_fma_f32 v[8:9], v[20:21], v[8:9], v[4:5] neg_lo:[0,0,1] neg_hi:[0,0,1]
	s_delay_alu instid0(VALU_DEP_4) | instskip(NEXT) | instid1(VALU_DEP_4)
	v_dual_mov_b32 v9, v13 :: v_dual_add_f32 v4, v16, v17
	v_fma_f32 v5, -v33, s6, v12
	s_clause 0x3
	flat_store_b64 v[6:7], v[14:15]
	flat_store_b64 v[6:7], v[10:11] offset:128
	flat_store_b64 v[6:7], v[8:9] offset:256
	flat_store_b32 v[6:7], v5 offset:384
	s_cbranch_execnz .LBB226_2
.LBB226_9:                              ;   in Loop: Header=BB226_3 Depth=1
	v_add_nc_u64_e32 v[2:3], s[16:17], v[68:69]
	s_wait_xcnt 0x0
	v_lshlrev_b64_e32 v[4:5], 3, v[26:27]
	v_mov_b64_e32 v[10:11], s[6:7]
	v_mov_b64_e32 v[12:13], s[8:9]
	;; [unrolled: 1-line block ×4, first 2 shown]
	v_lshl_add_u64 v[0:1], v[22:23], 3, v[0:1]
	v_lshl_add_u64 v[2:3], v[24:25], 3, v[2:3]
	v_pk_mul_f32 v[16:17], v[94:95], v[10:11] op_sel_hi:[0,1]
	s_delay_alu instid0(VALU_DEP_2) | instskip(SKIP_1) | instid1(VALU_DEP_3)
	v_add_nc_u64_e32 v[6:7], v[2:3], v[4:5]
	v_add_nc_u64_e32 v[2:3], s[30:31], v[2:3]
	v_pk_fma_f32 v[92:93], v[90:91], v[14:15], v[16:17] op_sel_hi:[0,1,1]
	v_pk_fma_f32 v[16:17], v[90:91], v[14:15], v[16:17] neg_lo:[0,0,1] neg_hi:[0,0,1]
	flat_load_b64 v[8:9], v[6:7]
	s_wait_loadcnt_dscnt 0x0
	v_pk_mul_f32 v[68:69], v[8:9], v[12:13]
	s_delay_alu instid0(VALU_DEP_1)
	v_pk_fma_f32 v[94:95], v[8:9], v[18:19], v[68:69] op_sel:[0,0,1] op_sel_hi:[1,1,0]
	v_pk_fma_f32 v[8:9], v[8:9], v[18:19], v[68:69] op_sel:[0,0,1] op_sel_hi:[1,1,0] neg_lo:[0,0,1] neg_hi:[0,0,1]
	v_mov_b32_e32 v17, v93
	v_add_nc_u64_e32 v[68:69], v[0:1], v[4:5]
	v_add_nc_u64_e32 v[0:1], s[38:39], v[0:1]
	v_mov_b32_e32 v9, v95
	s_delay_alu instid0(VALU_DEP_1)
	v_pk_add_f32 v[8:9], v[16:17], v[8:9]
	v_pk_mul_f32 v[16:17], v[88:89], v[10:11] op_sel_hi:[0,1]
	flat_store_b64 v[68:69], v[8:9]
	flat_load_b64 v[8:9], v[6:7] offset:128
	v_pk_fma_f32 v[90:91], v[86:87], v[14:15], v[16:17] op_sel_hi:[0,1,1]
	v_pk_fma_f32 v[16:17], v[86:87], v[14:15], v[16:17] neg_lo:[0,0,1] neg_hi:[0,0,1]
	s_wait_loadcnt_dscnt 0x0
	v_pk_mul_f32 v[88:89], v[8:9], v[12:13]
	s_delay_alu instid0(VALU_DEP_1) | instskip(SKIP_1) | instid1(VALU_DEP_2)
	v_pk_fma_f32 v[92:93], v[8:9], v[18:19], v[88:89] op_sel:[0,0,1] op_sel_hi:[1,1,0]
	v_pk_fma_f32 v[8:9], v[8:9], v[18:19], v[88:89] op_sel:[0,0,1] op_sel_hi:[1,1,0] neg_lo:[0,0,1] neg_hi:[0,0,1]
	v_dual_mov_b32 v17, v91 :: v_dual_mov_b32 v9, v93
	s_delay_alu instid0(VALU_DEP_1)
	v_pk_add_f32 v[8:9], v[16:17], v[8:9]
	v_pk_mul_f32 v[16:17], v[84:85], v[10:11] op_sel_hi:[0,1]
	flat_store_b64 v[68:69], v[8:9] offset:128
	flat_load_b64 v[8:9], v[6:7] offset:256
	v_pk_fma_f32 v[86:87], v[82:83], v[14:15], v[16:17] op_sel_hi:[0,1,1]
	v_pk_fma_f32 v[16:17], v[82:83], v[14:15], v[16:17] neg_lo:[0,0,1] neg_hi:[0,0,1]
	s_wait_loadcnt_dscnt 0x0
	v_pk_mul_f32 v[84:85], v[8:9], v[12:13]
	s_delay_alu instid0(VALU_DEP_1) | instskip(SKIP_1) | instid1(VALU_DEP_2)
	v_pk_fma_f32 v[88:89], v[8:9], v[18:19], v[84:85] op_sel:[0,0,1] op_sel_hi:[1,1,0]
	v_pk_fma_f32 v[8:9], v[8:9], v[18:19], v[84:85] op_sel:[0,0,1] op_sel_hi:[1,1,0] neg_lo:[0,0,1] neg_hi:[0,0,1]
	v_dual_mov_b32 v17, v87 :: v_dual_mov_b32 v9, v89
	s_delay_alu instid0(VALU_DEP_1) | instskip(SKIP_4) | instid1(VALU_DEP_1)
	v_pk_add_f32 v[8:9], v[16:17], v[8:9]
	flat_store_b64 v[68:69], v[8:9] offset:256
	flat_load_b64 v[6:7], v[6:7] offset:384
	s_wait_xcnt 0x1
	v_pk_mul_f32 v[8:9], v[80:81], v[10:11] op_sel_hi:[0,1]
	v_pk_fma_f32 v[80:81], v[78:79], v[14:15], v[8:9] op_sel_hi:[0,1,1]
	v_pk_fma_f32 v[8:9], v[78:79], v[14:15], v[8:9] neg_lo:[0,0,1] neg_hi:[0,0,1]
	s_wait_loadcnt_dscnt 0x0
	v_pk_mul_f32 v[16:17], v[6:7], v[12:13]
	s_delay_alu instid0(VALU_DEP_1)
	v_pk_fma_f32 v[82:83], v[6:7], v[18:19], v[16:17] op_sel:[0,0,1] op_sel_hi:[1,1,0]
	s_wait_xcnt 0x0
	v_pk_fma_f32 v[6:7], v[6:7], v[18:19], v[16:17] op_sel:[0,0,1] op_sel_hi:[1,1,0] neg_lo:[0,0,1] neg_hi:[0,0,1]
	v_mov_b32_e32 v9, v81
	v_add_nc_u64_e32 v[16:17], v[2:3], v[4:5]
	v_add_nc_u64_e32 v[2:3], s[30:31], v[2:3]
	v_mov_b32_e32 v7, v83
	s_delay_alu instid0(VALU_DEP_1)
	v_pk_add_f32 v[6:7], v[8:9], v[6:7]
	v_pk_mul_f32 v[8:9], v[74:75], v[10:11] op_sel_hi:[0,1]
	flat_store_b64 v[68:69], v[6:7] offset:384
	flat_load_b64 v[6:7], v[16:17]
	v_pk_fma_f32 v[74:75], v[76:77], v[14:15], v[8:9] op_sel_hi:[0,1,1]
	v_pk_fma_f32 v[8:9], v[76:77], v[14:15], v[8:9] neg_lo:[0,0,1] neg_hi:[0,0,1]
	s_wait_loadcnt_dscnt 0x0
	v_pk_mul_f32 v[68:69], v[6:7], v[12:13]
	s_delay_alu instid0(VALU_DEP_1)
	v_pk_fma_f32 v[78:79], v[6:7], v[18:19], v[68:69] op_sel:[0,0,1] op_sel_hi:[1,1,0]
	v_pk_fma_f32 v[6:7], v[6:7], v[18:19], v[68:69] op_sel:[0,0,1] op_sel_hi:[1,1,0] neg_lo:[0,0,1] neg_hi:[0,0,1]
	v_mov_b32_e32 v9, v75
	v_add_nc_u64_e32 v[68:69], v[0:1], v[4:5]
	v_add_nc_u64_e32 v[0:1], s[38:39], v[0:1]
	v_mov_b32_e32 v7, v79
	s_delay_alu instid0(VALU_DEP_1)
	v_pk_add_f32 v[6:7], v[8:9], v[6:7]
	v_pk_mul_f32 v[8:9], v[72:73], v[10:11] op_sel_hi:[0,1]
	flat_store_b64 v[68:69], v[6:7]
	flat_load_b64 v[6:7], v[16:17] offset:128
	v_pk_fma_f32 v[74:75], v[70:71], v[14:15], v[8:9] op_sel_hi:[0,1,1]
	v_pk_fma_f32 v[8:9], v[70:71], v[14:15], v[8:9] neg_lo:[0,0,1] neg_hi:[0,0,1]
	s_wait_loadcnt_dscnt 0x0
	v_pk_mul_f32 v[72:73], v[6:7], v[12:13]
	s_delay_alu instid0(VALU_DEP_1) | instskip(SKIP_1) | instid1(VALU_DEP_2)
	v_pk_fma_f32 v[76:77], v[6:7], v[18:19], v[72:73] op_sel:[0,0,1] op_sel_hi:[1,1,0]
	v_pk_fma_f32 v[6:7], v[6:7], v[18:19], v[72:73] op_sel:[0,0,1] op_sel_hi:[1,1,0] neg_lo:[0,0,1] neg_hi:[0,0,1]
	v_dual_mov_b32 v9, v75 :: v_dual_mov_b32 v7, v77
	s_delay_alu instid0(VALU_DEP_1)
	v_pk_add_f32 v[6:7], v[8:9], v[6:7]
	v_pk_mul_f32 v[8:9], v[66:67], v[10:11] op_sel_hi:[0,1]
	flat_store_b64 v[68:69], v[6:7] offset:128
	flat_load_b64 v[6:7], v[16:17] offset:256
	v_pk_fma_f32 v[70:71], v[64:65], v[14:15], v[8:9] op_sel_hi:[0,1,1]
	v_pk_fma_f32 v[8:9], v[64:65], v[14:15], v[8:9] neg_lo:[0,0,1] neg_hi:[0,0,1]
	s_wait_loadcnt_dscnt 0x0
	v_pk_mul_f32 v[66:67], v[6:7], v[12:13]
	s_delay_alu instid0(VALU_DEP_1) | instskip(SKIP_1) | instid1(VALU_DEP_2)
	v_pk_fma_f32 v[72:73], v[6:7], v[18:19], v[66:67] op_sel:[0,0,1] op_sel_hi:[1,1,0]
	v_pk_fma_f32 v[6:7], v[6:7], v[18:19], v[66:67] op_sel:[0,0,1] op_sel_hi:[1,1,0] neg_lo:[0,0,1] neg_hi:[0,0,1]
	v_dual_mov_b32 v9, v71 :: v_dual_mov_b32 v7, v73
	s_delay_alu instid0(VALU_DEP_1)
	v_pk_add_f32 v[6:7], v[8:9], v[6:7]
	v_pk_mul_f32 v[8:9], v[62:63], v[10:11] op_sel_hi:[0,1]
	flat_store_b64 v[68:69], v[6:7] offset:256
	flat_load_b64 v[6:7], v[16:17] offset:384
	v_pk_fma_f32 v[62:63], v[60:61], v[14:15], v[8:9] op_sel_hi:[0,1,1]
	v_pk_fma_f32 v[8:9], v[60:61], v[14:15], v[8:9] neg_lo:[0,0,1] neg_hi:[0,0,1]
	s_wait_loadcnt_dscnt 0x0
	s_wait_xcnt 0x0
	v_pk_mul_f32 v[16:17], v[6:7], v[12:13]
	s_delay_alu instid0(VALU_DEP_1)
	v_pk_fma_f32 v[64:65], v[6:7], v[18:19], v[16:17] op_sel:[0,0,1] op_sel_hi:[1,1,0]
	v_pk_fma_f32 v[6:7], v[6:7], v[18:19], v[16:17] op_sel:[0,0,1] op_sel_hi:[1,1,0] neg_lo:[0,0,1] neg_hi:[0,0,1]
	v_mov_b32_e32 v9, v63
	v_add_nc_u64_e32 v[16:17], v[2:3], v[4:5]
	v_add_nc_u64_e32 v[2:3], s[30:31], v[2:3]
	v_mov_b32_e32 v7, v65
	s_delay_alu instid0(VALU_DEP_1) | instskip(SKIP_1) | instid1(VALU_DEP_4)
	v_pk_add_f32 v[6:7], v[8:9], v[6:7]
	v_pk_mul_f32 v[8:9], v[58:59], v[10:11] op_sel_hi:[0,1]
	v_add_nc_u64_e32 v[2:3], v[2:3], v[4:5]
	flat_store_b64 v[68:69], v[6:7] offset:384
	flat_load_b64 v[6:7], v[16:17]
	v_pk_fma_f32 v[60:61], v[56:57], v[14:15], v[8:9] op_sel_hi:[0,1,1]
	v_pk_fma_f32 v[8:9], v[56:57], v[14:15], v[8:9] neg_lo:[0,0,1] neg_hi:[0,0,1]
	v_add_nc_u64_e32 v[56:57], v[0:1], v[4:5]
	v_add_nc_u64_e32 v[0:1], s[38:39], v[0:1]
	s_delay_alu instid0(VALU_DEP_1) | instskip(SKIP_2) | instid1(VALU_DEP_1)
	v_add_nc_u64_e32 v[0:1], v[0:1], v[4:5]
	s_wait_loadcnt_dscnt 0x0
	v_pk_mul_f32 v[58:59], v[6:7], v[12:13]
	v_pk_fma_f32 v[62:63], v[6:7], v[18:19], v[58:59] op_sel:[0,0,1] op_sel_hi:[1,1,0]
	v_pk_fma_f32 v[6:7], v[6:7], v[18:19], v[58:59] op_sel:[0,0,1] op_sel_hi:[1,1,0] neg_lo:[0,0,1] neg_hi:[0,0,1]
	s_delay_alu instid0(VALU_DEP_2) | instskip(NEXT) | instid1(VALU_DEP_1)
	v_dual_mov_b32 v9, v61 :: v_dual_mov_b32 v7, v63
	v_pk_add_f32 v[6:7], v[8:9], v[6:7]
	v_pk_mul_f32 v[8:9], v[54:55], v[10:11] op_sel_hi:[0,1]
	flat_store_b64 v[56:57], v[6:7]
	flat_load_b64 v[6:7], v[16:17] offset:128
	v_pk_fma_f32 v[58:59], v[52:53], v[14:15], v[8:9] op_sel_hi:[0,1,1]
	v_pk_fma_f32 v[8:9], v[52:53], v[14:15], v[8:9] neg_lo:[0,0,1] neg_hi:[0,0,1]
	s_wait_loadcnt_dscnt 0x0
	v_pk_mul_f32 v[54:55], v[6:7], v[12:13]
	s_delay_alu instid0(VALU_DEP_1) | instskip(SKIP_1) | instid1(VALU_DEP_2)
	v_pk_fma_f32 v[60:61], v[6:7], v[18:19], v[54:55] op_sel:[0,0,1] op_sel_hi:[1,1,0]
	v_pk_fma_f32 v[6:7], v[6:7], v[18:19], v[54:55] op_sel:[0,0,1] op_sel_hi:[1,1,0] neg_lo:[0,0,1] neg_hi:[0,0,1]
	v_dual_mov_b32 v9, v59 :: v_dual_mov_b32 v7, v61
	s_delay_alu instid0(VALU_DEP_1)
	v_pk_add_f32 v[6:7], v[8:9], v[6:7]
	v_pk_mul_f32 v[8:9], v[50:51], v[10:11] op_sel_hi:[0,1]
	flat_store_b64 v[56:57], v[6:7] offset:128
	flat_load_b64 v[6:7], v[16:17] offset:256
	v_pk_fma_f32 v[52:53], v[48:49], v[14:15], v[8:9] op_sel_hi:[0,1,1]
	v_pk_fma_f32 v[8:9], v[48:49], v[14:15], v[8:9] neg_lo:[0,0,1] neg_hi:[0,0,1]
	s_wait_loadcnt_dscnt 0x0
	v_pk_mul_f32 v[50:51], v[6:7], v[12:13]
	s_delay_alu instid0(VALU_DEP_1) | instskip(SKIP_1) | instid1(VALU_DEP_2)
	v_pk_fma_f32 v[54:55], v[6:7], v[18:19], v[50:51] op_sel:[0,0,1] op_sel_hi:[1,1,0]
	v_pk_fma_f32 v[6:7], v[6:7], v[18:19], v[50:51] op_sel:[0,0,1] op_sel_hi:[1,1,0] neg_lo:[0,0,1] neg_hi:[0,0,1]
	v_dual_mov_b32 v9, v53 :: v_dual_mov_b32 v7, v55
	s_delay_alu instid0(VALU_DEP_1)
	v_pk_add_f32 v[6:7], v[8:9], v[6:7]
	v_pk_mul_f32 v[8:9], v[46:47], v[10:11] op_sel_hi:[0,1]
	flat_store_b64 v[56:57], v[6:7] offset:256
	flat_load_b64 v[6:7], v[16:17] offset:384
	v_pk_fma_f32 v[46:47], v[44:45], v[14:15], v[8:9] op_sel_hi:[0,1,1]
	v_pk_fma_f32 v[8:9], v[44:45], v[14:15], v[8:9] neg_lo:[0,0,1] neg_hi:[0,0,1]
	s_wait_loadcnt_dscnt 0x0
	s_wait_xcnt 0x0
	v_pk_mul_f32 v[16:17], v[6:7], v[12:13]
	s_delay_alu instid0(VALU_DEP_1) | instskip(SKIP_1) | instid1(VALU_DEP_2)
	v_pk_fma_f32 v[48:49], v[6:7], v[18:19], v[16:17] op_sel:[0,0,1] op_sel_hi:[1,1,0]
	v_pk_fma_f32 v[6:7], v[6:7], v[18:19], v[16:17] op_sel:[0,0,1] op_sel_hi:[1,1,0] neg_lo:[0,0,1] neg_hi:[0,0,1]
	v_dual_mov_b32 v9, v47 :: v_dual_mov_b32 v7, v49
	s_delay_alu instid0(VALU_DEP_1)
	v_pk_add_f32 v[6:7], v[8:9], v[6:7]
	v_pk_mul_f32 v[8:9], v[42:43], v[10:11] op_sel_hi:[0,1]
	flat_store_b64 v[56:57], v[6:7] offset:384
	flat_load_b64 v[6:7], v[2:3]
	v_pk_fma_f32 v[42:43], v[40:41], v[14:15], v[8:9] op_sel_hi:[0,1,1]
	v_pk_fma_f32 v[8:9], v[40:41], v[14:15], v[8:9] neg_lo:[0,0,1] neg_hi:[0,0,1]
	s_wait_loadcnt_dscnt 0x0
	v_pk_mul_f32 v[16:17], v[6:7], v[12:13]
	s_delay_alu instid0(VALU_DEP_1) | instskip(SKIP_1) | instid1(VALU_DEP_2)
	v_pk_fma_f32 v[44:45], v[6:7], v[18:19], v[16:17] op_sel:[0,0,1] op_sel_hi:[1,1,0]
	v_pk_fma_f32 v[6:7], v[6:7], v[18:19], v[16:17] op_sel:[0,0,1] op_sel_hi:[1,1,0] neg_lo:[0,0,1] neg_hi:[0,0,1]
	v_dual_mov_b32 v9, v43 :: v_dual_mov_b32 v7, v45
	s_delay_alu instid0(VALU_DEP_1)
	v_pk_add_f32 v[4:5], v[8:9], v[6:7]
	v_pk_mul_f32 v[6:7], v[38:39], v[10:11] op_sel_hi:[0,1]
	flat_store_b64 v[0:1], v[4:5]
	flat_load_b64 v[4:5], v[2:3] offset:128
	v_pk_fma_f32 v[16:17], v[36:37], v[14:15], v[6:7] op_sel_hi:[0,1,1]
	v_pk_fma_f32 v[6:7], v[36:37], v[14:15], v[6:7] neg_lo:[0,0,1] neg_hi:[0,0,1]
	s_wait_loadcnt_dscnt 0x0
	v_pk_mul_f32 v[8:9], v[4:5], v[12:13]
	s_delay_alu instid0(VALU_DEP_1) | instskip(SKIP_1) | instid1(VALU_DEP_2)
	v_pk_fma_f32 v[42:43], v[4:5], v[18:19], v[8:9] op_sel:[0,0,1] op_sel_hi:[1,1,0]
	v_pk_fma_f32 v[4:5], v[4:5], v[18:19], v[8:9] op_sel:[0,0,1] op_sel_hi:[1,1,0] neg_lo:[0,0,1] neg_hi:[0,0,1]
	v_dual_mov_b32 v7, v17 :: v_dual_mov_b32 v5, v43
	s_delay_alu instid0(VALU_DEP_1)
	v_pk_add_f32 v[4:5], v[6:7], v[4:5]
	v_pk_mul_f32 v[6:7], v[34:35], v[10:11] op_sel_hi:[0,1]
	flat_store_b64 v[0:1], v[4:5] offset:128
	flat_load_b64 v[4:5], v[2:3] offset:256
	v_pk_fma_f32 v[10:11], v[20:21], v[14:15], v[6:7] op_sel_hi:[0,1,1]
	v_pk_fma_f32 v[6:7], v[20:21], v[14:15], v[6:7] neg_lo:[0,0,1] neg_hi:[0,0,1]
	s_wait_loadcnt_dscnt 0x0
	v_pk_mul_f32 v[8:9], v[4:5], v[12:13]
	s_delay_alu instid0(VALU_DEP_1) | instskip(SKIP_2) | instid1(VALU_DEP_3)
	v_pk_fma_f32 v[12:13], v[4:5], v[18:19], v[8:9] op_sel:[0,0,1] op_sel_hi:[1,1,0]
	v_pk_fma_f32 v[4:5], v[4:5], v[18:19], v[8:9] op_sel:[0,0,1] op_sel_hi:[1,1,0] neg_lo:[0,0,1] neg_hi:[0,0,1]
	v_dual_mov_b32 v7, v11 :: v_dual_mul_f32 v9, s22, v32
	v_mov_b32_e32 v5, v13
	s_delay_alu instid0(VALU_DEP_2) | instskip(NEXT) | instid1(VALU_DEP_2)
	v_fma_f32 v9, -v33, s6, v9
	v_pk_add_f32 v[4:5], v[6:7], v[4:5]
	flat_store_b64 v[0:1], v[4:5] offset:256
	flat_load_b64 v[2:3], v[2:3] offset:384
	s_wait_xcnt 0x1
	v_mov_b64_e32 v[4:5], s[24:25]
	s_wait_loadcnt_dscnt 0x0
	v_dual_mul_f32 v6, s35, v3 :: v_dual_mov_b32 v7, v2
	s_delay_alu instid0(VALU_DEP_1) | instskip(SKIP_2) | instid1(VALU_DEP_1)
	v_fma_f32 v8, v2, s34, -v6
	s_wait_xcnt 0x0
	v_dual_mov_b32 v2, v33 :: v_dual_mov_b32 v6, v32
	v_pk_mul_f32 v[2:3], v[2:3], v[4:5]
	v_mov_b64_e32 v[4:5], s[14:15]
	s_delay_alu instid0(VALU_DEP_1) | instskip(SKIP_1) | instid1(VALU_DEP_2)
	v_pk_fma_f32 v[4:5], v[6:7], v[4:5], v[2:3]
	v_add_nc_u64_e32 v[2:3], 0x180, v[0:1]
	v_dual_add_f32 v6, v9, v8 :: v_dual_add_f32 v4, v4, v5
	flat_store_b32 v[0:1], v6 offset:384
	s_branch .LBB226_2
.LBB226_10:
	s_sendmsg sendmsg(MSG_DEALLOC_VGPRS)
	s_endpgm
	.section	.rodata,"a",@progbits
	.p2align	6, 0x0
	.amdhsa_kernel _ZN12_GLOBAL__N_127rocblas_gemm_batched_kernelI19rocblas_complex_numIfELi16ELi16ELi64ELi64ELi4ELi64ELi4ELi4ELi64ELc84ELc84EKPKS2_S5_KPS2_EEvlllT_PT11_llSA_llS8_PT12_llPT13_lli
		.amdhsa_group_segment_fixed_size 4096
		.amdhsa_private_segment_fixed_size 0
		.amdhsa_kernarg_size 140
		.amdhsa_user_sgpr_count 2
		.amdhsa_user_sgpr_dispatch_ptr 0
		.amdhsa_user_sgpr_queue_ptr 0
		.amdhsa_user_sgpr_kernarg_segment_ptr 1
		.amdhsa_user_sgpr_dispatch_id 0
		.amdhsa_user_sgpr_kernarg_preload_length 0
		.amdhsa_user_sgpr_kernarg_preload_offset 0
		.amdhsa_user_sgpr_private_segment_size 0
		.amdhsa_wavefront_size32 1
		.amdhsa_uses_dynamic_stack 0
		.amdhsa_enable_private_segment 0
		.amdhsa_system_sgpr_workgroup_id_x 1
		.amdhsa_system_sgpr_workgroup_id_y 1
		.amdhsa_system_sgpr_workgroup_id_z 1
		.amdhsa_system_sgpr_workgroup_info 0
		.amdhsa_system_vgpr_workitem_id 1
		.amdhsa_next_free_vgpr 198
		.amdhsa_next_free_sgpr 44
		.amdhsa_named_barrier_count 0
		.amdhsa_reserve_vcc 1
		.amdhsa_float_round_mode_32 0
		.amdhsa_float_round_mode_16_64 0
		.amdhsa_float_denorm_mode_32 3
		.amdhsa_float_denorm_mode_16_64 3
		.amdhsa_fp16_overflow 0
		.amdhsa_memory_ordered 1
		.amdhsa_forward_progress 1
		.amdhsa_inst_pref_size 48
		.amdhsa_round_robin_scheduling 0
		.amdhsa_exception_fp_ieee_invalid_op 0
		.amdhsa_exception_fp_denorm_src 0
		.amdhsa_exception_fp_ieee_div_zero 0
		.amdhsa_exception_fp_ieee_overflow 0
		.amdhsa_exception_fp_ieee_underflow 0
		.amdhsa_exception_fp_ieee_inexact 0
		.amdhsa_exception_int_div_zero 0
	.end_amdhsa_kernel
	.section	.text._ZN12_GLOBAL__N_127rocblas_gemm_batched_kernelI19rocblas_complex_numIfELi16ELi16ELi64ELi64ELi4ELi64ELi4ELi4ELi64ELc84ELc84EKPKS2_S5_KPS2_EEvlllT_PT11_llSA_llS8_PT12_llPT13_lli,"axG",@progbits,_ZN12_GLOBAL__N_127rocblas_gemm_batched_kernelI19rocblas_complex_numIfELi16ELi16ELi64ELi64ELi4ELi64ELi4ELi4ELi64ELc84ELc84EKPKS2_S5_KPS2_EEvlllT_PT11_llSA_llS8_PT12_llPT13_lli,comdat
.Lfunc_end226:
	.size	_ZN12_GLOBAL__N_127rocblas_gemm_batched_kernelI19rocblas_complex_numIfELi16ELi16ELi64ELi64ELi4ELi64ELi4ELi4ELi64ELc84ELc84EKPKS2_S5_KPS2_EEvlllT_PT11_llSA_llS8_PT12_llPT13_lli, .Lfunc_end226-_ZN12_GLOBAL__N_127rocblas_gemm_batched_kernelI19rocblas_complex_numIfELi16ELi16ELi64ELi64ELi4ELi64ELi4ELi4ELi64ELc84ELc84EKPKS2_S5_KPS2_EEvlllT_PT11_llSA_llS8_PT12_llPT13_lli
                                        ; -- End function
	.set _ZN12_GLOBAL__N_127rocblas_gemm_batched_kernelI19rocblas_complex_numIfELi16ELi16ELi64ELi64ELi4ELi64ELi4ELi4ELi64ELc84ELc84EKPKS2_S5_KPS2_EEvlllT_PT11_llSA_llS8_PT12_llPT13_lli.num_vgpr, 198
	.set _ZN12_GLOBAL__N_127rocblas_gemm_batched_kernelI19rocblas_complex_numIfELi16ELi16ELi64ELi64ELi4ELi64ELi4ELi4ELi64ELc84ELc84EKPKS2_S5_KPS2_EEvlllT_PT11_llSA_llS8_PT12_llPT13_lli.num_agpr, 0
	.set _ZN12_GLOBAL__N_127rocblas_gemm_batched_kernelI19rocblas_complex_numIfELi16ELi16ELi64ELi64ELi4ELi64ELi4ELi4ELi64ELc84ELc84EKPKS2_S5_KPS2_EEvlllT_PT11_llSA_llS8_PT12_llPT13_lli.numbered_sgpr, 44
	.set _ZN12_GLOBAL__N_127rocblas_gemm_batched_kernelI19rocblas_complex_numIfELi16ELi16ELi64ELi64ELi4ELi64ELi4ELi4ELi64ELc84ELc84EKPKS2_S5_KPS2_EEvlllT_PT11_llSA_llS8_PT12_llPT13_lli.num_named_barrier, 0
	.set _ZN12_GLOBAL__N_127rocblas_gemm_batched_kernelI19rocblas_complex_numIfELi16ELi16ELi64ELi64ELi4ELi64ELi4ELi4ELi64ELc84ELc84EKPKS2_S5_KPS2_EEvlllT_PT11_llSA_llS8_PT12_llPT13_lli.private_seg_size, 0
	.set _ZN12_GLOBAL__N_127rocblas_gemm_batched_kernelI19rocblas_complex_numIfELi16ELi16ELi64ELi64ELi4ELi64ELi4ELi4ELi64ELc84ELc84EKPKS2_S5_KPS2_EEvlllT_PT11_llSA_llS8_PT12_llPT13_lli.uses_vcc, 1
	.set _ZN12_GLOBAL__N_127rocblas_gemm_batched_kernelI19rocblas_complex_numIfELi16ELi16ELi64ELi64ELi4ELi64ELi4ELi4ELi64ELc84ELc84EKPKS2_S5_KPS2_EEvlllT_PT11_llSA_llS8_PT12_llPT13_lli.uses_flat_scratch, 1
	.set _ZN12_GLOBAL__N_127rocblas_gemm_batched_kernelI19rocblas_complex_numIfELi16ELi16ELi64ELi64ELi4ELi64ELi4ELi4ELi64ELc84ELc84EKPKS2_S5_KPS2_EEvlllT_PT11_llSA_llS8_PT12_llPT13_lli.has_dyn_sized_stack, 0
	.set _ZN12_GLOBAL__N_127rocblas_gemm_batched_kernelI19rocblas_complex_numIfELi16ELi16ELi64ELi64ELi4ELi64ELi4ELi4ELi64ELc84ELc84EKPKS2_S5_KPS2_EEvlllT_PT11_llSA_llS8_PT12_llPT13_lli.has_recursion, 0
	.set _ZN12_GLOBAL__N_127rocblas_gemm_batched_kernelI19rocblas_complex_numIfELi16ELi16ELi64ELi64ELi4ELi64ELi4ELi4ELi64ELc84ELc84EKPKS2_S5_KPS2_EEvlllT_PT11_llSA_llS8_PT12_llPT13_lli.has_indirect_call, 0
	.section	.AMDGPU.csdata,"",@progbits
; Kernel info:
; codeLenInByte = 6044
; TotalNumSgprs: 46
; NumVgprs: 198
; ScratchSize: 0
; MemoryBound: 0
; FloatMode: 240
; IeeeMode: 1
; LDSByteSize: 4096 bytes/workgroup (compile time only)
; SGPRBlocks: 0
; VGPRBlocks: 12
; NumSGPRsForWavesPerEU: 46
; NumVGPRsForWavesPerEU: 198
; NamedBarCnt: 0
; Occupancy: 4
; WaveLimiterHint : 1
; COMPUTE_PGM_RSRC2:SCRATCH_EN: 0
; COMPUTE_PGM_RSRC2:USER_SGPR: 2
; COMPUTE_PGM_RSRC2:TRAP_HANDLER: 0
; COMPUTE_PGM_RSRC2:TGID_X_EN: 1
; COMPUTE_PGM_RSRC2:TGID_Y_EN: 1
; COMPUTE_PGM_RSRC2:TGID_Z_EN: 1
; COMPUTE_PGM_RSRC2:TIDIG_COMP_CNT: 1
	.section	.text._ZN12_GLOBAL__N_127rocblas_gemm_batched_kernelI19rocblas_complex_numIfELi16ELi16ELi64ELi64ELi4ELi64ELi4ELi4ELi64ELc67ELc67EKPKS2_S5_KPS2_EEvlllT_PT11_llSA_llS8_PT12_llPT13_lli,"axG",@progbits,_ZN12_GLOBAL__N_127rocblas_gemm_batched_kernelI19rocblas_complex_numIfELi16ELi16ELi64ELi64ELi4ELi64ELi4ELi4ELi64ELc67ELc67EKPKS2_S5_KPS2_EEvlllT_PT11_llSA_llS8_PT12_llPT13_lli,comdat
	.globl	_ZN12_GLOBAL__N_127rocblas_gemm_batched_kernelI19rocblas_complex_numIfELi16ELi16ELi64ELi64ELi4ELi64ELi4ELi4ELi64ELc67ELc67EKPKS2_S5_KPS2_EEvlllT_PT11_llSA_llS8_PT12_llPT13_lli ; -- Begin function _ZN12_GLOBAL__N_127rocblas_gemm_batched_kernelI19rocblas_complex_numIfELi16ELi16ELi64ELi64ELi4ELi64ELi4ELi4ELi64ELc67ELc67EKPKS2_S5_KPS2_EEvlllT_PT11_llSA_llS8_PT12_llPT13_lli
	.p2align	8
	.type	_ZN12_GLOBAL__N_127rocblas_gemm_batched_kernelI19rocblas_complex_numIfELi16ELi16ELi64ELi64ELi4ELi64ELi4ELi4ELi64ELc67ELc67EKPKS2_S5_KPS2_EEvlllT_PT11_llSA_llS8_PT12_llPT13_lli,@function
_ZN12_GLOBAL__N_127rocblas_gemm_batched_kernelI19rocblas_complex_numIfELi16ELi16ELi64ELi64ELi4ELi64ELi4ELi4ELi64ELc67ELc67EKPKS2_S5_KPS2_EEvlllT_PT11_llSA_llS8_PT12_llPT13_lli: ; @_ZN12_GLOBAL__N_127rocblas_gemm_batched_kernelI19rocblas_complex_numIfELi16ELi16ELi64ELi64ELi4ELi64ELi4ELi4ELi64ELc67ELc67EKPKS2_S5_KPS2_EEvlllT_PT11_llSA_llS8_PT12_llPT13_lli
; %bb.0:
	s_load_b32 s33, s[0:1], 0x88
	s_bfe_u32 s2, ttmp6, 0x40014
	s_lshr_b32 s3, ttmp7, 16
	s_add_co_i32 s2, s2, 1
	s_bfe_u32 s4, ttmp6, 0x40008
	s_mul_i32 s2, s3, s2
	s_getreg_b32 s12, hwreg(HW_REG_IB_STS2, 6, 4)
	s_add_co_i32 s4, s4, s2
	s_cmp_eq_u32 s12, 0
	s_cselect_b32 s2, s3, s4
	s_mov_b32 s3, 0
	s_wait_kmcnt 0x0
	s_cmp_ge_i32 s2, s33
	s_cbranch_scc1 .LBB227_10
; %bb.1:
	v_bfe_u32 v20, v0, 10, 10
	v_and_b32_e32 v2, 0x3ff, v0
	s_clause 0x1
	s_load_b256 s[4:11], s[0:1], 0x20
	s_load_b128 s[24:27], s[0:1], 0x40
	s_bfe_u32 s14, ttmp6, 0x4000c
	s_bfe_u32 s15, ttmp6, 0x40010
	s_add_co_i32 s14, s14, 1
	s_and_b32 s16, ttmp7, 0xffff
	s_add_co_i32 s15, s15, 1
	v_lshl_add_u32 v3, v20, 4, v2
	v_mov_b32_e32 v21, 0
	s_and_b32 s13, ttmp6, 15
	s_mul_i32 s14, ttmp9, s14
	s_mul_i32 s15, s16, s15
	s_bfe_u32 s17, ttmp6, 0x40004
	s_add_co_i32 s13, s13, s14
	s_add_co_i32 s17, s17, s15
	s_cmp_eq_u32 s12, 0
	v_dual_mov_b32 v5, v21 :: v_dual_lshrrev_b32 v4, 2, v3
	v_and_b32_e32 v8, 63, v3
	s_cselect_b32 s12, s16, s17
	s_cselect_b32 s20, ttmp9, s13
	s_lshl_b32 s36, s12, 6
	s_mov_b32 s37, s3
	s_ashr_i32 s21, s20, 31
	v_add_nc_u64_e32 v[6:7], s[36:37], v[4:5]
	s_lshl_b64 s[38:39], s[20:21], 6
	v_and_b32_e32 v5, 3, v0
	s_clause 0x3
	s_load_b128 s[28:31], s[0:1], 0x78
	s_load_b256 s[12:19], s[0:1], 0x58
	s_load_b64 s[34:35], s[0:1], 0x50
	s_load_b128 s[20:23], s[0:1], 0x10
	s_wait_kmcnt 0x0
	v_mad_nc_u64_u32 v[0:1], s24, v5, v[6:7]
	v_dual_mov_b32 v7, s39 :: v_dual_bitop2_b32 v6, s38, v8 bitop3:0x54
	v_dual_lshlrev_b32 v9, 3, v5 :: v_dual_lshrrev_b32 v10, 6, v3
	v_dual_mov_b32 v3, v21 :: v_dual_lshlrev_b32 v8, 3, v8
	v_lshlrev_b32_e32 v39, 3, v2
	s_delay_alu instid0(VALU_DEP_4) | instskip(NEXT) | instid1(VALU_DEP_4)
	v_mul_u64_e32 v[6:7], s[6:7], v[6:7]
	v_lshl_or_b32 v9, v4, 5, v9
	v_lshl_add_u32 v41, v20, 5, 0x800
	v_mad_u32 v1, s25, v5, v1
	v_add_nc_u64_e32 v[4:5], s[36:37], v[20:21]
	v_add_nc_u64_e32 v[26:27], s[38:39], v[2:3]
	v_lshl_or_b32 v35, v10, 9, v8
	v_add_nc_u32_e32 v37, 0x800, v9
	s_or_b32 s0, s34, s35
	s_delay_alu instid0(VALU_DEP_4)
	v_mul_u64_e32 v[22:23], s[28:29], v[4:5]
	v_mul_u64_e32 v[24:25], s[14:15], v[4:5]
	s_bitset0_b32 s0, 31
	v_lshlrev_b64_e32 v[0:1], 3, v[0:1]
	s_cmp_eq_u32 s0, 0
	v_cmp_gt_i64_e64 s0, s[20:21], 0
	s_cselect_b32 s1, -1, 0
	s_lshl_b64 s[42:43], s[8:9], 3
	s_lshl_b64 s[38:39], s[28:29], 4
	;; [unrolled: 1-line block ×3, first 2 shown]
	v_lshl_add_u64 v[28:29], s[26:27], 3, v[0:1]
	v_lshlrev_b32_e32 v20, 3, v10
	v_cndmask_b32_e64 v0, 0, 1, s0
	s_mov_b32 s6, s23
	s_mov_b32 s7, s22
	v_or_b32_e32 v28, 4, v28
	s_mov_b32 s14, s23
	v_cmp_ne_u32_e64 s0, 1, v0
	s_mov_b32 s15, s35
	s_mov_b32 s28, s22
	;; [unrolled: 1-line block ×3, first 2 shown]
	v_lshl_add_u64 v[2:3], v[6:7], 3, s[42:43]
	s_mov_b32 s36, s34
	s_mov_b32 s37, s34
	;; [unrolled: 1-line block ×4, first 2 shown]
	v_add_nc_u64_e32 v[30:31], v[2:3], v[20:21]
	s_lshl_b64 s[24:25], s[24:25], 5
	s_lshl_b64 s[26:27], s[30:31], 3
	;; [unrolled: 1-line block ×5, first 2 shown]
	s_branch .LBB227_3
.LBB227_2:                              ;   in Loop: Header=BB227_3 Depth=1
	s_add_co_i32 s2, s2, 0x10000
	flat_store_b32 v[2:3], v4 offset:4
	s_cmp_lt_i32 s2, s33
	s_cbranch_scc0 .LBB227_10
.LBB227_3:                              ; =>This Loop Header: Depth=1
                                        ;     Child Loop BB227_5 Depth 2
	s_wait_xcnt 0x1
	v_dual_mov_b32 v0, s2 :: v_dual_mov_b32 v33, 0
	v_dual_mov_b32 v32, 0 :: v_dual_mov_b32 v90, 0
	v_dual_mov_b32 v94, 0 :: v_dual_mov_b32 v86, 0
	s_clause 0x1
	global_load_b64 v[68:69], v0, s[12:13] scale_offset
	global_load_b64 v[92:93], v0, s[18:19] scale_offset
	v_dual_mov_b32 v88, 0 :: v_dual_mov_b32 v82, 0
	v_dual_mov_b32 v84, 0 :: v_dual_mov_b32 v78, 0
	;; [unrolled: 1-line block ×13, first 2 shown]
	v_mov_b32_e32 v34, 0
	s_and_b32 vcc_lo, exec_lo, s0
	s_cbranch_vccnz .LBB227_6
; %bb.4:                                ;   in Loop: Header=BB227_3 Depth=1
	s_lshl_b64 s[40:41], s[2:3], 3
	v_dual_mov_b32 v34, 0 :: v_dual_mov_b32 v20, 0
	s_add_nc_u64 s[42:43], s[4:5], s[40:41]
	s_add_nc_u64 s[40:41], s[10:11], s[40:41]
	s_clause 0x1
	global_load_b64 v[0:1], v21, s[42:43]
	global_load_b64 v[2:3], v21, s[40:41]
	v_dual_mov_b32 v38, 0 :: v_dual_mov_b32 v36, 0
	v_dual_mov_b32 v42, 0 :: v_dual_mov_b32 v40, 0
	;; [unrolled: 1-line block ×15, first 2 shown]
	s_wait_xcnt 0x0
	s_mov_b64 s[40:41], 0
	s_wait_loadcnt 0x1
	v_add_nc_u64_e32 v[96:97], v[0:1], v[30:31]
	s_wait_loadcnt 0x0
	v_add_nc_u64_e32 v[98:99], v[2:3], v[28:29]
.LBB227_5:                              ;   Parent Loop BB227_3 Depth=1
                                        ; =>  This Inner Loop Header: Depth=2
	flat_load_b64 v[0:1], v[96:97]
	s_add_nc_u64 s[40:41], s[40:41], 4
	s_wait_xcnt 0x0
	v_add_nc_u64_e32 v[96:97], 32, v[96:97]
	v_cmp_lt_i64_e64 s42, s[40:41], s[20:21]
	s_and_b32 vcc_lo, exec_lo, s42
	s_wait_loadcnt_dscnt 0x0
	v_xor_b32_e32 v1, 0x80000000, v1
	ds_store_b64 v35, v[0:1]
	flat_load_b64 v[0:1], v[98:99] offset:-4
	s_wait_xcnt 0x0
	v_add_nc_u64_e32 v[98:99], s[24:25], v[98:99]
	s_wait_loadcnt_dscnt 0x0
	v_xor_b32_e32 v1, 0x80000000, v1
	ds_store_b64 v37, v[0:1]
	s_wait_dscnt 0x0
	s_barrier_signal -1
	s_barrier_wait -1
	ds_load_2addr_b64 v[0:3], v39 offset1:16
	ds_load_b128 v[8:11], v41
	ds_load_2addr_b64 v[4:7], v39 offset0:32 offset1:48
	ds_load_2addr_b64 v[12:15], v39 offset0:64 offset1:80
	;; [unrolled: 1-line block ×3, first 2 shown]
	ds_load_b128 v[100:103], v41 offset:16
	ds_load_2addr_b64 v[104:107], v39 offset0:128 offset1:144
	ds_load_2addr_b64 v[108:111], v39 offset0:160 offset1:176
	;; [unrolled: 1-line block ×4, first 2 shown]
	ds_load_b128 v[120:123], v41 offset:512
	ds_load_b128 v[124:127], v41 offset:528
	;; [unrolled: 1-line block ×6, first 2 shown]
	s_wait_dscnt 0x0
	s_barrier_signal -1
	s_barrier_wait -1
	v_dual_mul_f32 v43, v9, v1 :: v_dual_mul_f32 v45, v8, v1
	v_dual_mul_f32 v47, v9, v3 :: v_dual_mul_f32 v49, v8, v3
	;; [unrolled: 1-line block ×27, first 2 shown]
	v_dual_fma_f32 v43, v8, v0, -v43 :: v_dual_fmac_f32 v45, v9, v0
	v_dual_fma_f32 v47, v8, v2, -v47 :: v_dual_fmac_f32 v49, v9, v2
	;; [unrolled: 1-line block ×6, first 2 shown]
	v_dual_fma_f32 v67, v10, v16, -v67 :: v_dual_fma_f32 v73, v10, v18, -v73
	v_dual_fmac_f32 v71, v11, v16 :: v_dual_mul_f32 v171, v138, v13
	v_dual_fmac_f32 v75, v11, v18 :: v_dual_fma_f32 v77, v120, v0, -v77
	v_pk_mul_f32 v[8:9], v[136:137], v[6:7] op_sel:[1,1] op_sel_hi:[0,1]
	v_dual_mul_f32 v5, v139, v13 :: v_dual_fmac_f32 v79, v121, v0
	v_dual_mov_b32 v10, v139 :: v_dual_mov_b32 v11, v138
	v_dual_fma_f32 v81, v120, v2, -v81 :: v_dual_fmac_f32 v83, v121, v2
	v_dual_fma_f32 v85, v120, v4, -v85 :: v_dual_fmac_f32 v87, v121, v4
	;; [unrolled: 1-line block ×16, first 2 shown]
	v_dual_fma_f32 v159, v136, v2, -v1 :: v_dual_mul_f32 v161, v101, v107
	v_dual_fmac_f32 v169, v137, v2 :: v_dual_mul_f32 v163, v100, v107
	v_dual_fma_f32 v165, v136, v4, -v3 :: v_dual_fmac_f32 v170, v137, v4
	v_pk_fma_f32 v[0:1], v[136:137], v[6:7], v[8:9] neg_lo:[0,0,1] neg_hi:[0,0,1]
	v_pk_fma_f32 v[2:3], v[136:137], v[6:7], v[8:9] op_sel_hi:[1,0,1]
	v_dual_fma_f32 v137, v138, v12, -v5 :: v_dual_fmac_f32 v171, v139, v12
	v_pk_mul_f32 v[4:5], v[10:11], v[18:19] op_sel:[0,1]
	v_dual_mul_f32 v13, v139, v15 :: v_dual_mul_f32 v123, v138, v15
	v_dual_mul_f32 v15, v139, v17 :: v_dual_mul_f32 v17, v138, v17
	s_delay_alu instid0(VALU_DEP_3)
	v_pk_fma_f32 v[6:7], v[138:139], v[18:19], v[4:5] neg_lo:[0,0,1] neg_hi:[0,0,1]
	v_pk_fma_f32 v[4:5], v[138:139], v[18:19], v[4:5] op_sel_hi:[1,0,1]
	v_dual_mul_f32 v131, v101, v105 :: v_dual_mul_f32 v155, v100, v105
	v_dual_mul_f32 v1, v101, v109 :: v_dual_mul_f32 v2, v100, v109
	;; [unrolled: 1-line block ×4, first 2 shown]
	v_dual_mul_f32 v136, v100, v111 :: v_dual_fma_f32 v167, v138, v14, -v13
	v_fmac_f32_e32 v123, v139, v14
	v_dual_mul_f32 v9, v103, v113 :: v_dual_mul_f32 v172, v102, v113
	v_dual_fma_f32 v173, v138, v16, -v15 :: v_dual_fmac_f32 v17, v139, v16
	v_mul_f32_e32 v16, v102, v115
	v_dual_mul_f32 v10, v103, v119 :: v_dual_mul_f32 v19, v102, v119
	v_dual_fma_f32 v131, v100, v104, -v131 :: v_dual_fma_f32 v139, v100, v106, -v161
	v_dual_fmac_f32 v163, v101, v106 :: v_dual_fma_f32 v161, v100, v108, -v1
	v_dual_fma_f32 v4, v102, v114, -v4 :: v_dual_fma_f32 v174, v102, v116, -v7
	v_dual_mul_f32 v1, v125, v107 :: v_dual_mul_f32 v7, v125, v109
	v_mul_f32_e32 v175, v124, v109
	v_dual_mul_f32 v11, v125, v105 :: v_dual_mul_f32 v138, v124, v105
	v_dual_fmac_f32 v155, v101, v104 :: v_dual_fma_f32 v100, v100, v110, -v8
	v_dual_fmac_f32 v2, v101, v108 :: v_dual_fmac_f32 v136, v101, v110
	v_dual_fma_f32 v101, v102, v112, -v9 :: v_dual_fmac_f32 v172, v103, v112
	v_dual_fmac_f32 v16, v103, v114 :: v_dual_fmac_f32 v18, v103, v116
	v_dual_fma_f32 v102, v102, v118, -v10 :: v_dual_fmac_f32 v19, v103, v118
	v_dual_mul_f32 v103, v124, v107 :: v_dual_fma_f32 v177, v124, v106, -v1
	v_dual_fma_f32 v178, v124, v108, -v7 :: v_dual_mul_f32 v1, v125, v111
	v_dual_fma_f32 v176, v124, v104, -v11 :: v_dual_fmac_f32 v138, v125, v104
	v_fmac_f32_e32 v175, v125, v108
	s_delay_alu instid0(VALU_DEP_4) | instskip(NEXT) | instid1(VALU_DEP_4)
	v_fmac_f32_e32 v103, v125, v106
	v_dual_fma_f32 v179, v124, v110, -v1 :: v_dual_mul_f32 v124, v124, v111
	v_dual_mul_f32 v1, v127, v113 :: v_dual_mul_f32 v180, v126, v113
	v_dual_mul_f32 v182, v126, v115 :: v_dual_mul_f32 v184, v126, v117
	s_delay_alu instid0(VALU_DEP_2) | instskip(NEXT) | instid1(VALU_DEP_3)
	v_dual_fmac_f32 v124, v125, v110 :: v_dual_fma_f32 v125, v126, v112, -v1
	v_dual_mul_f32 v1, v127, v115 :: v_dual_fmac_f32 v180, v127, v112
	v_dual_mul_f32 v186, v132, v105 :: v_dual_mul_f32 v188, v132, v107
	s_delay_alu instid0(VALU_DEP_2) | instskip(SKIP_3) | instid1(VALU_DEP_3)
	v_dual_mul_f32 v190, v132, v109 :: v_dual_fma_f32 v181, v126, v114, -v1
	v_dual_mul_f32 v1, v127, v117 :: v_dual_fmac_f32 v182, v127, v114
	v_dual_mul_f32 v192, v134, v113 :: v_dual_mul_f32 v194, v134, v115
	v_mul_f32_e32 v196, v134, v117
	v_dual_fma_f32 v183, v126, v116, -v1 :: v_dual_mul_f32 v1, v127, v119
	v_fmac_f32_e32 v184, v127, v116
	v_pk_mul_f32 v[8:9], v[140:141], v[110:111] op_sel:[1,1] op_sel_hi:[0,1]
	v_dual_mov_b32 v12, v143 :: v_dual_mov_b32 v13, v142
	s_delay_alu instid0(VALU_DEP_4) | instskip(SKIP_1) | instid1(VALU_DEP_4)
	v_dual_fma_f32 v185, v126, v118, -v1 :: v_dual_mul_f32 v126, v126, v119
	v_mul_f32_e32 v1, v133, v105
	v_pk_fma_f32 v[10:11], v[140:141], v[110:111], v[8:9] neg_lo:[0,0,1] neg_hi:[0,0,1]
	v_pk_fma_f32 v[8:9], v[140:141], v[110:111], v[8:9] op_sel_hi:[1,0,1]
	v_pk_mul_f32 v[12:13], v[12:13], v[118:119] op_sel:[0,1]
	s_delay_alu instid0(VALU_DEP_4) | instskip(SKIP_2) | instid1(VALU_DEP_4)
	v_dual_fmac_f32 v126, v127, v118 :: v_dual_fma_f32 v127, v132, v104, -v1
	v_dual_mul_f32 v1, v133, v107 :: v_dual_fmac_f32 v186, v133, v104
	v_add_f32_e32 v42, v42, v168
	v_pk_fma_f32 v[14:15], v[142:143], v[118:119], v[12:13] neg_lo:[0,0,1] neg_hi:[0,0,1]
	v_pk_fma_f32 v[12:13], v[142:143], v[118:119], v[12:13] op_sel_hi:[1,0,1]
	s_delay_alu instid0(VALU_DEP_4) | instskip(SKIP_2) | instid1(VALU_DEP_3)
	v_dual_fma_f32 v187, v132, v106, -v1 :: v_dual_mul_f32 v1, v133, v109
	v_dual_fmac_f32 v188, v133, v106 :: v_dual_add_f32 v12, v90, v43
	v_dual_add_f32 v43, v94, v45 :: v_dual_add_f32 v72, v72, v83
	v_dual_fma_f32 v189, v132, v108, -v1 :: v_dual_mul_f32 v1, v133, v111
	v_dual_fmac_f32 v190, v133, v108 :: v_dual_add_f32 v45, v86, v47
	v_dual_add_f32 v47, v88, v49 :: v_dual_add_f32 v49, v82, v51
	s_delay_alu instid0(VALU_DEP_3) | instskip(SKIP_2) | instid1(VALU_DEP_2)
	v_dual_fma_f32 v191, v132, v110, -v1 :: v_dual_mul_f32 v132, v132, v111
	v_dual_mul_f32 v1, v135, v113 :: v_dual_mul_f32 v111, v142, v115
	v_dual_add_f32 v51, v84, v53 :: v_dual_add_f32 v53, v78, v55
	v_dual_fmac_f32 v132, v133, v110 :: v_dual_fma_f32 v133, v134, v112, -v1
	v_dual_mul_f32 v1, v135, v115 :: v_dual_fmac_f32 v192, v135, v112
	v_add_f32_e32 v55, v80, v57
	v_dual_add_f32 v57, v76, v77 :: v_dual_add_f32 v74, v74, v79
	s_delay_alu instid0(VALU_DEP_3) | instskip(SKIP_3) | instid1(VALU_DEP_3)
	v_dual_add_f32 v64, v64, v85 :: v_dual_fma_f32 v193, v134, v114, -v1
	v_dual_mul_f32 v1, v135, v117 :: v_dual_fmac_f32 v194, v135, v114
	v_dual_add_f32 v70, v70, v81 :: v_dual_add_f32 v52, v52, v147
	v_dual_add_f32 v66, v66, v87 :: v_dual_add_f32 v60, v60, v89
	v_dual_fma_f32 v195, v134, v116, -v1 :: v_dual_mul_f32 v1, v135, v119
	v_dual_fmac_f32 v196, v135, v116 :: v_dual_add_f32 v62, v62, v91
	v_dual_add_f32 v56, v56, v145 :: v_dual_add_f32 v58, v58, v152
	s_delay_alu instid0(VALU_DEP_3) | instskip(SKIP_2) | instid1(VALU_DEP_2)
	v_dual_add_f32 v48, v48, v149 :: v_dual_fma_f32 v197, v134, v118, -v1
	v_dual_mul_f32 v134, v134, v119 :: v_dual_mul_f32 v1, v141, v105
	v_dual_mul_f32 v105, v140, v105 :: v_dual_add_f32 v54, v54, v154
	v_dual_add_f32 v44, v44, v128 :: v_dual_fmac_f32 v134, v135, v118
	s_delay_alu instid0(VALU_DEP_3) | instskip(NEXT) | instid1(VALU_DEP_3)
	v_dual_fma_f32 v135, v140, v104, -v1 :: v_dual_mul_f32 v1, v141, v107
	v_dual_fmac_f32 v105, v141, v104 :: v_dual_mul_f32 v107, v140, v107
	v_dual_add_f32 v50, v50, v156 :: v_dual_add_f32 v40, v40, v157
	s_delay_alu instid0(VALU_DEP_3) | instskip(NEXT) | instid1(VALU_DEP_3)
	v_dual_fma_f32 v104, v140, v106, -v1 :: v_dual_mul_f32 v1, v141, v109
	v_dual_mul_f32 v109, v140, v109 :: v_dual_fmac_f32 v107, v141, v106
	v_dual_add_f32 v46, v46, v158 :: v_dual_add_f32 v36, v36, v159
	s_delay_alu instid0(VALU_DEP_3) | instskip(NEXT) | instid1(VALU_DEP_3)
	v_dual_fma_f32 v106, v140, v108, -v1 :: v_dual_mul_f32 v1, v143, v113
	v_dual_fmac_f32 v109, v141, v108 :: v_dual_mul_f32 v108, v142, v113
	v_mul_f32_e32 v113, v142, v117
	v_dual_add_f32 v20, v20, v165 :: v_dual_add_f32 v34, v34, v170
	s_delay_alu instid0(VALU_DEP_3) | instskip(NEXT) | instid1(VALU_DEP_3)
	v_dual_fma_f32 v8, v142, v112, -v1 :: v_dual_fmac_f32 v108, v143, v112
	v_dual_mul_f32 v1, v143, v115 :: v_dual_fmac_f32 v113, v143, v116
	v_dual_mov_b32 v7, v5 :: v_dual_mov_b32 v15, v13
	s_delay_alu instid0(VALU_DEP_2) | instskip(SKIP_3) | instid1(VALU_DEP_3)
	v_dual_mov_b32 v11, v9 :: v_dual_fma_f32 v110, v142, v114, -v1
	v_dual_fmac_f32 v111, v143, v114 :: v_dual_mul_f32 v1, v143, v117
	v_dual_add_f32 v5, v12, v59 :: v_dual_add_f32 v9, v43, v61
	v_dual_add_f32 v12, v45, v63 :: v_dual_add_f32 v13, v47, v65
	v_dual_fma_f32 v112, v142, v116, -v1 :: v_dual_mov_b32 v1, v3
	v_add_f32_e32 v3, v38, v169
	v_dual_add_f32 v38, v53, v73 :: v_dual_add_f32 v43, v55, v75
	v_add_f32_e32 v45, v57, v95
	s_delay_alu instid0(VALU_DEP_4)
	v_pk_add_f32 v[0:1], v[32:33], v[0:1]
	v_dual_add_f32 v32, v49, v67 :: v_dual_add_f32 v47, v74, v144
	v_dual_add_f32 v33, v51, v71 :: v_dual_add_f32 v49, v70, v120
	v_add_f32_e32 v51, v72, v146
	v_dual_add_f32 v53, v64, v121 :: v_dual_add_f32 v55, v66, v148
	v_dual_add_f32 v57, v60, v122 :: v_dual_add_f32 v58, v58, v160
	v_dual_add_f32 v59, v62, v150 :: v_dual_add_f32 v56, v56, v129
	v_dual_add_f32 v52, v52, v151 :: v_dual_add_f32 v54, v54, v162
	v_dual_add_f32 v48, v48, v153 :: v_dual_add_f32 v50, v50, v164
	v_dual_add_f32 v44, v44, v130 :: v_dual_add_f32 v42, v42, v171
	v_dual_add_f32 v46, v46, v166 :: v_dual_add_f32 v40, v40, v137
	v_dual_add_f32 v36, v36, v167 :: v_dual_add_f32 v17, v34, v17
	v_dual_add_f32 v3, v3, v123 :: v_dual_add_f32 v20, v20, v173
	v_pk_add_f32 v[0:1], v[0:1], v[6:7]
	v_add_f32_e32 v5, v5, v131
	v_add_f32_e32 v6, v9, v155
	v_dual_add_f32 v7, v12, v139 :: v_dual_add_f32 v2, v33, v2
	v_dual_add_f32 v9, v13, v163 :: v_dual_add_f32 v12, v32, v161
	v_add_f32_e32 v13, v38, v100
	v_add_f32_e32 v32, v43, v136
	v_dual_add_f32 v33, v45, v176 :: v_dual_add_f32 v34, v47, v138
	v_dual_add_f32 v38, v49, v177 :: v_dual_add_f32 v43, v51, v103
	;; [unrolled: 1-line block ×11, first 2 shown]
	v_pk_add_f32 v[0:1], v[0:1], v[10:11]
	v_dual_add_f32 v90, v5, v101 :: v_dual_add_f32 v94, v6, v172
	v_dual_add_f32 v86, v7, v4 :: v_dual_add_f32 v82, v12, v174
	;; [unrolled: 1-line block ×15, first 2 shown]
	v_pk_add_f32 v[32:33], v[0:1], v[14:15]
	s_cbranch_vccnz .LBB227_5
.LBB227_6:                              ;   in Loop: Header=BB227_3 Depth=1
	s_wait_loadcnt 0x0
	s_wait_xcnt 0x0
	v_add_nc_u64_e32 v[0:1], s[26:27], v[92:93]
	s_and_not1_b32 vcc_lo, exec_lo, s1
	s_mov_b32 s40, -1
                                        ; implicit-def: $vgpr4
                                        ; implicit-def: $vgpr2_vgpr3
	s_cbranch_vccz .LBB227_8
; %bb.7:                                ;   in Loop: Header=BB227_3 Depth=1
	s_and_not1_b32 vcc_lo, exec_lo, s40
	s_cbranch_vccnz .LBB227_2
	s_branch .LBB227_9
.LBB227_8:                              ;   in Loop: Header=BB227_3 Depth=1
	v_mov_b64_e32 v[2:3], s[6:7]
	v_mov_b64_e32 v[8:9], s[22:23]
	v_lshlrev_b64_e32 v[4:5], 3, v[26:27]
	v_lshl_add_u64 v[6:7], v[22:23], 3, v[0:1]
	s_delay_alu instid0(VALU_DEP_4)
	v_pk_mul_f32 v[10:11], v[94:95], v[2:3] op_sel_hi:[0,1]
	v_pk_mul_f32 v[12:13], v[88:89], v[2:3] op_sel_hi:[0,1]
	;; [unrolled: 1-line block ×4, first 2 shown]
	v_add_nc_u64_e32 v[18:19], v[6:7], v[4:5]
	v_pk_fma_f32 v[92:93], v[90:91], v[8:9], v[10:11] neg_lo:[0,0,1] neg_hi:[0,0,1]
	v_pk_fma_f32 v[10:11], v[90:91], v[8:9], v[10:11] op_sel_hi:[0,1,1]
	v_pk_fma_f32 v[96:97], v[86:87], v[8:9], v[12:13] op_sel_hi:[0,1,1]
	;; [unrolled: 1-line block ×4, first 2 shown]
	v_pk_fma_f32 v[12:13], v[86:87], v[8:9], v[12:13] neg_lo:[0,0,1] neg_hi:[0,0,1]
	s_delay_alu instid0(VALU_DEP_4)
	v_dual_mov_b32 v93, v11 :: v_dual_mov_b32 v13, v97
	v_pk_fma_f32 v[10:11], v[82:83], v[8:9], v[14:15] neg_lo:[0,0,1] neg_hi:[0,0,1]
	v_mov_b32_e32 v11, v99
	v_pk_fma_f32 v[14:15], v[78:79], v[8:9], v[16:17] neg_lo:[0,0,1] neg_hi:[0,0,1]
	v_mov_b32_e32 v15, v101
	v_pk_mul_f32 v[16:17], v[74:75], v[2:3] op_sel_hi:[0,1]
	s_clause 0x3
	flat_store_b64 v[18:19], v[92:93]
	flat_store_b64 v[18:19], v[12:13] offset:128
	flat_store_b64 v[18:19], v[10:11] offset:256
	;; [unrolled: 1-line block ×3, first 2 shown]
	s_wait_xcnt 0x1
	v_pk_mul_f32 v[10:11], v[72:73], v[2:3] op_sel_hi:[0,1]
	s_wait_xcnt 0x0
	v_pk_mul_f32 v[18:19], v[66:67], v[2:3] op_sel_hi:[0,1]
	v_add_nc_u64_e32 v[6:7], s[38:39], v[6:7]
	v_pk_fma_f32 v[14:15], v[76:77], v[8:9], v[16:17] op_sel_hi:[0,1,1]
	v_pk_mul_f32 v[96:97], v[62:63], v[2:3] op_sel_hi:[0,1]
	v_pk_fma_f32 v[92:93], v[70:71], v[8:9], v[10:11] op_sel_hi:[0,1,1]
	v_pk_fma_f32 v[16:17], v[76:77], v[8:9], v[16:17] neg_lo:[0,0,1] neg_hi:[0,0,1]
	v_pk_fma_f32 v[10:11], v[70:71], v[8:9], v[10:11] neg_lo:[0,0,1] neg_hi:[0,0,1]
	v_mov_b32_e32 v17, v15
	v_pk_fma_f32 v[14:15], v[64:65], v[8:9], v[18:19] op_sel_hi:[0,1,1]
	v_mov_b32_e32 v11, v93
	v_pk_fma_f32 v[92:93], v[60:61], v[8:9], v[96:97] op_sel_hi:[0,1,1]
	v_add_nc_u64_e32 v[12:13], v[6:7], v[4:5]
	v_pk_fma_f32 v[18:19], v[64:65], v[8:9], v[18:19] neg_lo:[0,0,1] neg_hi:[0,0,1]
	v_mov_b32_e32 v19, v15
	v_pk_fma_f32 v[14:15], v[60:61], v[8:9], v[96:97] neg_lo:[0,0,1] neg_hi:[0,0,1]
	v_mov_b32_e32 v15, v93
	v_pk_mul_f32 v[92:93], v[58:59], v[2:3] op_sel_hi:[0,1]
	v_add_nc_u64_e32 v[6:7], s[38:39], v[6:7]
	s_clause 0x3
	flat_store_b64 v[12:13], v[16:17]
	flat_store_b64 v[12:13], v[10:11] offset:128
	flat_store_b64 v[12:13], v[18:19] offset:256
	flat_store_b64 v[12:13], v[14:15] offset:384
	s_wait_xcnt 0x0
	v_pk_mul_f32 v[12:13], v[54:55], v[2:3] op_sel_hi:[0,1]
	v_pk_mul_f32 v[16:17], v[50:51], v[2:3] op_sel_hi:[0,1]
	v_pk_fma_f32 v[14:15], v[56:57], v[8:9], v[92:93] op_sel_hi:[0,1,1]
	v_pk_fma_f32 v[18:19], v[56:57], v[8:9], v[92:93] neg_lo:[0,0,1] neg_hi:[0,0,1]
	v_pk_mul_f32 v[92:93], v[46:47], v[2:3] op_sel_hi:[0,1]
	v_pk_fma_f32 v[96:97], v[52:53], v[8:9], v[12:13] op_sel_hi:[0,1,1]
	v_add_nc_u64_e32 v[10:11], v[6:7], v[4:5]
	v_mov_b32_e32 v19, v15
	v_pk_fma_f32 v[14:15], v[48:49], v[8:9], v[16:17] op_sel_hi:[0,1,1]
	v_pk_fma_f32 v[98:99], v[44:45], v[8:9], v[92:93] op_sel_hi:[0,1,1]
	v_pk_fma_f32 v[12:13], v[52:53], v[8:9], v[12:13] neg_lo:[0,0,1] neg_hi:[0,0,1]
	v_mov_b32_e32 v13, v97
	v_pk_fma_f32 v[16:17], v[48:49], v[8:9], v[16:17] neg_lo:[0,0,1] neg_hi:[0,0,1]
	v_mov_b32_e32 v17, v15
	;; [unrolled: 2-line block ×3, first 2 shown]
	v_add_nc_u64_e32 v[6:7], s[38:39], v[6:7]
	v_pk_mul_f32 v[92:93], v[42:43], v[2:3] op_sel_hi:[0,1]
	s_clause 0x3
	flat_store_b64 v[10:11], v[18:19]
	flat_store_b64 v[10:11], v[12:13] offset:128
	flat_store_b64 v[10:11], v[16:17] offset:256
	;; [unrolled: 1-line block ×3, first 2 shown]
	s_wait_xcnt 0x0
	v_pk_mul_f32 v[10:11], v[38:39], v[2:3] op_sel_hi:[0,1]
	v_pk_fma_f32 v[12:13], v[40:41], v[8:9], v[92:93] op_sel_hi:[0,1,1]
	v_add_nc_u64_e32 v[6:7], v[6:7], v[4:5]
	v_pk_mul_f32 v[4:5], v[34:35], v[2:3] op_sel_hi:[0,1]
	s_delay_alu instid0(VALU_DEP_4)
	v_pk_fma_f32 v[16:17], v[36:37], v[8:9], v[10:11] op_sel_hi:[0,1,1]
	v_pk_fma_f32 v[14:15], v[40:41], v[8:9], v[92:93] neg_lo:[0,0,1] neg_hi:[0,0,1]
	v_pk_fma_f32 v[10:11], v[36:37], v[8:9], v[10:11] neg_lo:[0,0,1] neg_hi:[0,0,1]
	v_mov_b32_e32 v15, v13
	v_pk_fma_f32 v[12:13], v[20:21], v[8:9], v[4:5] op_sel_hi:[0,1,1]
	v_mov_b32_e32 v11, v17
	v_pk_mul_f32 v[16:17], v[32:33], v[2:3]
	v_mul_f32_e32 v12, s22, v32
	v_add_nc_u64_e32 v[2:3], 0x180, v[6:7]
	v_pk_fma_f32 v[8:9], v[20:21], v[8:9], v[4:5] neg_lo:[0,0,1] neg_hi:[0,0,1]
	s_delay_alu instid0(VALU_DEP_4) | instskip(NEXT) | instid1(VALU_DEP_4)
	v_dual_mov_b32 v9, v13 :: v_dual_add_f32 v4, v16, v17
	v_fma_f32 v5, -v33, s6, v12
	s_clause 0x3
	flat_store_b64 v[6:7], v[14:15]
	flat_store_b64 v[6:7], v[10:11] offset:128
	flat_store_b64 v[6:7], v[8:9] offset:256
	flat_store_b32 v[6:7], v5 offset:384
	s_cbranch_execnz .LBB227_2
.LBB227_9:                              ;   in Loop: Header=BB227_3 Depth=1
	v_add_nc_u64_e32 v[2:3], s[16:17], v[68:69]
	s_wait_xcnt 0x0
	v_lshlrev_b64_e32 v[4:5], 3, v[26:27]
	v_mov_b64_e32 v[10:11], s[6:7]
	v_mov_b64_e32 v[12:13], s[8:9]
	;; [unrolled: 1-line block ×4, first 2 shown]
	v_lshl_add_u64 v[0:1], v[22:23], 3, v[0:1]
	v_lshl_add_u64 v[2:3], v[24:25], 3, v[2:3]
	v_pk_mul_f32 v[16:17], v[94:95], v[10:11] op_sel_hi:[0,1]
	s_delay_alu instid0(VALU_DEP_2) | instskip(SKIP_1) | instid1(VALU_DEP_3)
	v_add_nc_u64_e32 v[6:7], v[2:3], v[4:5]
	v_add_nc_u64_e32 v[2:3], s[30:31], v[2:3]
	v_pk_fma_f32 v[92:93], v[90:91], v[14:15], v[16:17] op_sel_hi:[0,1,1]
	v_pk_fma_f32 v[16:17], v[90:91], v[14:15], v[16:17] neg_lo:[0,0,1] neg_hi:[0,0,1]
	flat_load_b64 v[8:9], v[6:7]
	s_wait_loadcnt_dscnt 0x0
	v_pk_mul_f32 v[68:69], v[8:9], v[12:13]
	s_delay_alu instid0(VALU_DEP_1)
	v_pk_fma_f32 v[94:95], v[8:9], v[18:19], v[68:69] op_sel:[0,0,1] op_sel_hi:[1,1,0]
	v_pk_fma_f32 v[8:9], v[8:9], v[18:19], v[68:69] op_sel:[0,0,1] op_sel_hi:[1,1,0] neg_lo:[0,0,1] neg_hi:[0,0,1]
	v_mov_b32_e32 v17, v93
	v_add_nc_u64_e32 v[68:69], v[0:1], v[4:5]
	v_add_nc_u64_e32 v[0:1], s[38:39], v[0:1]
	v_mov_b32_e32 v9, v95
	s_delay_alu instid0(VALU_DEP_1)
	v_pk_add_f32 v[8:9], v[16:17], v[8:9]
	v_pk_mul_f32 v[16:17], v[88:89], v[10:11] op_sel_hi:[0,1]
	flat_store_b64 v[68:69], v[8:9]
	flat_load_b64 v[8:9], v[6:7] offset:128
	v_pk_fma_f32 v[90:91], v[86:87], v[14:15], v[16:17] op_sel_hi:[0,1,1]
	v_pk_fma_f32 v[16:17], v[86:87], v[14:15], v[16:17] neg_lo:[0,0,1] neg_hi:[0,0,1]
	s_wait_loadcnt_dscnt 0x0
	v_pk_mul_f32 v[88:89], v[8:9], v[12:13]
	s_delay_alu instid0(VALU_DEP_1) | instskip(SKIP_1) | instid1(VALU_DEP_2)
	v_pk_fma_f32 v[92:93], v[8:9], v[18:19], v[88:89] op_sel:[0,0,1] op_sel_hi:[1,1,0]
	v_pk_fma_f32 v[8:9], v[8:9], v[18:19], v[88:89] op_sel:[0,0,1] op_sel_hi:[1,1,0] neg_lo:[0,0,1] neg_hi:[0,0,1]
	v_dual_mov_b32 v17, v91 :: v_dual_mov_b32 v9, v93
	s_delay_alu instid0(VALU_DEP_1)
	v_pk_add_f32 v[8:9], v[16:17], v[8:9]
	v_pk_mul_f32 v[16:17], v[84:85], v[10:11] op_sel_hi:[0,1]
	flat_store_b64 v[68:69], v[8:9] offset:128
	flat_load_b64 v[8:9], v[6:7] offset:256
	v_pk_fma_f32 v[86:87], v[82:83], v[14:15], v[16:17] op_sel_hi:[0,1,1]
	v_pk_fma_f32 v[16:17], v[82:83], v[14:15], v[16:17] neg_lo:[0,0,1] neg_hi:[0,0,1]
	s_wait_loadcnt_dscnt 0x0
	v_pk_mul_f32 v[84:85], v[8:9], v[12:13]
	s_delay_alu instid0(VALU_DEP_1) | instskip(SKIP_1) | instid1(VALU_DEP_2)
	v_pk_fma_f32 v[88:89], v[8:9], v[18:19], v[84:85] op_sel:[0,0,1] op_sel_hi:[1,1,0]
	v_pk_fma_f32 v[8:9], v[8:9], v[18:19], v[84:85] op_sel:[0,0,1] op_sel_hi:[1,1,0] neg_lo:[0,0,1] neg_hi:[0,0,1]
	v_dual_mov_b32 v17, v87 :: v_dual_mov_b32 v9, v89
	s_delay_alu instid0(VALU_DEP_1) | instskip(SKIP_4) | instid1(VALU_DEP_1)
	v_pk_add_f32 v[8:9], v[16:17], v[8:9]
	flat_store_b64 v[68:69], v[8:9] offset:256
	flat_load_b64 v[6:7], v[6:7] offset:384
	s_wait_xcnt 0x1
	v_pk_mul_f32 v[8:9], v[80:81], v[10:11] op_sel_hi:[0,1]
	v_pk_fma_f32 v[80:81], v[78:79], v[14:15], v[8:9] op_sel_hi:[0,1,1]
	v_pk_fma_f32 v[8:9], v[78:79], v[14:15], v[8:9] neg_lo:[0,0,1] neg_hi:[0,0,1]
	s_wait_loadcnt_dscnt 0x0
	v_pk_mul_f32 v[16:17], v[6:7], v[12:13]
	s_delay_alu instid0(VALU_DEP_1)
	v_pk_fma_f32 v[82:83], v[6:7], v[18:19], v[16:17] op_sel:[0,0,1] op_sel_hi:[1,1,0]
	s_wait_xcnt 0x0
	v_pk_fma_f32 v[6:7], v[6:7], v[18:19], v[16:17] op_sel:[0,0,1] op_sel_hi:[1,1,0] neg_lo:[0,0,1] neg_hi:[0,0,1]
	v_mov_b32_e32 v9, v81
	v_add_nc_u64_e32 v[16:17], v[2:3], v[4:5]
	v_add_nc_u64_e32 v[2:3], s[30:31], v[2:3]
	v_mov_b32_e32 v7, v83
	s_delay_alu instid0(VALU_DEP_1)
	v_pk_add_f32 v[6:7], v[8:9], v[6:7]
	v_pk_mul_f32 v[8:9], v[74:75], v[10:11] op_sel_hi:[0,1]
	flat_store_b64 v[68:69], v[6:7] offset:384
	flat_load_b64 v[6:7], v[16:17]
	v_pk_fma_f32 v[74:75], v[76:77], v[14:15], v[8:9] op_sel_hi:[0,1,1]
	v_pk_fma_f32 v[8:9], v[76:77], v[14:15], v[8:9] neg_lo:[0,0,1] neg_hi:[0,0,1]
	s_wait_loadcnt_dscnt 0x0
	v_pk_mul_f32 v[68:69], v[6:7], v[12:13]
	s_delay_alu instid0(VALU_DEP_1)
	v_pk_fma_f32 v[78:79], v[6:7], v[18:19], v[68:69] op_sel:[0,0,1] op_sel_hi:[1,1,0]
	v_pk_fma_f32 v[6:7], v[6:7], v[18:19], v[68:69] op_sel:[0,0,1] op_sel_hi:[1,1,0] neg_lo:[0,0,1] neg_hi:[0,0,1]
	v_mov_b32_e32 v9, v75
	v_add_nc_u64_e32 v[68:69], v[0:1], v[4:5]
	v_add_nc_u64_e32 v[0:1], s[38:39], v[0:1]
	v_mov_b32_e32 v7, v79
	s_delay_alu instid0(VALU_DEP_1)
	v_pk_add_f32 v[6:7], v[8:9], v[6:7]
	v_pk_mul_f32 v[8:9], v[72:73], v[10:11] op_sel_hi:[0,1]
	flat_store_b64 v[68:69], v[6:7]
	flat_load_b64 v[6:7], v[16:17] offset:128
	v_pk_fma_f32 v[74:75], v[70:71], v[14:15], v[8:9] op_sel_hi:[0,1,1]
	v_pk_fma_f32 v[8:9], v[70:71], v[14:15], v[8:9] neg_lo:[0,0,1] neg_hi:[0,0,1]
	s_wait_loadcnt_dscnt 0x0
	v_pk_mul_f32 v[72:73], v[6:7], v[12:13]
	s_delay_alu instid0(VALU_DEP_1) | instskip(SKIP_1) | instid1(VALU_DEP_2)
	v_pk_fma_f32 v[76:77], v[6:7], v[18:19], v[72:73] op_sel:[0,0,1] op_sel_hi:[1,1,0]
	v_pk_fma_f32 v[6:7], v[6:7], v[18:19], v[72:73] op_sel:[0,0,1] op_sel_hi:[1,1,0] neg_lo:[0,0,1] neg_hi:[0,0,1]
	v_dual_mov_b32 v9, v75 :: v_dual_mov_b32 v7, v77
	s_delay_alu instid0(VALU_DEP_1)
	v_pk_add_f32 v[6:7], v[8:9], v[6:7]
	v_pk_mul_f32 v[8:9], v[66:67], v[10:11] op_sel_hi:[0,1]
	flat_store_b64 v[68:69], v[6:7] offset:128
	flat_load_b64 v[6:7], v[16:17] offset:256
	v_pk_fma_f32 v[70:71], v[64:65], v[14:15], v[8:9] op_sel_hi:[0,1,1]
	v_pk_fma_f32 v[8:9], v[64:65], v[14:15], v[8:9] neg_lo:[0,0,1] neg_hi:[0,0,1]
	s_wait_loadcnt_dscnt 0x0
	v_pk_mul_f32 v[66:67], v[6:7], v[12:13]
	s_delay_alu instid0(VALU_DEP_1) | instskip(SKIP_1) | instid1(VALU_DEP_2)
	v_pk_fma_f32 v[72:73], v[6:7], v[18:19], v[66:67] op_sel:[0,0,1] op_sel_hi:[1,1,0]
	v_pk_fma_f32 v[6:7], v[6:7], v[18:19], v[66:67] op_sel:[0,0,1] op_sel_hi:[1,1,0] neg_lo:[0,0,1] neg_hi:[0,0,1]
	v_dual_mov_b32 v9, v71 :: v_dual_mov_b32 v7, v73
	s_delay_alu instid0(VALU_DEP_1)
	v_pk_add_f32 v[6:7], v[8:9], v[6:7]
	v_pk_mul_f32 v[8:9], v[62:63], v[10:11] op_sel_hi:[0,1]
	flat_store_b64 v[68:69], v[6:7] offset:256
	flat_load_b64 v[6:7], v[16:17] offset:384
	v_pk_fma_f32 v[62:63], v[60:61], v[14:15], v[8:9] op_sel_hi:[0,1,1]
	v_pk_fma_f32 v[8:9], v[60:61], v[14:15], v[8:9] neg_lo:[0,0,1] neg_hi:[0,0,1]
	s_wait_loadcnt_dscnt 0x0
	s_wait_xcnt 0x0
	v_pk_mul_f32 v[16:17], v[6:7], v[12:13]
	s_delay_alu instid0(VALU_DEP_1)
	v_pk_fma_f32 v[64:65], v[6:7], v[18:19], v[16:17] op_sel:[0,0,1] op_sel_hi:[1,1,0]
	v_pk_fma_f32 v[6:7], v[6:7], v[18:19], v[16:17] op_sel:[0,0,1] op_sel_hi:[1,1,0] neg_lo:[0,0,1] neg_hi:[0,0,1]
	v_mov_b32_e32 v9, v63
	v_add_nc_u64_e32 v[16:17], v[2:3], v[4:5]
	v_add_nc_u64_e32 v[2:3], s[30:31], v[2:3]
	v_mov_b32_e32 v7, v65
	s_delay_alu instid0(VALU_DEP_1) | instskip(SKIP_1) | instid1(VALU_DEP_4)
	v_pk_add_f32 v[6:7], v[8:9], v[6:7]
	v_pk_mul_f32 v[8:9], v[58:59], v[10:11] op_sel_hi:[0,1]
	v_add_nc_u64_e32 v[2:3], v[2:3], v[4:5]
	flat_store_b64 v[68:69], v[6:7] offset:384
	flat_load_b64 v[6:7], v[16:17]
	v_pk_fma_f32 v[60:61], v[56:57], v[14:15], v[8:9] op_sel_hi:[0,1,1]
	v_pk_fma_f32 v[8:9], v[56:57], v[14:15], v[8:9] neg_lo:[0,0,1] neg_hi:[0,0,1]
	v_add_nc_u64_e32 v[56:57], v[0:1], v[4:5]
	v_add_nc_u64_e32 v[0:1], s[38:39], v[0:1]
	s_delay_alu instid0(VALU_DEP_1) | instskip(SKIP_2) | instid1(VALU_DEP_1)
	v_add_nc_u64_e32 v[0:1], v[0:1], v[4:5]
	s_wait_loadcnt_dscnt 0x0
	v_pk_mul_f32 v[58:59], v[6:7], v[12:13]
	v_pk_fma_f32 v[62:63], v[6:7], v[18:19], v[58:59] op_sel:[0,0,1] op_sel_hi:[1,1,0]
	v_pk_fma_f32 v[6:7], v[6:7], v[18:19], v[58:59] op_sel:[0,0,1] op_sel_hi:[1,1,0] neg_lo:[0,0,1] neg_hi:[0,0,1]
	s_delay_alu instid0(VALU_DEP_2) | instskip(NEXT) | instid1(VALU_DEP_1)
	v_dual_mov_b32 v9, v61 :: v_dual_mov_b32 v7, v63
	v_pk_add_f32 v[6:7], v[8:9], v[6:7]
	v_pk_mul_f32 v[8:9], v[54:55], v[10:11] op_sel_hi:[0,1]
	flat_store_b64 v[56:57], v[6:7]
	flat_load_b64 v[6:7], v[16:17] offset:128
	v_pk_fma_f32 v[58:59], v[52:53], v[14:15], v[8:9] op_sel_hi:[0,1,1]
	v_pk_fma_f32 v[8:9], v[52:53], v[14:15], v[8:9] neg_lo:[0,0,1] neg_hi:[0,0,1]
	s_wait_loadcnt_dscnt 0x0
	v_pk_mul_f32 v[54:55], v[6:7], v[12:13]
	s_delay_alu instid0(VALU_DEP_1) | instskip(SKIP_1) | instid1(VALU_DEP_2)
	v_pk_fma_f32 v[60:61], v[6:7], v[18:19], v[54:55] op_sel:[0,0,1] op_sel_hi:[1,1,0]
	v_pk_fma_f32 v[6:7], v[6:7], v[18:19], v[54:55] op_sel:[0,0,1] op_sel_hi:[1,1,0] neg_lo:[0,0,1] neg_hi:[0,0,1]
	v_dual_mov_b32 v9, v59 :: v_dual_mov_b32 v7, v61
	s_delay_alu instid0(VALU_DEP_1)
	v_pk_add_f32 v[6:7], v[8:9], v[6:7]
	v_pk_mul_f32 v[8:9], v[50:51], v[10:11] op_sel_hi:[0,1]
	flat_store_b64 v[56:57], v[6:7] offset:128
	flat_load_b64 v[6:7], v[16:17] offset:256
	v_pk_fma_f32 v[52:53], v[48:49], v[14:15], v[8:9] op_sel_hi:[0,1,1]
	v_pk_fma_f32 v[8:9], v[48:49], v[14:15], v[8:9] neg_lo:[0,0,1] neg_hi:[0,0,1]
	s_wait_loadcnt_dscnt 0x0
	v_pk_mul_f32 v[50:51], v[6:7], v[12:13]
	s_delay_alu instid0(VALU_DEP_1) | instskip(SKIP_1) | instid1(VALU_DEP_2)
	v_pk_fma_f32 v[54:55], v[6:7], v[18:19], v[50:51] op_sel:[0,0,1] op_sel_hi:[1,1,0]
	v_pk_fma_f32 v[6:7], v[6:7], v[18:19], v[50:51] op_sel:[0,0,1] op_sel_hi:[1,1,0] neg_lo:[0,0,1] neg_hi:[0,0,1]
	v_dual_mov_b32 v9, v53 :: v_dual_mov_b32 v7, v55
	s_delay_alu instid0(VALU_DEP_1)
	v_pk_add_f32 v[6:7], v[8:9], v[6:7]
	v_pk_mul_f32 v[8:9], v[46:47], v[10:11] op_sel_hi:[0,1]
	flat_store_b64 v[56:57], v[6:7] offset:256
	flat_load_b64 v[6:7], v[16:17] offset:384
	v_pk_fma_f32 v[46:47], v[44:45], v[14:15], v[8:9] op_sel_hi:[0,1,1]
	v_pk_fma_f32 v[8:9], v[44:45], v[14:15], v[8:9] neg_lo:[0,0,1] neg_hi:[0,0,1]
	s_wait_loadcnt_dscnt 0x0
	s_wait_xcnt 0x0
	v_pk_mul_f32 v[16:17], v[6:7], v[12:13]
	s_delay_alu instid0(VALU_DEP_1) | instskip(SKIP_1) | instid1(VALU_DEP_2)
	v_pk_fma_f32 v[48:49], v[6:7], v[18:19], v[16:17] op_sel:[0,0,1] op_sel_hi:[1,1,0]
	v_pk_fma_f32 v[6:7], v[6:7], v[18:19], v[16:17] op_sel:[0,0,1] op_sel_hi:[1,1,0] neg_lo:[0,0,1] neg_hi:[0,0,1]
	v_dual_mov_b32 v9, v47 :: v_dual_mov_b32 v7, v49
	s_delay_alu instid0(VALU_DEP_1)
	v_pk_add_f32 v[6:7], v[8:9], v[6:7]
	v_pk_mul_f32 v[8:9], v[42:43], v[10:11] op_sel_hi:[0,1]
	flat_store_b64 v[56:57], v[6:7] offset:384
	flat_load_b64 v[6:7], v[2:3]
	v_pk_fma_f32 v[42:43], v[40:41], v[14:15], v[8:9] op_sel_hi:[0,1,1]
	v_pk_fma_f32 v[8:9], v[40:41], v[14:15], v[8:9] neg_lo:[0,0,1] neg_hi:[0,0,1]
	s_wait_loadcnt_dscnt 0x0
	v_pk_mul_f32 v[16:17], v[6:7], v[12:13]
	s_delay_alu instid0(VALU_DEP_1) | instskip(SKIP_1) | instid1(VALU_DEP_2)
	v_pk_fma_f32 v[44:45], v[6:7], v[18:19], v[16:17] op_sel:[0,0,1] op_sel_hi:[1,1,0]
	v_pk_fma_f32 v[6:7], v[6:7], v[18:19], v[16:17] op_sel:[0,0,1] op_sel_hi:[1,1,0] neg_lo:[0,0,1] neg_hi:[0,0,1]
	v_dual_mov_b32 v9, v43 :: v_dual_mov_b32 v7, v45
	s_delay_alu instid0(VALU_DEP_1)
	v_pk_add_f32 v[4:5], v[8:9], v[6:7]
	v_pk_mul_f32 v[6:7], v[38:39], v[10:11] op_sel_hi:[0,1]
	flat_store_b64 v[0:1], v[4:5]
	flat_load_b64 v[4:5], v[2:3] offset:128
	v_pk_fma_f32 v[16:17], v[36:37], v[14:15], v[6:7] op_sel_hi:[0,1,1]
	v_pk_fma_f32 v[6:7], v[36:37], v[14:15], v[6:7] neg_lo:[0,0,1] neg_hi:[0,0,1]
	s_wait_loadcnt_dscnt 0x0
	v_pk_mul_f32 v[8:9], v[4:5], v[12:13]
	s_delay_alu instid0(VALU_DEP_1) | instskip(SKIP_1) | instid1(VALU_DEP_2)
	v_pk_fma_f32 v[42:43], v[4:5], v[18:19], v[8:9] op_sel:[0,0,1] op_sel_hi:[1,1,0]
	v_pk_fma_f32 v[4:5], v[4:5], v[18:19], v[8:9] op_sel:[0,0,1] op_sel_hi:[1,1,0] neg_lo:[0,0,1] neg_hi:[0,0,1]
	v_dual_mov_b32 v7, v17 :: v_dual_mov_b32 v5, v43
	s_delay_alu instid0(VALU_DEP_1)
	v_pk_add_f32 v[4:5], v[6:7], v[4:5]
	v_pk_mul_f32 v[6:7], v[34:35], v[10:11] op_sel_hi:[0,1]
	flat_store_b64 v[0:1], v[4:5] offset:128
	flat_load_b64 v[4:5], v[2:3] offset:256
	v_pk_fma_f32 v[10:11], v[20:21], v[14:15], v[6:7] op_sel_hi:[0,1,1]
	v_pk_fma_f32 v[6:7], v[20:21], v[14:15], v[6:7] neg_lo:[0,0,1] neg_hi:[0,0,1]
	s_wait_loadcnt_dscnt 0x0
	v_pk_mul_f32 v[8:9], v[4:5], v[12:13]
	s_delay_alu instid0(VALU_DEP_1) | instskip(SKIP_2) | instid1(VALU_DEP_3)
	v_pk_fma_f32 v[12:13], v[4:5], v[18:19], v[8:9] op_sel:[0,0,1] op_sel_hi:[1,1,0]
	v_pk_fma_f32 v[4:5], v[4:5], v[18:19], v[8:9] op_sel:[0,0,1] op_sel_hi:[1,1,0] neg_lo:[0,0,1] neg_hi:[0,0,1]
	v_dual_mov_b32 v7, v11 :: v_dual_mul_f32 v9, s22, v32
	v_mov_b32_e32 v5, v13
	s_delay_alu instid0(VALU_DEP_2) | instskip(NEXT) | instid1(VALU_DEP_2)
	v_fma_f32 v9, -v33, s6, v9
	v_pk_add_f32 v[4:5], v[6:7], v[4:5]
	flat_store_b64 v[0:1], v[4:5] offset:256
	flat_load_b64 v[2:3], v[2:3] offset:384
	s_wait_xcnt 0x1
	v_mov_b64_e32 v[4:5], s[28:29]
	s_wait_loadcnt_dscnt 0x0
	v_dual_mul_f32 v6, s35, v3 :: v_dual_mov_b32 v7, v2
	s_delay_alu instid0(VALU_DEP_1) | instskip(SKIP_2) | instid1(VALU_DEP_1)
	v_fma_f32 v8, v2, s34, -v6
	s_wait_xcnt 0x0
	v_dual_mov_b32 v2, v33 :: v_dual_mov_b32 v6, v32
	v_pk_mul_f32 v[2:3], v[2:3], v[4:5]
	v_mov_b64_e32 v[4:5], s[14:15]
	s_delay_alu instid0(VALU_DEP_1) | instskip(SKIP_1) | instid1(VALU_DEP_2)
	v_pk_fma_f32 v[4:5], v[6:7], v[4:5], v[2:3]
	v_add_nc_u64_e32 v[2:3], 0x180, v[0:1]
	v_dual_add_f32 v6, v9, v8 :: v_dual_add_f32 v4, v4, v5
	flat_store_b32 v[0:1], v6 offset:384
	s_branch .LBB227_2
.LBB227_10:
	s_sendmsg sendmsg(MSG_DEALLOC_VGPRS)
	s_endpgm
	.section	.rodata,"a",@progbits
	.p2align	6, 0x0
	.amdhsa_kernel _ZN12_GLOBAL__N_127rocblas_gemm_batched_kernelI19rocblas_complex_numIfELi16ELi16ELi64ELi64ELi4ELi64ELi4ELi4ELi64ELc67ELc67EKPKS2_S5_KPS2_EEvlllT_PT11_llSA_llS8_PT12_llPT13_lli
		.amdhsa_group_segment_fixed_size 4096
		.amdhsa_private_segment_fixed_size 0
		.amdhsa_kernarg_size 140
		.amdhsa_user_sgpr_count 2
		.amdhsa_user_sgpr_dispatch_ptr 0
		.amdhsa_user_sgpr_queue_ptr 0
		.amdhsa_user_sgpr_kernarg_segment_ptr 1
		.amdhsa_user_sgpr_dispatch_id 0
		.amdhsa_user_sgpr_kernarg_preload_length 0
		.amdhsa_user_sgpr_kernarg_preload_offset 0
		.amdhsa_user_sgpr_private_segment_size 0
		.amdhsa_wavefront_size32 1
		.amdhsa_uses_dynamic_stack 0
		.amdhsa_enable_private_segment 0
		.amdhsa_system_sgpr_workgroup_id_x 1
		.amdhsa_system_sgpr_workgroup_id_y 1
		.amdhsa_system_sgpr_workgroup_id_z 1
		.amdhsa_system_sgpr_workgroup_info 0
		.amdhsa_system_vgpr_workitem_id 1
		.amdhsa_next_free_vgpr 198
		.amdhsa_next_free_sgpr 44
		.amdhsa_named_barrier_count 0
		.amdhsa_reserve_vcc 1
		.amdhsa_float_round_mode_32 0
		.amdhsa_float_round_mode_16_64 0
		.amdhsa_float_denorm_mode_32 3
		.amdhsa_float_denorm_mode_16_64 3
		.amdhsa_fp16_overflow 0
		.amdhsa_memory_ordered 1
		.amdhsa_forward_progress 1
		.amdhsa_inst_pref_size 48
		.amdhsa_round_robin_scheduling 0
		.amdhsa_exception_fp_ieee_invalid_op 0
		.amdhsa_exception_fp_denorm_src 0
		.amdhsa_exception_fp_ieee_div_zero 0
		.amdhsa_exception_fp_ieee_overflow 0
		.amdhsa_exception_fp_ieee_underflow 0
		.amdhsa_exception_fp_ieee_inexact 0
		.amdhsa_exception_int_div_zero 0
	.end_amdhsa_kernel
	.section	.text._ZN12_GLOBAL__N_127rocblas_gemm_batched_kernelI19rocblas_complex_numIfELi16ELi16ELi64ELi64ELi4ELi64ELi4ELi4ELi64ELc67ELc67EKPKS2_S5_KPS2_EEvlllT_PT11_llSA_llS8_PT12_llPT13_lli,"axG",@progbits,_ZN12_GLOBAL__N_127rocblas_gemm_batched_kernelI19rocblas_complex_numIfELi16ELi16ELi64ELi64ELi4ELi64ELi4ELi4ELi64ELc67ELc67EKPKS2_S5_KPS2_EEvlllT_PT11_llSA_llS8_PT12_llPT13_lli,comdat
.Lfunc_end227:
	.size	_ZN12_GLOBAL__N_127rocblas_gemm_batched_kernelI19rocblas_complex_numIfELi16ELi16ELi64ELi64ELi4ELi64ELi4ELi4ELi64ELc67ELc67EKPKS2_S5_KPS2_EEvlllT_PT11_llSA_llS8_PT12_llPT13_lli, .Lfunc_end227-_ZN12_GLOBAL__N_127rocblas_gemm_batched_kernelI19rocblas_complex_numIfELi16ELi16ELi64ELi64ELi4ELi64ELi4ELi4ELi64ELc67ELc67EKPKS2_S5_KPS2_EEvlllT_PT11_llSA_llS8_PT12_llPT13_lli
                                        ; -- End function
	.set _ZN12_GLOBAL__N_127rocblas_gemm_batched_kernelI19rocblas_complex_numIfELi16ELi16ELi64ELi64ELi4ELi64ELi4ELi4ELi64ELc67ELc67EKPKS2_S5_KPS2_EEvlllT_PT11_llSA_llS8_PT12_llPT13_lli.num_vgpr, 198
	.set _ZN12_GLOBAL__N_127rocblas_gemm_batched_kernelI19rocblas_complex_numIfELi16ELi16ELi64ELi64ELi4ELi64ELi4ELi4ELi64ELc67ELc67EKPKS2_S5_KPS2_EEvlllT_PT11_llSA_llS8_PT12_llPT13_lli.num_agpr, 0
	.set _ZN12_GLOBAL__N_127rocblas_gemm_batched_kernelI19rocblas_complex_numIfELi16ELi16ELi64ELi64ELi4ELi64ELi4ELi4ELi64ELc67ELc67EKPKS2_S5_KPS2_EEvlllT_PT11_llSA_llS8_PT12_llPT13_lli.numbered_sgpr, 44
	.set _ZN12_GLOBAL__N_127rocblas_gemm_batched_kernelI19rocblas_complex_numIfELi16ELi16ELi64ELi64ELi4ELi64ELi4ELi4ELi64ELc67ELc67EKPKS2_S5_KPS2_EEvlllT_PT11_llSA_llS8_PT12_llPT13_lli.num_named_barrier, 0
	.set _ZN12_GLOBAL__N_127rocblas_gemm_batched_kernelI19rocblas_complex_numIfELi16ELi16ELi64ELi64ELi4ELi64ELi4ELi4ELi64ELc67ELc67EKPKS2_S5_KPS2_EEvlllT_PT11_llSA_llS8_PT12_llPT13_lli.private_seg_size, 0
	.set _ZN12_GLOBAL__N_127rocblas_gemm_batched_kernelI19rocblas_complex_numIfELi16ELi16ELi64ELi64ELi4ELi64ELi4ELi4ELi64ELc67ELc67EKPKS2_S5_KPS2_EEvlllT_PT11_llSA_llS8_PT12_llPT13_lli.uses_vcc, 1
	.set _ZN12_GLOBAL__N_127rocblas_gemm_batched_kernelI19rocblas_complex_numIfELi16ELi16ELi64ELi64ELi4ELi64ELi4ELi4ELi64ELc67ELc67EKPKS2_S5_KPS2_EEvlllT_PT11_llSA_llS8_PT12_llPT13_lli.uses_flat_scratch, 1
	.set _ZN12_GLOBAL__N_127rocblas_gemm_batched_kernelI19rocblas_complex_numIfELi16ELi16ELi64ELi64ELi4ELi64ELi4ELi4ELi64ELc67ELc67EKPKS2_S5_KPS2_EEvlllT_PT11_llSA_llS8_PT12_llPT13_lli.has_dyn_sized_stack, 0
	.set _ZN12_GLOBAL__N_127rocblas_gemm_batched_kernelI19rocblas_complex_numIfELi16ELi16ELi64ELi64ELi4ELi64ELi4ELi4ELi64ELc67ELc67EKPKS2_S5_KPS2_EEvlllT_PT11_llSA_llS8_PT12_llPT13_lli.has_recursion, 0
	.set _ZN12_GLOBAL__N_127rocblas_gemm_batched_kernelI19rocblas_complex_numIfELi16ELi16ELi64ELi64ELi4ELi64ELi4ELi4ELi64ELc67ELc67EKPKS2_S5_KPS2_EEvlllT_PT11_llSA_llS8_PT12_llPT13_lli.has_indirect_call, 0
	.section	.AMDGPU.csdata,"",@progbits
; Kernel info:
; codeLenInByte = 6060
; TotalNumSgprs: 46
; NumVgprs: 198
; ScratchSize: 0
; MemoryBound: 0
; FloatMode: 240
; IeeeMode: 1
; LDSByteSize: 4096 bytes/workgroup (compile time only)
; SGPRBlocks: 0
; VGPRBlocks: 12
; NumSGPRsForWavesPerEU: 46
; NumVGPRsForWavesPerEU: 198
; NamedBarCnt: 0
; Occupancy: 4
; WaveLimiterHint : 1
; COMPUTE_PGM_RSRC2:SCRATCH_EN: 0
; COMPUTE_PGM_RSRC2:USER_SGPR: 2
; COMPUTE_PGM_RSRC2:TRAP_HANDLER: 0
; COMPUTE_PGM_RSRC2:TGID_X_EN: 1
; COMPUTE_PGM_RSRC2:TGID_Y_EN: 1
; COMPUTE_PGM_RSRC2:TGID_Z_EN: 1
; COMPUTE_PGM_RSRC2:TIDIG_COMP_CNT: 1
	.section	.text._ZN12_GLOBAL__N_127rocblas_gemm_batched_kernelI19rocblas_complex_numIfELi16ELi16ELi64ELi64ELi4ELi64ELi4ELi4ELi64ELc67ELc78EKPKS2_S5_KPS2_EEvlllT_PT11_llSA_llS8_PT12_llPT13_lli,"axG",@progbits,_ZN12_GLOBAL__N_127rocblas_gemm_batched_kernelI19rocblas_complex_numIfELi16ELi16ELi64ELi64ELi4ELi64ELi4ELi4ELi64ELc67ELc78EKPKS2_S5_KPS2_EEvlllT_PT11_llSA_llS8_PT12_llPT13_lli,comdat
	.globl	_ZN12_GLOBAL__N_127rocblas_gemm_batched_kernelI19rocblas_complex_numIfELi16ELi16ELi64ELi64ELi4ELi64ELi4ELi4ELi64ELc67ELc78EKPKS2_S5_KPS2_EEvlllT_PT11_llSA_llS8_PT12_llPT13_lli ; -- Begin function _ZN12_GLOBAL__N_127rocblas_gemm_batched_kernelI19rocblas_complex_numIfELi16ELi16ELi64ELi64ELi4ELi64ELi4ELi4ELi64ELc67ELc78EKPKS2_S5_KPS2_EEvlllT_PT11_llSA_llS8_PT12_llPT13_lli
	.p2align	8
	.type	_ZN12_GLOBAL__N_127rocblas_gemm_batched_kernelI19rocblas_complex_numIfELi16ELi16ELi64ELi64ELi4ELi64ELi4ELi4ELi64ELc67ELc78EKPKS2_S5_KPS2_EEvlllT_PT11_llSA_llS8_PT12_llPT13_lli,@function
_ZN12_GLOBAL__N_127rocblas_gemm_batched_kernelI19rocblas_complex_numIfELi16ELi16ELi64ELi64ELi4ELi64ELi4ELi4ELi64ELc67ELc78EKPKS2_S5_KPS2_EEvlllT_PT11_llSA_llS8_PT12_llPT13_lli: ; @_ZN12_GLOBAL__N_127rocblas_gemm_batched_kernelI19rocblas_complex_numIfELi16ELi16ELi64ELi64ELi4ELi64ELi4ELi4ELi64ELc67ELc78EKPKS2_S5_KPS2_EEvlllT_PT11_llSA_llS8_PT12_llPT13_lli
; %bb.0:
	s_load_b32 s33, s[0:1], 0x88
	s_bfe_u32 s2, ttmp6, 0x40014
	s_lshr_b32 s3, ttmp7, 16
	s_add_co_i32 s2, s2, 1
	s_bfe_u32 s4, ttmp6, 0x40008
	s_mul_i32 s2, s3, s2
	s_getreg_b32 s12, hwreg(HW_REG_IB_STS2, 6, 4)
	s_add_co_i32 s4, s4, s2
	s_cmp_eq_u32 s12, 0
	s_cselect_b32 s2, s3, s4
	s_mov_b32 s3, 0
	s_wait_kmcnt 0x0
	s_cmp_ge_i32 s2, s33
	s_cbranch_scc1 .LBB228_10
; %bb.1:
	v_bfe_u32 v20, v0, 10, 10
	v_and_b32_e32 v2, 0x3ff, v0
	s_bfe_u32 s13, ttmp6, 0x4000c
	s_bfe_u32 s15, ttmp6, 0x40010
	s_clause 0x2
	s_load_b256 s[4:11], s[0:1], 0x20
	s_load_b128 s[28:31], s[0:1], 0x40
	s_load_b128 s[24:27], s[0:1], 0x78
	s_add_co_i32 s13, s13, 1
	s_and_b32 s16, ttmp7, 0xffff
	s_add_co_i32 s15, s15, 1
	s_and_b32 s14, ttmp6, 15
	s_mul_i32 s13, ttmp9, s13
	s_mul_i32 s15, s16, s15
	s_bfe_u32 s17, ttmp6, 0x40004
	v_lshl_add_u32 v3, v20, 4, v2
	s_add_co_i32 s14, s14, s13
	s_add_co_i32 s17, s17, s15
	s_cmp_eq_u32 s12, 0
	s_delay_alu instid0(VALU_DEP_1) | instskip(SKIP_3) | instid1(VALU_DEP_1)
	v_dual_mov_b32 v21, 0 :: v_dual_bitop2_b32 v9, 63, v3 bitop3:0x40
	s_cselect_b32 s12, ttmp9, s14
	s_cselect_b32 s14, s16, s17
	s_ashr_i32 s13, s12, 31
	v_mov_b32_e32 v5, v21
	s_lshl_b64 s[36:37], s[12:13], 6
	s_delay_alu instid0(SALU_CYCLE_1)
	v_dual_lshrrev_b32 v4, 2, v3 :: v_dual_bitop2_b32 v6, s36, v9 bitop3:0x54
	v_mov_b32_e32 v7, s37
	s_lshl_b32 s38, s14, 6
	s_mov_b32 s39, s3
	s_load_b256 s[12:19], s[0:1], 0x58
	v_dual_lshlrev_b32 v8, 3, v0 :: v_dual_lshrrev_b32 v10, 6, v3
	s_wait_kmcnt 0x0
	v_mul_u64_e32 v[0:1], s[6:7], v[6:7]
	v_add_nc_u64_e32 v[6:7], s[38:39], v[4:5]
	s_clause 0x1
	s_load_b64 s[34:35], s[0:1], 0x50
	s_load_b128 s[20:23], s[0:1], 0x10
	v_dual_lshlrev_b32 v5, 3, v9 :: v_dual_bitop2_b32 v8, 24, v8 bitop3:0x40
	v_lshl_add_u32 v41, v20, 5, 0x800
	v_dual_mov_b32 v3, v21 :: v_dual_lshlrev_b32 v39, 3, v2
	v_mul_u64_e32 v[6:7], s[28:29], v[6:7]
	s_delay_alu instid0(VALU_DEP_4)
	v_lshl_or_b32 v9, v4, 5, v8
	v_lshl_or_b32 v35, v10, 9, v5
	v_add_nc_u64_e32 v[4:5], s[38:39], v[20:21]
	v_lshlrev_b32_e32 v20, 3, v10
	v_add_nc_u64_e32 v[26:27], s[36:37], v[2:3]
	v_add_nc_u32_e32 v37, 0x800, v9
	v_mov_b32_e32 v9, v21
	v_mul_u64_e32 v[22:23], s[24:25], v[4:5]
	v_mul_u64_e32 v[24:25], s[14:15], v[4:5]
	s_wait_kmcnt 0x0
	s_or_b32 s0, s34, s35
	s_mov_b32 s6, s23
	s_bitset0_b32 s0, 31
	s_mov_b32 s7, s22
	s_cmp_eq_u32 s0, 0
	v_cmp_gt_i64_e64 s0, s[20:21], 0
	s_cselect_b32 s1, -1, 0
	s_lshl_b64 s[8:9], s[8:9], 3
	s_lshl_b64 s[30:31], s[30:31], 3
	;; [unrolled: 1-line block ×3, first 2 shown]
	v_lshl_add_u64 v[0:1], v[0:1], 3, s[8:9]
	s_lshl_b64 s[38:39], s[14:15], 4
	v_cndmask_b32_e64 v2, 0, 1, s0
	s_mov_b32 s14, s23
	s_mov_b32 s15, s35
	v_add_nc_u64_e32 v[28:29], v[0:1], v[20:21]
	s_mov_b32 s8, s22
	v_cmp_ne_u32_e64 s0, 1, v2
	s_mov_b32 s9, s34
	v_lshl_add_u64 v[0:1], v[6:7], 3, s[30:31]
	s_mov_b32 s24, s34
	s_mov_b32 s25, s34
	v_or_b32_e32 v28, 4, v28
	s_mov_b32 s28, s35
	v_add_nc_u64_e32 v[30:31], v[0:1], v[8:9]
	s_mov_b32 s29, s35
	s_lshl_b64 s[26:27], s[26:27], 3
	s_lshl_b64 s[16:17], s[16:17], 3
	;; [unrolled: 1-line block ×4, first 2 shown]
	s_branch .LBB228_3
.LBB228_2:                              ;   in Loop: Header=BB228_3 Depth=1
	s_add_co_i32 s2, s2, 0x10000
	flat_store_b32 v[2:3], v4 offset:4
	s_cmp_lt_i32 s2, s33
	s_cbranch_scc0 .LBB228_10
.LBB228_3:                              ; =>This Loop Header: Depth=1
                                        ;     Child Loop BB228_5 Depth 2
	s_wait_xcnt 0x1
	v_dual_mov_b32 v0, s2 :: v_dual_mov_b32 v33, 0
	v_dual_mov_b32 v32, 0 :: v_dual_mov_b32 v90, 0
	v_dual_mov_b32 v94, 0 :: v_dual_mov_b32 v86, 0
	s_clause 0x1
	global_load_b64 v[68:69], v0, s[12:13] scale_offset
	global_load_b64 v[92:93], v0, s[18:19] scale_offset
	v_dual_mov_b32 v88, 0 :: v_dual_mov_b32 v82, 0
	v_dual_mov_b32 v84, 0 :: v_dual_mov_b32 v78, 0
	;; [unrolled: 1-line block ×13, first 2 shown]
	v_mov_b32_e32 v34, 0
	s_and_b32 vcc_lo, exec_lo, s0
	s_cbranch_vccnz .LBB228_6
; %bb.4:                                ;   in Loop: Header=BB228_3 Depth=1
	s_lshl_b64 s[38:39], s[2:3], 3
	v_dual_mov_b32 v34, 0 :: v_dual_mov_b32 v20, 0
	s_add_nc_u64 s[40:41], s[4:5], s[38:39]
	s_add_nc_u64 s[38:39], s[10:11], s[38:39]
	s_clause 0x1
	global_load_b64 v[0:1], v21, s[40:41]
	global_load_b64 v[2:3], v21, s[38:39]
	v_dual_mov_b32 v38, 0 :: v_dual_mov_b32 v36, 0
	v_dual_mov_b32 v42, 0 :: v_dual_mov_b32 v40, 0
	;; [unrolled: 1-line block ×15, first 2 shown]
	s_wait_xcnt 0x0
	s_mov_b64 s[38:39], 0
	s_wait_loadcnt 0x1
	v_add_nc_u64_e32 v[96:97], v[0:1], v[28:29]
	s_wait_loadcnt 0x0
	v_add_nc_u64_e32 v[98:99], v[2:3], v[30:31]
.LBB228_5:                              ;   Parent Loop BB228_3 Depth=1
                                        ; =>  This Inner Loop Header: Depth=2
	flat_load_b64 v[0:1], v[96:97] offset:-4
	s_add_nc_u64 s[38:39], s[38:39], 4
	s_wait_xcnt 0x0
	v_add_nc_u64_e32 v[96:97], 32, v[96:97]
	v_cmp_lt_i64_e64 s40, s[38:39], s[20:21]
	s_and_b32 vcc_lo, exec_lo, s40
	s_wait_loadcnt_dscnt 0x0
	v_xor_b32_e32 v1, 0x80000000, v1
	ds_store_b64 v35, v[0:1]
	flat_load_b64 v[0:1], v[98:99]
	s_wait_xcnt 0x0
	v_add_nc_u64_e32 v[98:99], 32, v[98:99]
	s_wait_loadcnt_dscnt 0x0
	ds_store_b64 v37, v[0:1]
	s_wait_dscnt 0x0
	s_barrier_signal -1
	s_barrier_wait -1
	ds_load_2addr_b64 v[0:3], v39 offset1:16
	ds_load_b128 v[8:11], v41
	ds_load_2addr_b64 v[4:7], v39 offset0:32 offset1:48
	ds_load_2addr_b64 v[12:15], v39 offset0:64 offset1:80
	;; [unrolled: 1-line block ×3, first 2 shown]
	ds_load_b128 v[100:103], v41 offset:16
	ds_load_2addr_b64 v[104:107], v39 offset0:128 offset1:144
	ds_load_2addr_b64 v[108:111], v39 offset0:160 offset1:176
	;; [unrolled: 1-line block ×4, first 2 shown]
	ds_load_b128 v[120:123], v41 offset:512
	ds_load_b128 v[124:127], v41 offset:528
	;; [unrolled: 1-line block ×6, first 2 shown]
	s_wait_dscnt 0x0
	s_barrier_signal -1
	s_barrier_wait -1
	v_dual_mul_f32 v43, v9, v1 :: v_dual_mul_f32 v45, v8, v1
	v_dual_mul_f32 v47, v9, v3 :: v_dual_mul_f32 v49, v8, v3
	;; [unrolled: 1-line block ×27, first 2 shown]
	v_dual_fma_f32 v43, v8, v0, -v43 :: v_dual_fmac_f32 v45, v9, v0
	v_dual_fma_f32 v47, v8, v2, -v47 :: v_dual_fmac_f32 v49, v9, v2
	;; [unrolled: 1-line block ×6, first 2 shown]
	v_dual_fma_f32 v67, v10, v16, -v67 :: v_dual_fma_f32 v73, v10, v18, -v73
	v_dual_fmac_f32 v71, v11, v16 :: v_dual_mul_f32 v171, v138, v13
	v_dual_fmac_f32 v75, v11, v18 :: v_dual_fma_f32 v77, v120, v0, -v77
	v_pk_mul_f32 v[8:9], v[136:137], v[6:7] op_sel:[1,1] op_sel_hi:[0,1]
	v_dual_mul_f32 v5, v139, v13 :: v_dual_fmac_f32 v79, v121, v0
	v_dual_mov_b32 v10, v139 :: v_dual_mov_b32 v11, v138
	v_dual_fma_f32 v81, v120, v2, -v81 :: v_dual_fmac_f32 v83, v121, v2
	v_dual_fma_f32 v85, v120, v4, -v85 :: v_dual_fmac_f32 v87, v121, v4
	;; [unrolled: 1-line block ×16, first 2 shown]
	v_dual_fma_f32 v159, v136, v2, -v1 :: v_dual_mul_f32 v161, v101, v107
	v_dual_fmac_f32 v169, v137, v2 :: v_dual_mul_f32 v163, v100, v107
	v_dual_fma_f32 v165, v136, v4, -v3 :: v_dual_fmac_f32 v170, v137, v4
	v_pk_fma_f32 v[0:1], v[136:137], v[6:7], v[8:9] neg_lo:[0,0,1] neg_hi:[0,0,1]
	v_pk_fma_f32 v[2:3], v[136:137], v[6:7], v[8:9] op_sel_hi:[1,0,1]
	v_dual_fma_f32 v137, v138, v12, -v5 :: v_dual_fmac_f32 v171, v139, v12
	v_pk_mul_f32 v[4:5], v[10:11], v[18:19] op_sel:[0,1]
	v_dual_mul_f32 v13, v139, v15 :: v_dual_mul_f32 v123, v138, v15
	v_dual_mul_f32 v15, v139, v17 :: v_dual_mul_f32 v17, v138, v17
	s_delay_alu instid0(VALU_DEP_3)
	v_pk_fma_f32 v[6:7], v[138:139], v[18:19], v[4:5] neg_lo:[0,0,1] neg_hi:[0,0,1]
	v_pk_fma_f32 v[4:5], v[138:139], v[18:19], v[4:5] op_sel_hi:[1,0,1]
	v_dual_mul_f32 v131, v101, v105 :: v_dual_mul_f32 v155, v100, v105
	v_dual_mul_f32 v1, v101, v109 :: v_dual_mul_f32 v2, v100, v109
	;; [unrolled: 1-line block ×4, first 2 shown]
	v_dual_mul_f32 v136, v100, v111 :: v_dual_fma_f32 v167, v138, v14, -v13
	v_fmac_f32_e32 v123, v139, v14
	v_dual_mul_f32 v9, v103, v113 :: v_dual_mul_f32 v172, v102, v113
	v_dual_fma_f32 v173, v138, v16, -v15 :: v_dual_fmac_f32 v17, v139, v16
	v_mul_f32_e32 v16, v102, v115
	v_dual_mul_f32 v10, v103, v119 :: v_dual_mul_f32 v19, v102, v119
	v_dual_fma_f32 v131, v100, v104, -v131 :: v_dual_fma_f32 v139, v100, v106, -v161
	v_dual_fmac_f32 v163, v101, v106 :: v_dual_fma_f32 v161, v100, v108, -v1
	v_dual_fma_f32 v4, v102, v114, -v4 :: v_dual_fma_f32 v174, v102, v116, -v7
	v_dual_mul_f32 v1, v125, v107 :: v_dual_mul_f32 v7, v125, v109
	v_mul_f32_e32 v175, v124, v109
	v_dual_mul_f32 v11, v125, v105 :: v_dual_mul_f32 v138, v124, v105
	v_dual_fmac_f32 v155, v101, v104 :: v_dual_fma_f32 v100, v100, v110, -v8
	v_dual_fmac_f32 v2, v101, v108 :: v_dual_fmac_f32 v136, v101, v110
	v_dual_fma_f32 v101, v102, v112, -v9 :: v_dual_fmac_f32 v172, v103, v112
	v_dual_fmac_f32 v16, v103, v114 :: v_dual_fmac_f32 v18, v103, v116
	v_dual_fma_f32 v102, v102, v118, -v10 :: v_dual_fmac_f32 v19, v103, v118
	v_dual_mul_f32 v103, v124, v107 :: v_dual_fma_f32 v177, v124, v106, -v1
	v_dual_fma_f32 v178, v124, v108, -v7 :: v_dual_mul_f32 v1, v125, v111
	v_dual_fma_f32 v176, v124, v104, -v11 :: v_dual_fmac_f32 v138, v125, v104
	v_fmac_f32_e32 v175, v125, v108
	s_delay_alu instid0(VALU_DEP_4) | instskip(NEXT) | instid1(VALU_DEP_4)
	v_fmac_f32_e32 v103, v125, v106
	v_dual_fma_f32 v179, v124, v110, -v1 :: v_dual_mul_f32 v124, v124, v111
	v_dual_mul_f32 v1, v127, v113 :: v_dual_mul_f32 v180, v126, v113
	v_dual_mul_f32 v182, v126, v115 :: v_dual_mul_f32 v184, v126, v117
	s_delay_alu instid0(VALU_DEP_2) | instskip(NEXT) | instid1(VALU_DEP_3)
	v_dual_fmac_f32 v124, v125, v110 :: v_dual_fma_f32 v125, v126, v112, -v1
	v_dual_mul_f32 v1, v127, v115 :: v_dual_fmac_f32 v180, v127, v112
	v_dual_mul_f32 v186, v132, v105 :: v_dual_mul_f32 v188, v132, v107
	s_delay_alu instid0(VALU_DEP_2) | instskip(SKIP_3) | instid1(VALU_DEP_3)
	v_dual_mul_f32 v190, v132, v109 :: v_dual_fma_f32 v181, v126, v114, -v1
	v_dual_mul_f32 v1, v127, v117 :: v_dual_fmac_f32 v182, v127, v114
	v_dual_mul_f32 v192, v134, v113 :: v_dual_mul_f32 v194, v134, v115
	v_mul_f32_e32 v196, v134, v117
	v_dual_fma_f32 v183, v126, v116, -v1 :: v_dual_mul_f32 v1, v127, v119
	v_fmac_f32_e32 v184, v127, v116
	v_pk_mul_f32 v[8:9], v[140:141], v[110:111] op_sel:[1,1] op_sel_hi:[0,1]
	v_dual_mov_b32 v12, v143 :: v_dual_mov_b32 v13, v142
	s_delay_alu instid0(VALU_DEP_4) | instskip(SKIP_1) | instid1(VALU_DEP_4)
	v_dual_fma_f32 v185, v126, v118, -v1 :: v_dual_mul_f32 v126, v126, v119
	v_mul_f32_e32 v1, v133, v105
	v_pk_fma_f32 v[10:11], v[140:141], v[110:111], v[8:9] neg_lo:[0,0,1] neg_hi:[0,0,1]
	v_pk_fma_f32 v[8:9], v[140:141], v[110:111], v[8:9] op_sel_hi:[1,0,1]
	v_pk_mul_f32 v[12:13], v[12:13], v[118:119] op_sel:[0,1]
	s_delay_alu instid0(VALU_DEP_4) | instskip(SKIP_2) | instid1(VALU_DEP_4)
	v_dual_fmac_f32 v126, v127, v118 :: v_dual_fma_f32 v127, v132, v104, -v1
	v_dual_mul_f32 v1, v133, v107 :: v_dual_fmac_f32 v186, v133, v104
	v_add_f32_e32 v42, v42, v168
	v_pk_fma_f32 v[14:15], v[142:143], v[118:119], v[12:13] neg_lo:[0,0,1] neg_hi:[0,0,1]
	v_pk_fma_f32 v[12:13], v[142:143], v[118:119], v[12:13] op_sel_hi:[1,0,1]
	s_delay_alu instid0(VALU_DEP_4) | instskip(SKIP_2) | instid1(VALU_DEP_3)
	v_dual_fma_f32 v187, v132, v106, -v1 :: v_dual_mul_f32 v1, v133, v109
	v_dual_fmac_f32 v188, v133, v106 :: v_dual_add_f32 v12, v90, v43
	v_dual_add_f32 v43, v94, v45 :: v_dual_add_f32 v72, v72, v83
	v_dual_fma_f32 v189, v132, v108, -v1 :: v_dual_mul_f32 v1, v133, v111
	v_dual_fmac_f32 v190, v133, v108 :: v_dual_add_f32 v45, v86, v47
	v_dual_add_f32 v47, v88, v49 :: v_dual_add_f32 v49, v82, v51
	s_delay_alu instid0(VALU_DEP_3) | instskip(SKIP_2) | instid1(VALU_DEP_2)
	v_dual_fma_f32 v191, v132, v110, -v1 :: v_dual_mul_f32 v132, v132, v111
	v_dual_mul_f32 v1, v135, v113 :: v_dual_mul_f32 v111, v142, v115
	v_dual_add_f32 v51, v84, v53 :: v_dual_add_f32 v53, v78, v55
	v_dual_fmac_f32 v132, v133, v110 :: v_dual_fma_f32 v133, v134, v112, -v1
	v_dual_mul_f32 v1, v135, v115 :: v_dual_fmac_f32 v192, v135, v112
	v_add_f32_e32 v55, v80, v57
	v_dual_add_f32 v57, v76, v77 :: v_dual_add_f32 v74, v74, v79
	s_delay_alu instid0(VALU_DEP_3) | instskip(SKIP_3) | instid1(VALU_DEP_3)
	v_dual_add_f32 v64, v64, v85 :: v_dual_fma_f32 v193, v134, v114, -v1
	v_dual_mul_f32 v1, v135, v117 :: v_dual_fmac_f32 v194, v135, v114
	v_dual_add_f32 v70, v70, v81 :: v_dual_add_f32 v52, v52, v147
	v_dual_add_f32 v66, v66, v87 :: v_dual_add_f32 v60, v60, v89
	v_dual_fma_f32 v195, v134, v116, -v1 :: v_dual_mul_f32 v1, v135, v119
	v_dual_fmac_f32 v196, v135, v116 :: v_dual_add_f32 v62, v62, v91
	v_dual_add_f32 v56, v56, v145 :: v_dual_add_f32 v58, v58, v152
	s_delay_alu instid0(VALU_DEP_3) | instskip(SKIP_2) | instid1(VALU_DEP_2)
	v_dual_add_f32 v48, v48, v149 :: v_dual_fma_f32 v197, v134, v118, -v1
	v_dual_mul_f32 v134, v134, v119 :: v_dual_mul_f32 v1, v141, v105
	v_dual_mul_f32 v105, v140, v105 :: v_dual_add_f32 v54, v54, v154
	v_dual_add_f32 v44, v44, v128 :: v_dual_fmac_f32 v134, v135, v118
	s_delay_alu instid0(VALU_DEP_3) | instskip(NEXT) | instid1(VALU_DEP_3)
	v_dual_fma_f32 v135, v140, v104, -v1 :: v_dual_mul_f32 v1, v141, v107
	v_dual_fmac_f32 v105, v141, v104 :: v_dual_mul_f32 v107, v140, v107
	v_dual_add_f32 v50, v50, v156 :: v_dual_add_f32 v40, v40, v157
	s_delay_alu instid0(VALU_DEP_3) | instskip(NEXT) | instid1(VALU_DEP_3)
	v_dual_fma_f32 v104, v140, v106, -v1 :: v_dual_mul_f32 v1, v141, v109
	v_dual_mul_f32 v109, v140, v109 :: v_dual_fmac_f32 v107, v141, v106
	v_dual_add_f32 v46, v46, v158 :: v_dual_add_f32 v36, v36, v159
	s_delay_alu instid0(VALU_DEP_3) | instskip(NEXT) | instid1(VALU_DEP_3)
	v_dual_fma_f32 v106, v140, v108, -v1 :: v_dual_mul_f32 v1, v143, v113
	v_dual_fmac_f32 v109, v141, v108 :: v_dual_mul_f32 v108, v142, v113
	v_mul_f32_e32 v113, v142, v117
	v_dual_add_f32 v20, v20, v165 :: v_dual_add_f32 v34, v34, v170
	s_delay_alu instid0(VALU_DEP_3) | instskip(NEXT) | instid1(VALU_DEP_3)
	v_dual_fma_f32 v8, v142, v112, -v1 :: v_dual_fmac_f32 v108, v143, v112
	v_dual_mul_f32 v1, v143, v115 :: v_dual_fmac_f32 v113, v143, v116
	v_dual_mov_b32 v7, v5 :: v_dual_mov_b32 v15, v13
	s_delay_alu instid0(VALU_DEP_2) | instskip(SKIP_3) | instid1(VALU_DEP_3)
	v_dual_mov_b32 v11, v9 :: v_dual_fma_f32 v110, v142, v114, -v1
	v_dual_fmac_f32 v111, v143, v114 :: v_dual_mul_f32 v1, v143, v117
	v_dual_add_f32 v5, v12, v59 :: v_dual_add_f32 v9, v43, v61
	v_dual_add_f32 v12, v45, v63 :: v_dual_add_f32 v13, v47, v65
	v_dual_fma_f32 v112, v142, v116, -v1 :: v_dual_mov_b32 v1, v3
	v_add_f32_e32 v3, v38, v169
	v_dual_add_f32 v38, v53, v73 :: v_dual_add_f32 v43, v55, v75
	v_add_f32_e32 v45, v57, v95
	s_delay_alu instid0(VALU_DEP_4)
	v_pk_add_f32 v[0:1], v[32:33], v[0:1]
	v_dual_add_f32 v32, v49, v67 :: v_dual_add_f32 v47, v74, v144
	v_dual_add_f32 v33, v51, v71 :: v_dual_add_f32 v49, v70, v120
	v_add_f32_e32 v51, v72, v146
	v_dual_add_f32 v53, v64, v121 :: v_dual_add_f32 v55, v66, v148
	v_dual_add_f32 v57, v60, v122 :: v_dual_add_f32 v58, v58, v160
	;; [unrolled: 1-line block ×9, first 2 shown]
	v_pk_add_f32 v[0:1], v[0:1], v[6:7]
	v_add_f32_e32 v5, v5, v131
	v_add_f32_e32 v6, v9, v155
	v_dual_add_f32 v7, v12, v139 :: v_dual_add_f32 v2, v33, v2
	v_dual_add_f32 v9, v13, v163 :: v_dual_add_f32 v12, v32, v161
	v_add_f32_e32 v13, v38, v100
	v_add_f32_e32 v32, v43, v136
	v_dual_add_f32 v33, v45, v176 :: v_dual_add_f32 v34, v47, v138
	v_dual_add_f32 v38, v49, v177 :: v_dual_add_f32 v43, v51, v103
	;; [unrolled: 1-line block ×11, first 2 shown]
	v_pk_add_f32 v[0:1], v[0:1], v[10:11]
	v_dual_add_f32 v90, v5, v101 :: v_dual_add_f32 v94, v6, v172
	v_dual_add_f32 v86, v7, v4 :: v_dual_add_f32 v82, v12, v174
	;; [unrolled: 1-line block ×15, first 2 shown]
	v_pk_add_f32 v[32:33], v[0:1], v[14:15]
	s_cbranch_vccnz .LBB228_5
.LBB228_6:                              ;   in Loop: Header=BB228_3 Depth=1
	s_wait_loadcnt 0x0
	s_wait_xcnt 0x0
	v_add_nc_u64_e32 v[0:1], s[26:27], v[92:93]
	s_and_not1_b32 vcc_lo, exec_lo, s1
	s_mov_b32 s38, -1
                                        ; implicit-def: $vgpr4
                                        ; implicit-def: $vgpr2_vgpr3
	s_cbranch_vccz .LBB228_8
; %bb.7:                                ;   in Loop: Header=BB228_3 Depth=1
	s_and_not1_b32 vcc_lo, exec_lo, s38
	s_cbranch_vccnz .LBB228_2
	s_branch .LBB228_9
.LBB228_8:                              ;   in Loop: Header=BB228_3 Depth=1
	v_mov_b64_e32 v[2:3], s[6:7]
	v_mov_b64_e32 v[8:9], s[22:23]
	v_lshlrev_b64_e32 v[4:5], 3, v[26:27]
	v_lshl_add_u64 v[6:7], v[22:23], 3, v[0:1]
	s_delay_alu instid0(VALU_DEP_4)
	v_pk_mul_f32 v[10:11], v[94:95], v[2:3] op_sel_hi:[0,1]
	v_pk_mul_f32 v[12:13], v[88:89], v[2:3] op_sel_hi:[0,1]
	;; [unrolled: 1-line block ×4, first 2 shown]
	v_add_nc_u64_e32 v[18:19], v[6:7], v[4:5]
	v_pk_fma_f32 v[92:93], v[90:91], v[8:9], v[10:11] neg_lo:[0,0,1] neg_hi:[0,0,1]
	v_pk_fma_f32 v[10:11], v[90:91], v[8:9], v[10:11] op_sel_hi:[0,1,1]
	v_pk_fma_f32 v[96:97], v[86:87], v[8:9], v[12:13] op_sel_hi:[0,1,1]
	;; [unrolled: 1-line block ×4, first 2 shown]
	v_pk_fma_f32 v[12:13], v[86:87], v[8:9], v[12:13] neg_lo:[0,0,1] neg_hi:[0,0,1]
	s_delay_alu instid0(VALU_DEP_4)
	v_dual_mov_b32 v93, v11 :: v_dual_mov_b32 v13, v97
	v_pk_fma_f32 v[10:11], v[82:83], v[8:9], v[14:15] neg_lo:[0,0,1] neg_hi:[0,0,1]
	v_mov_b32_e32 v11, v99
	v_pk_fma_f32 v[14:15], v[78:79], v[8:9], v[16:17] neg_lo:[0,0,1] neg_hi:[0,0,1]
	v_mov_b32_e32 v15, v101
	v_pk_mul_f32 v[16:17], v[74:75], v[2:3] op_sel_hi:[0,1]
	s_clause 0x3
	flat_store_b64 v[18:19], v[92:93]
	flat_store_b64 v[18:19], v[12:13] offset:128
	flat_store_b64 v[18:19], v[10:11] offset:256
	;; [unrolled: 1-line block ×3, first 2 shown]
	s_wait_xcnt 0x1
	v_pk_mul_f32 v[10:11], v[72:73], v[2:3] op_sel_hi:[0,1]
	s_wait_xcnt 0x0
	v_pk_mul_f32 v[18:19], v[66:67], v[2:3] op_sel_hi:[0,1]
	v_add_nc_u64_e32 v[6:7], s[36:37], v[6:7]
	v_pk_fma_f32 v[14:15], v[76:77], v[8:9], v[16:17] op_sel_hi:[0,1,1]
	v_pk_mul_f32 v[96:97], v[62:63], v[2:3] op_sel_hi:[0,1]
	v_pk_fma_f32 v[92:93], v[70:71], v[8:9], v[10:11] op_sel_hi:[0,1,1]
	v_pk_fma_f32 v[16:17], v[76:77], v[8:9], v[16:17] neg_lo:[0,0,1] neg_hi:[0,0,1]
	v_pk_fma_f32 v[10:11], v[70:71], v[8:9], v[10:11] neg_lo:[0,0,1] neg_hi:[0,0,1]
	v_mov_b32_e32 v17, v15
	v_pk_fma_f32 v[14:15], v[64:65], v[8:9], v[18:19] op_sel_hi:[0,1,1]
	v_mov_b32_e32 v11, v93
	v_pk_fma_f32 v[92:93], v[60:61], v[8:9], v[96:97] op_sel_hi:[0,1,1]
	v_add_nc_u64_e32 v[12:13], v[6:7], v[4:5]
	v_pk_fma_f32 v[18:19], v[64:65], v[8:9], v[18:19] neg_lo:[0,0,1] neg_hi:[0,0,1]
	v_mov_b32_e32 v19, v15
	v_pk_fma_f32 v[14:15], v[60:61], v[8:9], v[96:97] neg_lo:[0,0,1] neg_hi:[0,0,1]
	v_mov_b32_e32 v15, v93
	v_pk_mul_f32 v[92:93], v[58:59], v[2:3] op_sel_hi:[0,1]
	v_add_nc_u64_e32 v[6:7], s[36:37], v[6:7]
	s_clause 0x3
	flat_store_b64 v[12:13], v[16:17]
	flat_store_b64 v[12:13], v[10:11] offset:128
	flat_store_b64 v[12:13], v[18:19] offset:256
	flat_store_b64 v[12:13], v[14:15] offset:384
	s_wait_xcnt 0x0
	v_pk_mul_f32 v[12:13], v[54:55], v[2:3] op_sel_hi:[0,1]
	v_pk_mul_f32 v[16:17], v[50:51], v[2:3] op_sel_hi:[0,1]
	v_pk_fma_f32 v[14:15], v[56:57], v[8:9], v[92:93] op_sel_hi:[0,1,1]
	v_pk_fma_f32 v[18:19], v[56:57], v[8:9], v[92:93] neg_lo:[0,0,1] neg_hi:[0,0,1]
	v_pk_mul_f32 v[92:93], v[46:47], v[2:3] op_sel_hi:[0,1]
	v_pk_fma_f32 v[96:97], v[52:53], v[8:9], v[12:13] op_sel_hi:[0,1,1]
	v_add_nc_u64_e32 v[10:11], v[6:7], v[4:5]
	v_mov_b32_e32 v19, v15
	v_pk_fma_f32 v[14:15], v[48:49], v[8:9], v[16:17] op_sel_hi:[0,1,1]
	v_pk_fma_f32 v[98:99], v[44:45], v[8:9], v[92:93] op_sel_hi:[0,1,1]
	v_pk_fma_f32 v[12:13], v[52:53], v[8:9], v[12:13] neg_lo:[0,0,1] neg_hi:[0,0,1]
	v_mov_b32_e32 v13, v97
	v_pk_fma_f32 v[16:17], v[48:49], v[8:9], v[16:17] neg_lo:[0,0,1] neg_hi:[0,0,1]
	v_mov_b32_e32 v17, v15
	;; [unrolled: 2-line block ×3, first 2 shown]
	v_add_nc_u64_e32 v[6:7], s[36:37], v[6:7]
	v_pk_mul_f32 v[92:93], v[42:43], v[2:3] op_sel_hi:[0,1]
	s_clause 0x3
	flat_store_b64 v[10:11], v[18:19]
	flat_store_b64 v[10:11], v[12:13] offset:128
	flat_store_b64 v[10:11], v[16:17] offset:256
	;; [unrolled: 1-line block ×3, first 2 shown]
	s_wait_xcnt 0x0
	v_pk_mul_f32 v[10:11], v[38:39], v[2:3] op_sel_hi:[0,1]
	v_pk_fma_f32 v[12:13], v[40:41], v[8:9], v[92:93] op_sel_hi:[0,1,1]
	v_add_nc_u64_e32 v[6:7], v[6:7], v[4:5]
	v_pk_mul_f32 v[4:5], v[34:35], v[2:3] op_sel_hi:[0,1]
	s_delay_alu instid0(VALU_DEP_4)
	v_pk_fma_f32 v[16:17], v[36:37], v[8:9], v[10:11] op_sel_hi:[0,1,1]
	v_pk_fma_f32 v[14:15], v[40:41], v[8:9], v[92:93] neg_lo:[0,0,1] neg_hi:[0,0,1]
	v_pk_fma_f32 v[10:11], v[36:37], v[8:9], v[10:11] neg_lo:[0,0,1] neg_hi:[0,0,1]
	v_mov_b32_e32 v15, v13
	v_pk_fma_f32 v[12:13], v[20:21], v[8:9], v[4:5] op_sel_hi:[0,1,1]
	v_mov_b32_e32 v11, v17
	v_pk_mul_f32 v[16:17], v[32:33], v[2:3]
	v_mul_f32_e32 v12, s22, v32
	v_add_nc_u64_e32 v[2:3], 0x180, v[6:7]
	v_pk_fma_f32 v[8:9], v[20:21], v[8:9], v[4:5] neg_lo:[0,0,1] neg_hi:[0,0,1]
	s_delay_alu instid0(VALU_DEP_4) | instskip(NEXT) | instid1(VALU_DEP_4)
	v_dual_mov_b32 v9, v13 :: v_dual_add_f32 v4, v16, v17
	v_fma_f32 v5, -v33, s6, v12
	s_clause 0x3
	flat_store_b64 v[6:7], v[14:15]
	flat_store_b64 v[6:7], v[10:11] offset:128
	flat_store_b64 v[6:7], v[8:9] offset:256
	flat_store_b32 v[6:7], v5 offset:384
	s_cbranch_execnz .LBB228_2
.LBB228_9:                              ;   in Loop: Header=BB228_3 Depth=1
	v_add_nc_u64_e32 v[2:3], s[16:17], v[68:69]
	s_wait_xcnt 0x0
	v_lshlrev_b64_e32 v[4:5], 3, v[26:27]
	v_mov_b64_e32 v[10:11], s[6:7]
	v_mov_b64_e32 v[12:13], s[28:29]
	v_mov_b64_e32 v[14:15], s[22:23]
	v_mov_b64_e32 v[18:19], s[24:25]
	v_lshl_add_u64 v[0:1], v[22:23], 3, v[0:1]
	v_lshl_add_u64 v[2:3], v[24:25], 3, v[2:3]
	v_pk_mul_f32 v[16:17], v[94:95], v[10:11] op_sel_hi:[0,1]
	s_delay_alu instid0(VALU_DEP_2) | instskip(SKIP_1) | instid1(VALU_DEP_3)
	v_add_nc_u64_e32 v[6:7], v[2:3], v[4:5]
	v_add_nc_u64_e32 v[2:3], s[30:31], v[2:3]
	v_pk_fma_f32 v[92:93], v[90:91], v[14:15], v[16:17] op_sel_hi:[0,1,1]
	v_pk_fma_f32 v[16:17], v[90:91], v[14:15], v[16:17] neg_lo:[0,0,1] neg_hi:[0,0,1]
	flat_load_b64 v[8:9], v[6:7]
	s_wait_loadcnt_dscnt 0x0
	v_pk_mul_f32 v[68:69], v[8:9], v[12:13]
	s_delay_alu instid0(VALU_DEP_1)
	v_pk_fma_f32 v[94:95], v[8:9], v[18:19], v[68:69] op_sel:[0,0,1] op_sel_hi:[1,1,0]
	v_pk_fma_f32 v[8:9], v[8:9], v[18:19], v[68:69] op_sel:[0,0,1] op_sel_hi:[1,1,0] neg_lo:[0,0,1] neg_hi:[0,0,1]
	v_mov_b32_e32 v17, v93
	v_add_nc_u64_e32 v[68:69], v[0:1], v[4:5]
	v_add_nc_u64_e32 v[0:1], s[36:37], v[0:1]
	v_mov_b32_e32 v9, v95
	s_delay_alu instid0(VALU_DEP_1)
	v_pk_add_f32 v[8:9], v[16:17], v[8:9]
	v_pk_mul_f32 v[16:17], v[88:89], v[10:11] op_sel_hi:[0,1]
	flat_store_b64 v[68:69], v[8:9]
	flat_load_b64 v[8:9], v[6:7] offset:128
	v_pk_fma_f32 v[90:91], v[86:87], v[14:15], v[16:17] op_sel_hi:[0,1,1]
	v_pk_fma_f32 v[16:17], v[86:87], v[14:15], v[16:17] neg_lo:[0,0,1] neg_hi:[0,0,1]
	s_wait_loadcnt_dscnt 0x0
	v_pk_mul_f32 v[88:89], v[8:9], v[12:13]
	s_delay_alu instid0(VALU_DEP_1) | instskip(SKIP_1) | instid1(VALU_DEP_2)
	v_pk_fma_f32 v[92:93], v[8:9], v[18:19], v[88:89] op_sel:[0,0,1] op_sel_hi:[1,1,0]
	v_pk_fma_f32 v[8:9], v[8:9], v[18:19], v[88:89] op_sel:[0,0,1] op_sel_hi:[1,1,0] neg_lo:[0,0,1] neg_hi:[0,0,1]
	v_dual_mov_b32 v17, v91 :: v_dual_mov_b32 v9, v93
	s_delay_alu instid0(VALU_DEP_1)
	v_pk_add_f32 v[8:9], v[16:17], v[8:9]
	v_pk_mul_f32 v[16:17], v[84:85], v[10:11] op_sel_hi:[0,1]
	flat_store_b64 v[68:69], v[8:9] offset:128
	flat_load_b64 v[8:9], v[6:7] offset:256
	v_pk_fma_f32 v[86:87], v[82:83], v[14:15], v[16:17] op_sel_hi:[0,1,1]
	v_pk_fma_f32 v[16:17], v[82:83], v[14:15], v[16:17] neg_lo:[0,0,1] neg_hi:[0,0,1]
	s_wait_loadcnt_dscnt 0x0
	v_pk_mul_f32 v[84:85], v[8:9], v[12:13]
	s_delay_alu instid0(VALU_DEP_1) | instskip(SKIP_1) | instid1(VALU_DEP_2)
	v_pk_fma_f32 v[88:89], v[8:9], v[18:19], v[84:85] op_sel:[0,0,1] op_sel_hi:[1,1,0]
	v_pk_fma_f32 v[8:9], v[8:9], v[18:19], v[84:85] op_sel:[0,0,1] op_sel_hi:[1,1,0] neg_lo:[0,0,1] neg_hi:[0,0,1]
	v_dual_mov_b32 v17, v87 :: v_dual_mov_b32 v9, v89
	s_delay_alu instid0(VALU_DEP_1) | instskip(SKIP_4) | instid1(VALU_DEP_1)
	v_pk_add_f32 v[8:9], v[16:17], v[8:9]
	flat_store_b64 v[68:69], v[8:9] offset:256
	flat_load_b64 v[6:7], v[6:7] offset:384
	s_wait_xcnt 0x1
	v_pk_mul_f32 v[8:9], v[80:81], v[10:11] op_sel_hi:[0,1]
	v_pk_fma_f32 v[80:81], v[78:79], v[14:15], v[8:9] op_sel_hi:[0,1,1]
	v_pk_fma_f32 v[8:9], v[78:79], v[14:15], v[8:9] neg_lo:[0,0,1] neg_hi:[0,0,1]
	s_wait_loadcnt_dscnt 0x0
	v_pk_mul_f32 v[16:17], v[6:7], v[12:13]
	s_delay_alu instid0(VALU_DEP_1)
	v_pk_fma_f32 v[82:83], v[6:7], v[18:19], v[16:17] op_sel:[0,0,1] op_sel_hi:[1,1,0]
	s_wait_xcnt 0x0
	v_pk_fma_f32 v[6:7], v[6:7], v[18:19], v[16:17] op_sel:[0,0,1] op_sel_hi:[1,1,0] neg_lo:[0,0,1] neg_hi:[0,0,1]
	v_mov_b32_e32 v9, v81
	v_add_nc_u64_e32 v[16:17], v[2:3], v[4:5]
	v_add_nc_u64_e32 v[2:3], s[30:31], v[2:3]
	v_mov_b32_e32 v7, v83
	s_delay_alu instid0(VALU_DEP_1)
	v_pk_add_f32 v[6:7], v[8:9], v[6:7]
	v_pk_mul_f32 v[8:9], v[74:75], v[10:11] op_sel_hi:[0,1]
	flat_store_b64 v[68:69], v[6:7] offset:384
	flat_load_b64 v[6:7], v[16:17]
	v_pk_fma_f32 v[74:75], v[76:77], v[14:15], v[8:9] op_sel_hi:[0,1,1]
	v_pk_fma_f32 v[8:9], v[76:77], v[14:15], v[8:9] neg_lo:[0,0,1] neg_hi:[0,0,1]
	s_wait_loadcnt_dscnt 0x0
	v_pk_mul_f32 v[68:69], v[6:7], v[12:13]
	s_delay_alu instid0(VALU_DEP_1)
	v_pk_fma_f32 v[78:79], v[6:7], v[18:19], v[68:69] op_sel:[0,0,1] op_sel_hi:[1,1,0]
	v_pk_fma_f32 v[6:7], v[6:7], v[18:19], v[68:69] op_sel:[0,0,1] op_sel_hi:[1,1,0] neg_lo:[0,0,1] neg_hi:[0,0,1]
	v_mov_b32_e32 v9, v75
	v_add_nc_u64_e32 v[68:69], v[0:1], v[4:5]
	v_add_nc_u64_e32 v[0:1], s[36:37], v[0:1]
	v_mov_b32_e32 v7, v79
	s_delay_alu instid0(VALU_DEP_1)
	v_pk_add_f32 v[6:7], v[8:9], v[6:7]
	v_pk_mul_f32 v[8:9], v[72:73], v[10:11] op_sel_hi:[0,1]
	flat_store_b64 v[68:69], v[6:7]
	flat_load_b64 v[6:7], v[16:17] offset:128
	v_pk_fma_f32 v[74:75], v[70:71], v[14:15], v[8:9] op_sel_hi:[0,1,1]
	v_pk_fma_f32 v[8:9], v[70:71], v[14:15], v[8:9] neg_lo:[0,0,1] neg_hi:[0,0,1]
	s_wait_loadcnt_dscnt 0x0
	v_pk_mul_f32 v[72:73], v[6:7], v[12:13]
	s_delay_alu instid0(VALU_DEP_1) | instskip(SKIP_1) | instid1(VALU_DEP_2)
	v_pk_fma_f32 v[76:77], v[6:7], v[18:19], v[72:73] op_sel:[0,0,1] op_sel_hi:[1,1,0]
	v_pk_fma_f32 v[6:7], v[6:7], v[18:19], v[72:73] op_sel:[0,0,1] op_sel_hi:[1,1,0] neg_lo:[0,0,1] neg_hi:[0,0,1]
	v_dual_mov_b32 v9, v75 :: v_dual_mov_b32 v7, v77
	s_delay_alu instid0(VALU_DEP_1)
	v_pk_add_f32 v[6:7], v[8:9], v[6:7]
	v_pk_mul_f32 v[8:9], v[66:67], v[10:11] op_sel_hi:[0,1]
	flat_store_b64 v[68:69], v[6:7] offset:128
	flat_load_b64 v[6:7], v[16:17] offset:256
	v_pk_fma_f32 v[70:71], v[64:65], v[14:15], v[8:9] op_sel_hi:[0,1,1]
	v_pk_fma_f32 v[8:9], v[64:65], v[14:15], v[8:9] neg_lo:[0,0,1] neg_hi:[0,0,1]
	s_wait_loadcnt_dscnt 0x0
	v_pk_mul_f32 v[66:67], v[6:7], v[12:13]
	s_delay_alu instid0(VALU_DEP_1) | instskip(SKIP_1) | instid1(VALU_DEP_2)
	v_pk_fma_f32 v[72:73], v[6:7], v[18:19], v[66:67] op_sel:[0,0,1] op_sel_hi:[1,1,0]
	v_pk_fma_f32 v[6:7], v[6:7], v[18:19], v[66:67] op_sel:[0,0,1] op_sel_hi:[1,1,0] neg_lo:[0,0,1] neg_hi:[0,0,1]
	v_dual_mov_b32 v9, v71 :: v_dual_mov_b32 v7, v73
	s_delay_alu instid0(VALU_DEP_1)
	v_pk_add_f32 v[6:7], v[8:9], v[6:7]
	v_pk_mul_f32 v[8:9], v[62:63], v[10:11] op_sel_hi:[0,1]
	flat_store_b64 v[68:69], v[6:7] offset:256
	flat_load_b64 v[6:7], v[16:17] offset:384
	v_pk_fma_f32 v[62:63], v[60:61], v[14:15], v[8:9] op_sel_hi:[0,1,1]
	v_pk_fma_f32 v[8:9], v[60:61], v[14:15], v[8:9] neg_lo:[0,0,1] neg_hi:[0,0,1]
	s_wait_loadcnt_dscnt 0x0
	s_wait_xcnt 0x0
	v_pk_mul_f32 v[16:17], v[6:7], v[12:13]
	s_delay_alu instid0(VALU_DEP_1)
	v_pk_fma_f32 v[64:65], v[6:7], v[18:19], v[16:17] op_sel:[0,0,1] op_sel_hi:[1,1,0]
	v_pk_fma_f32 v[6:7], v[6:7], v[18:19], v[16:17] op_sel:[0,0,1] op_sel_hi:[1,1,0] neg_lo:[0,0,1] neg_hi:[0,0,1]
	v_mov_b32_e32 v9, v63
	v_add_nc_u64_e32 v[16:17], v[2:3], v[4:5]
	v_add_nc_u64_e32 v[2:3], s[30:31], v[2:3]
	v_mov_b32_e32 v7, v65
	s_delay_alu instid0(VALU_DEP_1) | instskip(SKIP_1) | instid1(VALU_DEP_4)
	v_pk_add_f32 v[6:7], v[8:9], v[6:7]
	v_pk_mul_f32 v[8:9], v[58:59], v[10:11] op_sel_hi:[0,1]
	v_add_nc_u64_e32 v[2:3], v[2:3], v[4:5]
	flat_store_b64 v[68:69], v[6:7] offset:384
	flat_load_b64 v[6:7], v[16:17]
	v_pk_fma_f32 v[60:61], v[56:57], v[14:15], v[8:9] op_sel_hi:[0,1,1]
	v_pk_fma_f32 v[8:9], v[56:57], v[14:15], v[8:9] neg_lo:[0,0,1] neg_hi:[0,0,1]
	v_add_nc_u64_e32 v[56:57], v[0:1], v[4:5]
	v_add_nc_u64_e32 v[0:1], s[36:37], v[0:1]
	s_delay_alu instid0(VALU_DEP_1) | instskip(SKIP_2) | instid1(VALU_DEP_1)
	v_add_nc_u64_e32 v[0:1], v[0:1], v[4:5]
	s_wait_loadcnt_dscnt 0x0
	v_pk_mul_f32 v[58:59], v[6:7], v[12:13]
	v_pk_fma_f32 v[62:63], v[6:7], v[18:19], v[58:59] op_sel:[0,0,1] op_sel_hi:[1,1,0]
	v_pk_fma_f32 v[6:7], v[6:7], v[18:19], v[58:59] op_sel:[0,0,1] op_sel_hi:[1,1,0] neg_lo:[0,0,1] neg_hi:[0,0,1]
	s_delay_alu instid0(VALU_DEP_2) | instskip(NEXT) | instid1(VALU_DEP_1)
	v_dual_mov_b32 v9, v61 :: v_dual_mov_b32 v7, v63
	v_pk_add_f32 v[6:7], v[8:9], v[6:7]
	v_pk_mul_f32 v[8:9], v[54:55], v[10:11] op_sel_hi:[0,1]
	flat_store_b64 v[56:57], v[6:7]
	flat_load_b64 v[6:7], v[16:17] offset:128
	v_pk_fma_f32 v[58:59], v[52:53], v[14:15], v[8:9] op_sel_hi:[0,1,1]
	v_pk_fma_f32 v[8:9], v[52:53], v[14:15], v[8:9] neg_lo:[0,0,1] neg_hi:[0,0,1]
	s_wait_loadcnt_dscnt 0x0
	v_pk_mul_f32 v[54:55], v[6:7], v[12:13]
	s_delay_alu instid0(VALU_DEP_1) | instskip(SKIP_1) | instid1(VALU_DEP_2)
	v_pk_fma_f32 v[60:61], v[6:7], v[18:19], v[54:55] op_sel:[0,0,1] op_sel_hi:[1,1,0]
	v_pk_fma_f32 v[6:7], v[6:7], v[18:19], v[54:55] op_sel:[0,0,1] op_sel_hi:[1,1,0] neg_lo:[0,0,1] neg_hi:[0,0,1]
	v_dual_mov_b32 v9, v59 :: v_dual_mov_b32 v7, v61
	s_delay_alu instid0(VALU_DEP_1)
	v_pk_add_f32 v[6:7], v[8:9], v[6:7]
	v_pk_mul_f32 v[8:9], v[50:51], v[10:11] op_sel_hi:[0,1]
	flat_store_b64 v[56:57], v[6:7] offset:128
	flat_load_b64 v[6:7], v[16:17] offset:256
	v_pk_fma_f32 v[52:53], v[48:49], v[14:15], v[8:9] op_sel_hi:[0,1,1]
	v_pk_fma_f32 v[8:9], v[48:49], v[14:15], v[8:9] neg_lo:[0,0,1] neg_hi:[0,0,1]
	s_wait_loadcnt_dscnt 0x0
	v_pk_mul_f32 v[50:51], v[6:7], v[12:13]
	s_delay_alu instid0(VALU_DEP_1) | instskip(SKIP_1) | instid1(VALU_DEP_2)
	v_pk_fma_f32 v[54:55], v[6:7], v[18:19], v[50:51] op_sel:[0,0,1] op_sel_hi:[1,1,0]
	v_pk_fma_f32 v[6:7], v[6:7], v[18:19], v[50:51] op_sel:[0,0,1] op_sel_hi:[1,1,0] neg_lo:[0,0,1] neg_hi:[0,0,1]
	v_dual_mov_b32 v9, v53 :: v_dual_mov_b32 v7, v55
	s_delay_alu instid0(VALU_DEP_1)
	v_pk_add_f32 v[6:7], v[8:9], v[6:7]
	v_pk_mul_f32 v[8:9], v[46:47], v[10:11] op_sel_hi:[0,1]
	flat_store_b64 v[56:57], v[6:7] offset:256
	flat_load_b64 v[6:7], v[16:17] offset:384
	v_pk_fma_f32 v[46:47], v[44:45], v[14:15], v[8:9] op_sel_hi:[0,1,1]
	v_pk_fma_f32 v[8:9], v[44:45], v[14:15], v[8:9] neg_lo:[0,0,1] neg_hi:[0,0,1]
	s_wait_loadcnt_dscnt 0x0
	s_wait_xcnt 0x0
	v_pk_mul_f32 v[16:17], v[6:7], v[12:13]
	s_delay_alu instid0(VALU_DEP_1) | instskip(SKIP_1) | instid1(VALU_DEP_2)
	v_pk_fma_f32 v[48:49], v[6:7], v[18:19], v[16:17] op_sel:[0,0,1] op_sel_hi:[1,1,0]
	v_pk_fma_f32 v[6:7], v[6:7], v[18:19], v[16:17] op_sel:[0,0,1] op_sel_hi:[1,1,0] neg_lo:[0,0,1] neg_hi:[0,0,1]
	v_dual_mov_b32 v9, v47 :: v_dual_mov_b32 v7, v49
	s_delay_alu instid0(VALU_DEP_1)
	v_pk_add_f32 v[6:7], v[8:9], v[6:7]
	v_pk_mul_f32 v[8:9], v[42:43], v[10:11] op_sel_hi:[0,1]
	flat_store_b64 v[56:57], v[6:7] offset:384
	flat_load_b64 v[6:7], v[2:3]
	v_pk_fma_f32 v[42:43], v[40:41], v[14:15], v[8:9] op_sel_hi:[0,1,1]
	v_pk_fma_f32 v[8:9], v[40:41], v[14:15], v[8:9] neg_lo:[0,0,1] neg_hi:[0,0,1]
	s_wait_loadcnt_dscnt 0x0
	v_pk_mul_f32 v[16:17], v[6:7], v[12:13]
	s_delay_alu instid0(VALU_DEP_1) | instskip(SKIP_1) | instid1(VALU_DEP_2)
	v_pk_fma_f32 v[44:45], v[6:7], v[18:19], v[16:17] op_sel:[0,0,1] op_sel_hi:[1,1,0]
	v_pk_fma_f32 v[6:7], v[6:7], v[18:19], v[16:17] op_sel:[0,0,1] op_sel_hi:[1,1,0] neg_lo:[0,0,1] neg_hi:[0,0,1]
	v_dual_mov_b32 v9, v43 :: v_dual_mov_b32 v7, v45
	s_delay_alu instid0(VALU_DEP_1)
	v_pk_add_f32 v[4:5], v[8:9], v[6:7]
	v_pk_mul_f32 v[6:7], v[38:39], v[10:11] op_sel_hi:[0,1]
	flat_store_b64 v[0:1], v[4:5]
	flat_load_b64 v[4:5], v[2:3] offset:128
	v_pk_fma_f32 v[16:17], v[36:37], v[14:15], v[6:7] op_sel_hi:[0,1,1]
	v_pk_fma_f32 v[6:7], v[36:37], v[14:15], v[6:7] neg_lo:[0,0,1] neg_hi:[0,0,1]
	s_wait_loadcnt_dscnt 0x0
	v_pk_mul_f32 v[8:9], v[4:5], v[12:13]
	s_delay_alu instid0(VALU_DEP_1) | instskip(SKIP_1) | instid1(VALU_DEP_2)
	v_pk_fma_f32 v[42:43], v[4:5], v[18:19], v[8:9] op_sel:[0,0,1] op_sel_hi:[1,1,0]
	v_pk_fma_f32 v[4:5], v[4:5], v[18:19], v[8:9] op_sel:[0,0,1] op_sel_hi:[1,1,0] neg_lo:[0,0,1] neg_hi:[0,0,1]
	v_dual_mov_b32 v7, v17 :: v_dual_mov_b32 v5, v43
	s_delay_alu instid0(VALU_DEP_1)
	v_pk_add_f32 v[4:5], v[6:7], v[4:5]
	v_pk_mul_f32 v[6:7], v[34:35], v[10:11] op_sel_hi:[0,1]
	flat_store_b64 v[0:1], v[4:5] offset:128
	flat_load_b64 v[4:5], v[2:3] offset:256
	v_pk_fma_f32 v[10:11], v[20:21], v[14:15], v[6:7] op_sel_hi:[0,1,1]
	v_pk_fma_f32 v[6:7], v[20:21], v[14:15], v[6:7] neg_lo:[0,0,1] neg_hi:[0,0,1]
	s_wait_loadcnt_dscnt 0x0
	v_pk_mul_f32 v[8:9], v[4:5], v[12:13]
	s_delay_alu instid0(VALU_DEP_1) | instskip(SKIP_2) | instid1(VALU_DEP_3)
	v_pk_fma_f32 v[12:13], v[4:5], v[18:19], v[8:9] op_sel:[0,0,1] op_sel_hi:[1,1,0]
	v_pk_fma_f32 v[4:5], v[4:5], v[18:19], v[8:9] op_sel:[0,0,1] op_sel_hi:[1,1,0] neg_lo:[0,0,1] neg_hi:[0,0,1]
	v_dual_mov_b32 v7, v11 :: v_dual_mul_f32 v9, s22, v32
	v_mov_b32_e32 v5, v13
	s_delay_alu instid0(VALU_DEP_2) | instskip(NEXT) | instid1(VALU_DEP_2)
	v_fma_f32 v9, -v33, s6, v9
	v_pk_add_f32 v[4:5], v[6:7], v[4:5]
	flat_store_b64 v[0:1], v[4:5] offset:256
	flat_load_b64 v[2:3], v[2:3] offset:384
	s_wait_xcnt 0x1
	v_mov_b64_e32 v[4:5], s[8:9]
	s_wait_loadcnt_dscnt 0x0
	v_dual_mul_f32 v6, s35, v3 :: v_dual_mov_b32 v7, v2
	s_delay_alu instid0(VALU_DEP_1) | instskip(SKIP_2) | instid1(VALU_DEP_1)
	v_fma_f32 v8, v2, s34, -v6
	s_wait_xcnt 0x0
	v_dual_mov_b32 v2, v33 :: v_dual_mov_b32 v6, v32
	v_pk_mul_f32 v[2:3], v[2:3], v[4:5]
	v_mov_b64_e32 v[4:5], s[14:15]
	s_delay_alu instid0(VALU_DEP_1) | instskip(SKIP_1) | instid1(VALU_DEP_2)
	v_pk_fma_f32 v[4:5], v[6:7], v[4:5], v[2:3]
	v_add_nc_u64_e32 v[2:3], 0x180, v[0:1]
	v_dual_add_f32 v6, v9, v8 :: v_dual_add_f32 v4, v4, v5
	flat_store_b32 v[0:1], v6 offset:384
	s_branch .LBB228_2
.LBB228_10:
	s_sendmsg sendmsg(MSG_DEALLOC_VGPRS)
	s_endpgm
	.section	.rodata,"a",@progbits
	.p2align	6, 0x0
	.amdhsa_kernel _ZN12_GLOBAL__N_127rocblas_gemm_batched_kernelI19rocblas_complex_numIfELi16ELi16ELi64ELi64ELi4ELi64ELi4ELi4ELi64ELc67ELc78EKPKS2_S5_KPS2_EEvlllT_PT11_llSA_llS8_PT12_llPT13_lli
		.amdhsa_group_segment_fixed_size 4096
		.amdhsa_private_segment_fixed_size 0
		.amdhsa_kernarg_size 140
		.amdhsa_user_sgpr_count 2
		.amdhsa_user_sgpr_dispatch_ptr 0
		.amdhsa_user_sgpr_queue_ptr 0
		.amdhsa_user_sgpr_kernarg_segment_ptr 1
		.amdhsa_user_sgpr_dispatch_id 0
		.amdhsa_user_sgpr_kernarg_preload_length 0
		.amdhsa_user_sgpr_kernarg_preload_offset 0
		.amdhsa_user_sgpr_private_segment_size 0
		.amdhsa_wavefront_size32 1
		.amdhsa_uses_dynamic_stack 0
		.amdhsa_enable_private_segment 0
		.amdhsa_system_sgpr_workgroup_id_x 1
		.amdhsa_system_sgpr_workgroup_id_y 1
		.amdhsa_system_sgpr_workgroup_id_z 1
		.amdhsa_system_sgpr_workgroup_info 0
		.amdhsa_system_vgpr_workitem_id 1
		.amdhsa_next_free_vgpr 198
		.amdhsa_next_free_sgpr 42
		.amdhsa_named_barrier_count 0
		.amdhsa_reserve_vcc 1
		.amdhsa_float_round_mode_32 0
		.amdhsa_float_round_mode_16_64 0
		.amdhsa_float_denorm_mode_32 3
		.amdhsa_float_denorm_mode_16_64 3
		.amdhsa_fp16_overflow 0
		.amdhsa_memory_ordered 1
		.amdhsa_forward_progress 1
		.amdhsa_inst_pref_size 48
		.amdhsa_round_robin_scheduling 0
		.amdhsa_exception_fp_ieee_invalid_op 0
		.amdhsa_exception_fp_denorm_src 0
		.amdhsa_exception_fp_ieee_div_zero 0
		.amdhsa_exception_fp_ieee_overflow 0
		.amdhsa_exception_fp_ieee_underflow 0
		.amdhsa_exception_fp_ieee_inexact 0
		.amdhsa_exception_int_div_zero 0
	.end_amdhsa_kernel
	.section	.text._ZN12_GLOBAL__N_127rocblas_gemm_batched_kernelI19rocblas_complex_numIfELi16ELi16ELi64ELi64ELi4ELi64ELi4ELi4ELi64ELc67ELc78EKPKS2_S5_KPS2_EEvlllT_PT11_llSA_llS8_PT12_llPT13_lli,"axG",@progbits,_ZN12_GLOBAL__N_127rocblas_gemm_batched_kernelI19rocblas_complex_numIfELi16ELi16ELi64ELi64ELi4ELi64ELi4ELi4ELi64ELc67ELc78EKPKS2_S5_KPS2_EEvlllT_PT11_llSA_llS8_PT12_llPT13_lli,comdat
.Lfunc_end228:
	.size	_ZN12_GLOBAL__N_127rocblas_gemm_batched_kernelI19rocblas_complex_numIfELi16ELi16ELi64ELi64ELi4ELi64ELi4ELi4ELi64ELc67ELc78EKPKS2_S5_KPS2_EEvlllT_PT11_llSA_llS8_PT12_llPT13_lli, .Lfunc_end228-_ZN12_GLOBAL__N_127rocblas_gemm_batched_kernelI19rocblas_complex_numIfELi16ELi16ELi64ELi64ELi4ELi64ELi4ELi4ELi64ELc67ELc78EKPKS2_S5_KPS2_EEvlllT_PT11_llSA_llS8_PT12_llPT13_lli
                                        ; -- End function
	.set _ZN12_GLOBAL__N_127rocblas_gemm_batched_kernelI19rocblas_complex_numIfELi16ELi16ELi64ELi64ELi4ELi64ELi4ELi4ELi64ELc67ELc78EKPKS2_S5_KPS2_EEvlllT_PT11_llSA_llS8_PT12_llPT13_lli.num_vgpr, 198
	.set _ZN12_GLOBAL__N_127rocblas_gemm_batched_kernelI19rocblas_complex_numIfELi16ELi16ELi64ELi64ELi4ELi64ELi4ELi4ELi64ELc67ELc78EKPKS2_S5_KPS2_EEvlllT_PT11_llSA_llS8_PT12_llPT13_lli.num_agpr, 0
	.set _ZN12_GLOBAL__N_127rocblas_gemm_batched_kernelI19rocblas_complex_numIfELi16ELi16ELi64ELi64ELi4ELi64ELi4ELi4ELi64ELc67ELc78EKPKS2_S5_KPS2_EEvlllT_PT11_llSA_llS8_PT12_llPT13_lli.numbered_sgpr, 42
	.set _ZN12_GLOBAL__N_127rocblas_gemm_batched_kernelI19rocblas_complex_numIfELi16ELi16ELi64ELi64ELi4ELi64ELi4ELi4ELi64ELc67ELc78EKPKS2_S5_KPS2_EEvlllT_PT11_llSA_llS8_PT12_llPT13_lli.num_named_barrier, 0
	.set _ZN12_GLOBAL__N_127rocblas_gemm_batched_kernelI19rocblas_complex_numIfELi16ELi16ELi64ELi64ELi4ELi64ELi4ELi4ELi64ELc67ELc78EKPKS2_S5_KPS2_EEvlllT_PT11_llSA_llS8_PT12_llPT13_lli.private_seg_size, 0
	.set _ZN12_GLOBAL__N_127rocblas_gemm_batched_kernelI19rocblas_complex_numIfELi16ELi16ELi64ELi64ELi4ELi64ELi4ELi4ELi64ELc67ELc78EKPKS2_S5_KPS2_EEvlllT_PT11_llSA_llS8_PT12_llPT13_lli.uses_vcc, 1
	.set _ZN12_GLOBAL__N_127rocblas_gemm_batched_kernelI19rocblas_complex_numIfELi16ELi16ELi64ELi64ELi4ELi64ELi4ELi4ELi64ELc67ELc78EKPKS2_S5_KPS2_EEvlllT_PT11_llSA_llS8_PT12_llPT13_lli.uses_flat_scratch, 1
	.set _ZN12_GLOBAL__N_127rocblas_gemm_batched_kernelI19rocblas_complex_numIfELi16ELi16ELi64ELi64ELi4ELi64ELi4ELi4ELi64ELc67ELc78EKPKS2_S5_KPS2_EEvlllT_PT11_llSA_llS8_PT12_llPT13_lli.has_dyn_sized_stack, 0
	.set _ZN12_GLOBAL__N_127rocblas_gemm_batched_kernelI19rocblas_complex_numIfELi16ELi16ELi64ELi64ELi4ELi64ELi4ELi4ELi64ELc67ELc78EKPKS2_S5_KPS2_EEvlllT_PT11_llSA_llS8_PT12_llPT13_lli.has_recursion, 0
	.set _ZN12_GLOBAL__N_127rocblas_gemm_batched_kernelI19rocblas_complex_numIfELi16ELi16ELi64ELi64ELi4ELi64ELi4ELi4ELi64ELc67ELc78EKPKS2_S5_KPS2_EEvlllT_PT11_llSA_llS8_PT12_llPT13_lli.has_indirect_call, 0
	.section	.AMDGPU.csdata,"",@progbits
; Kernel info:
; codeLenInByte = 6064
; TotalNumSgprs: 44
; NumVgprs: 198
; ScratchSize: 0
; MemoryBound: 0
; FloatMode: 240
; IeeeMode: 1
; LDSByteSize: 4096 bytes/workgroup (compile time only)
; SGPRBlocks: 0
; VGPRBlocks: 12
; NumSGPRsForWavesPerEU: 44
; NumVGPRsForWavesPerEU: 198
; NamedBarCnt: 0
; Occupancy: 4
; WaveLimiterHint : 1
; COMPUTE_PGM_RSRC2:SCRATCH_EN: 0
; COMPUTE_PGM_RSRC2:USER_SGPR: 2
; COMPUTE_PGM_RSRC2:TRAP_HANDLER: 0
; COMPUTE_PGM_RSRC2:TGID_X_EN: 1
; COMPUTE_PGM_RSRC2:TGID_Y_EN: 1
; COMPUTE_PGM_RSRC2:TGID_Z_EN: 1
; COMPUTE_PGM_RSRC2:TIDIG_COMP_CNT: 1
	.section	.text._ZN12_GLOBAL__N_127rocblas_gemm_batched_kernelI19rocblas_complex_numIfELi16ELi16ELi64ELi64ELi4ELi64ELi4ELi4ELi64ELc67ELc84EKPKS2_S5_KPS2_EEvlllT_PT11_llSA_llS8_PT12_llPT13_lli,"axG",@progbits,_ZN12_GLOBAL__N_127rocblas_gemm_batched_kernelI19rocblas_complex_numIfELi16ELi16ELi64ELi64ELi4ELi64ELi4ELi4ELi64ELc67ELc84EKPKS2_S5_KPS2_EEvlllT_PT11_llSA_llS8_PT12_llPT13_lli,comdat
	.globl	_ZN12_GLOBAL__N_127rocblas_gemm_batched_kernelI19rocblas_complex_numIfELi16ELi16ELi64ELi64ELi4ELi64ELi4ELi4ELi64ELc67ELc84EKPKS2_S5_KPS2_EEvlllT_PT11_llSA_llS8_PT12_llPT13_lli ; -- Begin function _ZN12_GLOBAL__N_127rocblas_gemm_batched_kernelI19rocblas_complex_numIfELi16ELi16ELi64ELi64ELi4ELi64ELi4ELi4ELi64ELc67ELc84EKPKS2_S5_KPS2_EEvlllT_PT11_llSA_llS8_PT12_llPT13_lli
	.p2align	8
	.type	_ZN12_GLOBAL__N_127rocblas_gemm_batched_kernelI19rocblas_complex_numIfELi16ELi16ELi64ELi64ELi4ELi64ELi4ELi4ELi64ELc67ELc84EKPKS2_S5_KPS2_EEvlllT_PT11_llSA_llS8_PT12_llPT13_lli,@function
_ZN12_GLOBAL__N_127rocblas_gemm_batched_kernelI19rocblas_complex_numIfELi16ELi16ELi64ELi64ELi4ELi64ELi4ELi4ELi64ELc67ELc84EKPKS2_S5_KPS2_EEvlllT_PT11_llSA_llS8_PT12_llPT13_lli: ; @_ZN12_GLOBAL__N_127rocblas_gemm_batched_kernelI19rocblas_complex_numIfELi16ELi16ELi64ELi64ELi4ELi64ELi4ELi4ELi64ELc67ELc84EKPKS2_S5_KPS2_EEvlllT_PT11_llSA_llS8_PT12_llPT13_lli
; %bb.0:
	s_load_b32 s33, s[0:1], 0x88
	s_bfe_u32 s2, ttmp6, 0x40014
	s_lshr_b32 s3, ttmp7, 16
	s_add_co_i32 s2, s2, 1
	s_bfe_u32 s4, ttmp6, 0x40008
	s_mul_i32 s2, s3, s2
	s_getreg_b32 s12, hwreg(HW_REG_IB_STS2, 6, 4)
	s_add_co_i32 s4, s4, s2
	s_cmp_eq_u32 s12, 0
	s_cselect_b32 s2, s3, s4
	s_mov_b32 s3, 0
	s_wait_kmcnt 0x0
	s_cmp_ge_i32 s2, s33
	s_cbranch_scc1 .LBB229_10
; %bb.1:
	v_bfe_u32 v20, v0, 10, 10
	v_and_b32_e32 v2, 0x3ff, v0
	s_clause 0x1
	s_load_b256 s[4:11], s[0:1], 0x20
	s_load_b128 s[24:27], s[0:1], 0x40
	s_bfe_u32 s13, ttmp6, 0x4000c
	s_bfe_u32 s15, ttmp6, 0x40010
	s_add_co_i32 s13, s13, 1
	s_and_b32 s16, ttmp7, 0xffff
	s_add_co_i32 s15, s15, 1
	v_lshl_add_u32 v3, v20, 4, v2
	v_mov_b32_e32 v21, 0
	s_and_b32 s14, ttmp6, 15
	s_mul_i32 s13, ttmp9, s13
	s_mul_i32 s15, s16, s15
	s_bfe_u32 s17, ttmp6, 0x40004
	s_add_co_i32 s14, s14, s13
	s_add_co_i32 s17, s17, s15
	s_cmp_eq_u32 s12, 0
	v_dual_lshrrev_b32 v4, 2, v3 :: v_dual_bitop2_b32 v10, 63, v3 bitop3:0x40
	v_mov_b32_e32 v5, v21
	s_cselect_b32 s12, ttmp9, s14
	s_cselect_b32 s14, s16, s17
	s_ashr_i32 s13, s12, 31
	s_lshl_b32 s36, s14, 6
	s_mov_b32 s37, s3
	s_lshl_b64 s[38:39], s[12:13], 6
	v_add_nc_u64_e32 v[6:7], s[36:37], v[4:5]
	v_dual_mov_b32 v9, s39 :: v_dual_bitop2_b32 v8, s38, v10 bitop3:0x54
	v_and_b32_e32 v5, 3, v0
	s_clause 0x3
	s_load_b128 s[28:31], s[0:1], 0x78
	s_load_b256 s[12:19], s[0:1], 0x58
	s_load_b64 s[34:35], s[0:1], 0x50
	s_load_b128 s[20:23], s[0:1], 0x10
	s_wait_kmcnt 0x0
	v_mul_u64_e32 v[0:1], s[6:7], v[8:9]
	v_lshrrev_b32_e32 v9, 6, v3
	v_mad_nc_u64_u32 v[6:7], s24, v5, v[6:7]
	v_dual_lshlrev_b32 v8, 3, v5 :: v_dual_lshlrev_b32 v10, 3, v10
	v_lshl_add_u32 v41, v20, 5, 0x800
	v_dual_mov_b32 v3, v21 :: v_dual_lshlrev_b32 v39, 3, v2
	s_delay_alu instid0(VALU_DEP_3) | instskip(NEXT) | instid1(VALU_DEP_4)
	v_lshl_or_b32 v8, v4, 5, v8
	v_lshl_or_b32 v35, v9, 9, v10
	s_delay_alu instid0(VALU_DEP_3)
	v_add_nc_u64_e32 v[26:27], s[38:39], v[2:3]
	v_mad_u32 v7, s25, v5, v7
	v_add_nc_u64_e32 v[4:5], s[36:37], v[20:21]
	v_lshlrev_b32_e32 v20, 3, v9
	v_add_nc_u32_e32 v37, 0x800, v8
	s_or_b32 s0, s34, s35
	s_mov_b32 s6, s23
	s_bitset0_b32 s0, 31
	s_delay_alu instid0(VALU_DEP_3)
	v_mul_u64_e32 v[22:23], s[28:29], v[4:5]
	v_mul_u64_e32 v[24:25], s[14:15], v[4:5]
	s_cmp_eq_u32 s0, 0
	v_cmp_gt_i64_e64 s0, s[20:21], 0
	s_cselect_b32 s1, -1, 0
	s_lshl_b64 s[40:41], s[14:15], 4
	s_lshl_b64 s[14:15], s[8:9], 3
	;; [unrolled: 1-line block ×3, first 2 shown]
	s_mov_b32 s7, s22
	s_mov_b32 s8, s23
	v_cndmask_b32_e64 v2, 0, 1, s0
	v_lshl_add_u64 v[0:1], v[0:1], 3, s[14:15]
	s_mov_b32 s9, s35
	s_mov_b32 s14, s22
	;; [unrolled: 1-line block ×3, first 2 shown]
	v_cmp_ne_u32_e64 s0, 1, v2
	v_add_nc_u64_e32 v[28:29], v[0:1], v[20:21]
	v_lshlrev_b64_e32 v[0:1], 3, v[6:7]
	s_mov_b32 s28, s34
	s_mov_b32 s29, s34
	;; [unrolled: 1-line block ×4, first 2 shown]
	s_lshl_b64 s[24:25], s[24:25], 5
	v_or_b32_e32 v28, 4, v28
	v_lshl_add_u64 v[30:31], s[26:27], 3, v[0:1]
	s_lshl_b64 s[26:27], s[30:31], 3
	s_lshl_b64 s[16:17], s[16:17], 3
	s_lshl_b64 s[30:31], s[40:41], 3
	s_lshl_b64 s[38:39], s[38:39], 3
	s_branch .LBB229_3
.LBB229_2:                              ;   in Loop: Header=BB229_3 Depth=1
	s_add_co_i32 s2, s2, 0x10000
	flat_store_b32 v[2:3], v4 offset:4
	s_cmp_lt_i32 s2, s33
	s_cbranch_scc0 .LBB229_10
.LBB229_3:                              ; =>This Loop Header: Depth=1
                                        ;     Child Loop BB229_5 Depth 2
	s_wait_xcnt 0x1
	v_dual_mov_b32 v0, s2 :: v_dual_mov_b32 v33, 0
	v_dual_mov_b32 v32, 0 :: v_dual_mov_b32 v90, 0
	;; [unrolled: 1-line block ×3, first 2 shown]
	s_clause 0x1
	global_load_b64 v[68:69], v0, s[12:13] scale_offset
	global_load_b64 v[92:93], v0, s[18:19] scale_offset
	v_dual_mov_b32 v88, 0 :: v_dual_mov_b32 v82, 0
	v_dual_mov_b32 v84, 0 :: v_dual_mov_b32 v78, 0
	;; [unrolled: 1-line block ×13, first 2 shown]
	v_mov_b32_e32 v34, 0
	s_and_b32 vcc_lo, exec_lo, s0
	s_cbranch_vccnz .LBB229_6
; %bb.4:                                ;   in Loop: Header=BB229_3 Depth=1
	s_lshl_b64 s[40:41], s[2:3], 3
	v_dual_mov_b32 v34, 0 :: v_dual_mov_b32 v20, 0
	s_add_nc_u64 s[42:43], s[4:5], s[40:41]
	s_add_nc_u64 s[40:41], s[10:11], s[40:41]
	s_clause 0x1
	global_load_b64 v[0:1], v21, s[42:43]
	global_load_b64 v[2:3], v21, s[40:41]
	v_dual_mov_b32 v38, 0 :: v_dual_mov_b32 v36, 0
	v_dual_mov_b32 v42, 0 :: v_dual_mov_b32 v40, 0
	;; [unrolled: 1-line block ×15, first 2 shown]
	s_wait_xcnt 0x0
	s_mov_b64 s[40:41], 0
	s_wait_loadcnt 0x1
	v_add_nc_u64_e32 v[96:97], v[0:1], v[28:29]
	s_wait_loadcnt 0x0
	v_add_nc_u64_e32 v[98:99], v[2:3], v[30:31]
.LBB229_5:                              ;   Parent Loop BB229_3 Depth=1
                                        ; =>  This Inner Loop Header: Depth=2
	flat_load_b64 v[0:1], v[96:97] offset:-4
	s_add_nc_u64 s[40:41], s[40:41], 4
	s_wait_xcnt 0x0
	v_add_nc_u64_e32 v[96:97], 32, v[96:97]
	v_cmp_lt_i64_e64 s42, s[40:41], s[20:21]
	s_and_b32 vcc_lo, exec_lo, s42
	s_wait_loadcnt_dscnt 0x0
	v_xor_b32_e32 v1, 0x80000000, v1
	ds_store_b64 v35, v[0:1]
	flat_load_b64 v[0:1], v[98:99]
	s_wait_xcnt 0x0
	v_add_nc_u64_e32 v[98:99], s[24:25], v[98:99]
	s_wait_loadcnt_dscnt 0x0
	ds_store_b64 v37, v[0:1]
	s_wait_dscnt 0x0
	s_barrier_signal -1
	s_barrier_wait -1
	ds_load_2addr_b64 v[0:3], v39 offset1:16
	ds_load_b128 v[8:11], v41
	ds_load_2addr_b64 v[4:7], v39 offset0:32 offset1:48
	ds_load_2addr_b64 v[12:15], v39 offset0:64 offset1:80
	;; [unrolled: 1-line block ×3, first 2 shown]
	ds_load_b128 v[100:103], v41 offset:16
	ds_load_2addr_b64 v[104:107], v39 offset0:128 offset1:144
	ds_load_2addr_b64 v[108:111], v39 offset0:160 offset1:176
	;; [unrolled: 1-line block ×4, first 2 shown]
	ds_load_b128 v[120:123], v41 offset:512
	ds_load_b128 v[124:127], v41 offset:528
	;; [unrolled: 1-line block ×6, first 2 shown]
	s_wait_dscnt 0x0
	s_barrier_signal -1
	s_barrier_wait -1
	v_dual_mul_f32 v43, v9, v1 :: v_dual_mul_f32 v45, v8, v1
	v_dual_mul_f32 v47, v9, v3 :: v_dual_mul_f32 v49, v8, v3
	;; [unrolled: 1-line block ×27, first 2 shown]
	v_dual_fma_f32 v43, v8, v0, -v43 :: v_dual_fmac_f32 v45, v9, v0
	v_dual_fma_f32 v47, v8, v2, -v47 :: v_dual_fmac_f32 v49, v9, v2
	;; [unrolled: 1-line block ×6, first 2 shown]
	v_dual_fma_f32 v67, v10, v16, -v67 :: v_dual_fma_f32 v73, v10, v18, -v73
	v_dual_fmac_f32 v71, v11, v16 :: v_dual_mul_f32 v171, v138, v13
	v_dual_fmac_f32 v75, v11, v18 :: v_dual_fma_f32 v77, v120, v0, -v77
	v_pk_mul_f32 v[8:9], v[136:137], v[6:7] op_sel:[1,1] op_sel_hi:[0,1]
	v_dual_mul_f32 v5, v139, v13 :: v_dual_fmac_f32 v79, v121, v0
	v_dual_mov_b32 v10, v139 :: v_dual_mov_b32 v11, v138
	v_dual_fma_f32 v81, v120, v2, -v81 :: v_dual_fmac_f32 v83, v121, v2
	v_dual_fma_f32 v85, v120, v4, -v85 :: v_dual_fmac_f32 v87, v121, v4
	;; [unrolled: 1-line block ×16, first 2 shown]
	v_dual_fma_f32 v159, v136, v2, -v1 :: v_dual_mul_f32 v161, v101, v107
	v_dual_fmac_f32 v169, v137, v2 :: v_dual_mul_f32 v163, v100, v107
	v_dual_fma_f32 v165, v136, v4, -v3 :: v_dual_fmac_f32 v170, v137, v4
	v_pk_fma_f32 v[0:1], v[136:137], v[6:7], v[8:9] neg_lo:[0,0,1] neg_hi:[0,0,1]
	v_pk_fma_f32 v[2:3], v[136:137], v[6:7], v[8:9] op_sel_hi:[1,0,1]
	v_dual_fma_f32 v137, v138, v12, -v5 :: v_dual_fmac_f32 v171, v139, v12
	v_pk_mul_f32 v[4:5], v[10:11], v[18:19] op_sel:[0,1]
	v_dual_mul_f32 v13, v139, v15 :: v_dual_mul_f32 v123, v138, v15
	v_dual_mul_f32 v15, v139, v17 :: v_dual_mul_f32 v17, v138, v17
	s_delay_alu instid0(VALU_DEP_3)
	v_pk_fma_f32 v[6:7], v[138:139], v[18:19], v[4:5] neg_lo:[0,0,1] neg_hi:[0,0,1]
	v_pk_fma_f32 v[4:5], v[138:139], v[18:19], v[4:5] op_sel_hi:[1,0,1]
	v_dual_mul_f32 v131, v101, v105 :: v_dual_mul_f32 v155, v100, v105
	v_dual_mul_f32 v1, v101, v109 :: v_dual_mul_f32 v2, v100, v109
	;; [unrolled: 1-line block ×4, first 2 shown]
	v_dual_mul_f32 v136, v100, v111 :: v_dual_fma_f32 v167, v138, v14, -v13
	v_fmac_f32_e32 v123, v139, v14
	v_dual_mul_f32 v9, v103, v113 :: v_dual_mul_f32 v172, v102, v113
	v_dual_fma_f32 v173, v138, v16, -v15 :: v_dual_fmac_f32 v17, v139, v16
	v_mul_f32_e32 v16, v102, v115
	v_dual_mul_f32 v10, v103, v119 :: v_dual_mul_f32 v19, v102, v119
	v_dual_fma_f32 v131, v100, v104, -v131 :: v_dual_fma_f32 v139, v100, v106, -v161
	v_dual_fmac_f32 v163, v101, v106 :: v_dual_fma_f32 v161, v100, v108, -v1
	v_dual_fma_f32 v4, v102, v114, -v4 :: v_dual_fma_f32 v174, v102, v116, -v7
	v_dual_mul_f32 v1, v125, v107 :: v_dual_mul_f32 v7, v125, v109
	v_mul_f32_e32 v175, v124, v109
	v_dual_mul_f32 v11, v125, v105 :: v_dual_mul_f32 v138, v124, v105
	v_dual_fmac_f32 v155, v101, v104 :: v_dual_fma_f32 v100, v100, v110, -v8
	v_dual_fmac_f32 v2, v101, v108 :: v_dual_fmac_f32 v136, v101, v110
	v_dual_fma_f32 v101, v102, v112, -v9 :: v_dual_fmac_f32 v172, v103, v112
	v_dual_fmac_f32 v16, v103, v114 :: v_dual_fmac_f32 v18, v103, v116
	v_dual_fma_f32 v102, v102, v118, -v10 :: v_dual_fmac_f32 v19, v103, v118
	v_dual_mul_f32 v103, v124, v107 :: v_dual_fma_f32 v177, v124, v106, -v1
	v_dual_fma_f32 v178, v124, v108, -v7 :: v_dual_mul_f32 v1, v125, v111
	v_dual_fma_f32 v176, v124, v104, -v11 :: v_dual_fmac_f32 v138, v125, v104
	v_fmac_f32_e32 v175, v125, v108
	s_delay_alu instid0(VALU_DEP_4) | instskip(NEXT) | instid1(VALU_DEP_4)
	v_fmac_f32_e32 v103, v125, v106
	v_dual_fma_f32 v179, v124, v110, -v1 :: v_dual_mul_f32 v124, v124, v111
	v_dual_mul_f32 v1, v127, v113 :: v_dual_mul_f32 v180, v126, v113
	v_dual_mul_f32 v182, v126, v115 :: v_dual_mul_f32 v184, v126, v117
	s_delay_alu instid0(VALU_DEP_2) | instskip(NEXT) | instid1(VALU_DEP_3)
	v_dual_fmac_f32 v124, v125, v110 :: v_dual_fma_f32 v125, v126, v112, -v1
	v_dual_mul_f32 v1, v127, v115 :: v_dual_fmac_f32 v180, v127, v112
	v_dual_mul_f32 v186, v132, v105 :: v_dual_mul_f32 v188, v132, v107
	s_delay_alu instid0(VALU_DEP_2) | instskip(SKIP_3) | instid1(VALU_DEP_3)
	v_dual_mul_f32 v190, v132, v109 :: v_dual_fma_f32 v181, v126, v114, -v1
	v_dual_mul_f32 v1, v127, v117 :: v_dual_fmac_f32 v182, v127, v114
	v_dual_mul_f32 v192, v134, v113 :: v_dual_mul_f32 v194, v134, v115
	v_mul_f32_e32 v196, v134, v117
	v_dual_fma_f32 v183, v126, v116, -v1 :: v_dual_mul_f32 v1, v127, v119
	v_fmac_f32_e32 v184, v127, v116
	v_pk_mul_f32 v[8:9], v[140:141], v[110:111] op_sel:[1,1] op_sel_hi:[0,1]
	v_dual_mov_b32 v12, v143 :: v_dual_mov_b32 v13, v142
	s_delay_alu instid0(VALU_DEP_4) | instskip(SKIP_1) | instid1(VALU_DEP_4)
	v_dual_fma_f32 v185, v126, v118, -v1 :: v_dual_mul_f32 v126, v126, v119
	v_mul_f32_e32 v1, v133, v105
	v_pk_fma_f32 v[10:11], v[140:141], v[110:111], v[8:9] neg_lo:[0,0,1] neg_hi:[0,0,1]
	v_pk_fma_f32 v[8:9], v[140:141], v[110:111], v[8:9] op_sel_hi:[1,0,1]
	v_pk_mul_f32 v[12:13], v[12:13], v[118:119] op_sel:[0,1]
	s_delay_alu instid0(VALU_DEP_4) | instskip(SKIP_2) | instid1(VALU_DEP_4)
	v_dual_fmac_f32 v126, v127, v118 :: v_dual_fma_f32 v127, v132, v104, -v1
	v_dual_mul_f32 v1, v133, v107 :: v_dual_fmac_f32 v186, v133, v104
	v_add_f32_e32 v42, v42, v168
	v_pk_fma_f32 v[14:15], v[142:143], v[118:119], v[12:13] neg_lo:[0,0,1] neg_hi:[0,0,1]
	v_pk_fma_f32 v[12:13], v[142:143], v[118:119], v[12:13] op_sel_hi:[1,0,1]
	s_delay_alu instid0(VALU_DEP_4) | instskip(SKIP_2) | instid1(VALU_DEP_3)
	v_dual_fma_f32 v187, v132, v106, -v1 :: v_dual_mul_f32 v1, v133, v109
	v_dual_fmac_f32 v188, v133, v106 :: v_dual_add_f32 v12, v90, v43
	v_dual_add_f32 v43, v94, v45 :: v_dual_add_f32 v72, v72, v83
	v_dual_fma_f32 v189, v132, v108, -v1 :: v_dual_mul_f32 v1, v133, v111
	v_dual_fmac_f32 v190, v133, v108 :: v_dual_add_f32 v45, v86, v47
	v_dual_add_f32 v47, v88, v49 :: v_dual_add_f32 v49, v82, v51
	s_delay_alu instid0(VALU_DEP_3) | instskip(SKIP_2) | instid1(VALU_DEP_2)
	v_dual_fma_f32 v191, v132, v110, -v1 :: v_dual_mul_f32 v132, v132, v111
	v_dual_mul_f32 v1, v135, v113 :: v_dual_mul_f32 v111, v142, v115
	v_dual_add_f32 v51, v84, v53 :: v_dual_add_f32 v53, v78, v55
	v_dual_fmac_f32 v132, v133, v110 :: v_dual_fma_f32 v133, v134, v112, -v1
	v_dual_mul_f32 v1, v135, v115 :: v_dual_fmac_f32 v192, v135, v112
	v_add_f32_e32 v55, v80, v57
	v_dual_add_f32 v57, v76, v77 :: v_dual_add_f32 v74, v74, v79
	s_delay_alu instid0(VALU_DEP_3) | instskip(SKIP_3) | instid1(VALU_DEP_3)
	v_dual_add_f32 v64, v64, v85 :: v_dual_fma_f32 v193, v134, v114, -v1
	v_dual_mul_f32 v1, v135, v117 :: v_dual_fmac_f32 v194, v135, v114
	v_dual_add_f32 v70, v70, v81 :: v_dual_add_f32 v52, v52, v147
	v_dual_add_f32 v66, v66, v87 :: v_dual_add_f32 v60, v60, v89
	v_dual_fma_f32 v195, v134, v116, -v1 :: v_dual_mul_f32 v1, v135, v119
	v_dual_fmac_f32 v196, v135, v116 :: v_dual_add_f32 v62, v62, v91
	v_dual_add_f32 v56, v56, v145 :: v_dual_add_f32 v58, v58, v152
	s_delay_alu instid0(VALU_DEP_3) | instskip(SKIP_2) | instid1(VALU_DEP_2)
	v_dual_add_f32 v48, v48, v149 :: v_dual_fma_f32 v197, v134, v118, -v1
	v_dual_mul_f32 v134, v134, v119 :: v_dual_mul_f32 v1, v141, v105
	v_dual_mul_f32 v105, v140, v105 :: v_dual_add_f32 v54, v54, v154
	v_dual_add_f32 v44, v44, v128 :: v_dual_fmac_f32 v134, v135, v118
	s_delay_alu instid0(VALU_DEP_3) | instskip(NEXT) | instid1(VALU_DEP_3)
	v_dual_fma_f32 v135, v140, v104, -v1 :: v_dual_mul_f32 v1, v141, v107
	v_dual_fmac_f32 v105, v141, v104 :: v_dual_mul_f32 v107, v140, v107
	v_dual_add_f32 v50, v50, v156 :: v_dual_add_f32 v40, v40, v157
	s_delay_alu instid0(VALU_DEP_3) | instskip(NEXT) | instid1(VALU_DEP_3)
	v_dual_fma_f32 v104, v140, v106, -v1 :: v_dual_mul_f32 v1, v141, v109
	v_dual_mul_f32 v109, v140, v109 :: v_dual_fmac_f32 v107, v141, v106
	v_dual_add_f32 v46, v46, v158 :: v_dual_add_f32 v36, v36, v159
	s_delay_alu instid0(VALU_DEP_3) | instskip(NEXT) | instid1(VALU_DEP_3)
	v_dual_fma_f32 v106, v140, v108, -v1 :: v_dual_mul_f32 v1, v143, v113
	v_dual_fmac_f32 v109, v141, v108 :: v_dual_mul_f32 v108, v142, v113
	v_mul_f32_e32 v113, v142, v117
	v_dual_add_f32 v20, v20, v165 :: v_dual_add_f32 v34, v34, v170
	s_delay_alu instid0(VALU_DEP_3) | instskip(NEXT) | instid1(VALU_DEP_3)
	v_dual_fma_f32 v8, v142, v112, -v1 :: v_dual_fmac_f32 v108, v143, v112
	v_dual_mul_f32 v1, v143, v115 :: v_dual_fmac_f32 v113, v143, v116
	v_dual_mov_b32 v7, v5 :: v_dual_mov_b32 v15, v13
	s_delay_alu instid0(VALU_DEP_2) | instskip(SKIP_3) | instid1(VALU_DEP_3)
	v_dual_mov_b32 v11, v9 :: v_dual_fma_f32 v110, v142, v114, -v1
	v_dual_fmac_f32 v111, v143, v114 :: v_dual_mul_f32 v1, v143, v117
	v_dual_add_f32 v5, v12, v59 :: v_dual_add_f32 v9, v43, v61
	v_dual_add_f32 v12, v45, v63 :: v_dual_add_f32 v13, v47, v65
	v_dual_fma_f32 v112, v142, v116, -v1 :: v_dual_mov_b32 v1, v3
	v_add_f32_e32 v3, v38, v169
	v_dual_add_f32 v38, v53, v73 :: v_dual_add_f32 v43, v55, v75
	v_add_f32_e32 v45, v57, v95
	s_delay_alu instid0(VALU_DEP_4)
	v_pk_add_f32 v[0:1], v[32:33], v[0:1]
	v_dual_add_f32 v32, v49, v67 :: v_dual_add_f32 v47, v74, v144
	v_dual_add_f32 v33, v51, v71 :: v_dual_add_f32 v49, v70, v120
	v_add_f32_e32 v51, v72, v146
	v_dual_add_f32 v53, v64, v121 :: v_dual_add_f32 v55, v66, v148
	v_dual_add_f32 v57, v60, v122 :: v_dual_add_f32 v58, v58, v160
	;; [unrolled: 1-line block ×9, first 2 shown]
	v_pk_add_f32 v[0:1], v[0:1], v[6:7]
	v_add_f32_e32 v5, v5, v131
	v_add_f32_e32 v6, v9, v155
	v_dual_add_f32 v7, v12, v139 :: v_dual_add_f32 v2, v33, v2
	v_dual_add_f32 v9, v13, v163 :: v_dual_add_f32 v12, v32, v161
	v_add_f32_e32 v13, v38, v100
	v_add_f32_e32 v32, v43, v136
	v_dual_add_f32 v33, v45, v176 :: v_dual_add_f32 v34, v47, v138
	v_dual_add_f32 v38, v49, v177 :: v_dual_add_f32 v43, v51, v103
	;; [unrolled: 1-line block ×11, first 2 shown]
	v_pk_add_f32 v[0:1], v[0:1], v[10:11]
	v_dual_add_f32 v90, v5, v101 :: v_dual_add_f32 v94, v6, v172
	v_dual_add_f32 v86, v7, v4 :: v_dual_add_f32 v82, v12, v174
	;; [unrolled: 1-line block ×15, first 2 shown]
	v_pk_add_f32 v[32:33], v[0:1], v[14:15]
	s_cbranch_vccnz .LBB229_5
.LBB229_6:                              ;   in Loop: Header=BB229_3 Depth=1
	s_wait_loadcnt 0x0
	s_wait_xcnt 0x0
	v_add_nc_u64_e32 v[0:1], s[26:27], v[92:93]
	s_and_not1_b32 vcc_lo, exec_lo, s1
	s_mov_b32 s40, -1
                                        ; implicit-def: $vgpr4
                                        ; implicit-def: $vgpr2_vgpr3
	s_cbranch_vccz .LBB229_8
; %bb.7:                                ;   in Loop: Header=BB229_3 Depth=1
	s_and_not1_b32 vcc_lo, exec_lo, s40
	s_cbranch_vccnz .LBB229_2
	s_branch .LBB229_9
.LBB229_8:                              ;   in Loop: Header=BB229_3 Depth=1
	v_mov_b64_e32 v[2:3], s[6:7]
	v_mov_b64_e32 v[8:9], s[22:23]
	v_lshlrev_b64_e32 v[4:5], 3, v[26:27]
	v_lshl_add_u64 v[6:7], v[22:23], 3, v[0:1]
	s_delay_alu instid0(VALU_DEP_4)
	v_pk_mul_f32 v[10:11], v[94:95], v[2:3] op_sel_hi:[0,1]
	v_pk_mul_f32 v[12:13], v[88:89], v[2:3] op_sel_hi:[0,1]
	;; [unrolled: 1-line block ×4, first 2 shown]
	v_add_nc_u64_e32 v[18:19], v[6:7], v[4:5]
	v_pk_fma_f32 v[92:93], v[90:91], v[8:9], v[10:11] neg_lo:[0,0,1] neg_hi:[0,0,1]
	v_pk_fma_f32 v[10:11], v[90:91], v[8:9], v[10:11] op_sel_hi:[0,1,1]
	v_pk_fma_f32 v[96:97], v[86:87], v[8:9], v[12:13] op_sel_hi:[0,1,1]
	;; [unrolled: 1-line block ×4, first 2 shown]
	v_pk_fma_f32 v[12:13], v[86:87], v[8:9], v[12:13] neg_lo:[0,0,1] neg_hi:[0,0,1]
	s_delay_alu instid0(VALU_DEP_4)
	v_dual_mov_b32 v93, v11 :: v_dual_mov_b32 v13, v97
	v_pk_fma_f32 v[10:11], v[82:83], v[8:9], v[14:15] neg_lo:[0,0,1] neg_hi:[0,0,1]
	v_mov_b32_e32 v11, v99
	v_pk_fma_f32 v[14:15], v[78:79], v[8:9], v[16:17] neg_lo:[0,0,1] neg_hi:[0,0,1]
	v_mov_b32_e32 v15, v101
	v_pk_mul_f32 v[16:17], v[74:75], v[2:3] op_sel_hi:[0,1]
	s_clause 0x3
	flat_store_b64 v[18:19], v[92:93]
	flat_store_b64 v[18:19], v[12:13] offset:128
	flat_store_b64 v[18:19], v[10:11] offset:256
	flat_store_b64 v[18:19], v[14:15] offset:384
	s_wait_xcnt 0x1
	v_pk_mul_f32 v[10:11], v[72:73], v[2:3] op_sel_hi:[0,1]
	s_wait_xcnt 0x0
	v_pk_mul_f32 v[18:19], v[66:67], v[2:3] op_sel_hi:[0,1]
	v_add_nc_u64_e32 v[6:7], s[38:39], v[6:7]
	v_pk_fma_f32 v[14:15], v[76:77], v[8:9], v[16:17] op_sel_hi:[0,1,1]
	v_pk_mul_f32 v[96:97], v[62:63], v[2:3] op_sel_hi:[0,1]
	v_pk_fma_f32 v[92:93], v[70:71], v[8:9], v[10:11] op_sel_hi:[0,1,1]
	v_pk_fma_f32 v[16:17], v[76:77], v[8:9], v[16:17] neg_lo:[0,0,1] neg_hi:[0,0,1]
	v_pk_fma_f32 v[10:11], v[70:71], v[8:9], v[10:11] neg_lo:[0,0,1] neg_hi:[0,0,1]
	v_mov_b32_e32 v17, v15
	v_pk_fma_f32 v[14:15], v[64:65], v[8:9], v[18:19] op_sel_hi:[0,1,1]
	v_mov_b32_e32 v11, v93
	v_pk_fma_f32 v[92:93], v[60:61], v[8:9], v[96:97] op_sel_hi:[0,1,1]
	v_add_nc_u64_e32 v[12:13], v[6:7], v[4:5]
	v_pk_fma_f32 v[18:19], v[64:65], v[8:9], v[18:19] neg_lo:[0,0,1] neg_hi:[0,0,1]
	v_mov_b32_e32 v19, v15
	v_pk_fma_f32 v[14:15], v[60:61], v[8:9], v[96:97] neg_lo:[0,0,1] neg_hi:[0,0,1]
	v_mov_b32_e32 v15, v93
	v_pk_mul_f32 v[92:93], v[58:59], v[2:3] op_sel_hi:[0,1]
	v_add_nc_u64_e32 v[6:7], s[38:39], v[6:7]
	s_clause 0x3
	flat_store_b64 v[12:13], v[16:17]
	flat_store_b64 v[12:13], v[10:11] offset:128
	flat_store_b64 v[12:13], v[18:19] offset:256
	;; [unrolled: 1-line block ×3, first 2 shown]
	s_wait_xcnt 0x0
	v_pk_mul_f32 v[12:13], v[54:55], v[2:3] op_sel_hi:[0,1]
	v_pk_mul_f32 v[16:17], v[50:51], v[2:3] op_sel_hi:[0,1]
	v_pk_fma_f32 v[14:15], v[56:57], v[8:9], v[92:93] op_sel_hi:[0,1,1]
	v_pk_fma_f32 v[18:19], v[56:57], v[8:9], v[92:93] neg_lo:[0,0,1] neg_hi:[0,0,1]
	v_pk_mul_f32 v[92:93], v[46:47], v[2:3] op_sel_hi:[0,1]
	v_pk_fma_f32 v[96:97], v[52:53], v[8:9], v[12:13] op_sel_hi:[0,1,1]
	v_add_nc_u64_e32 v[10:11], v[6:7], v[4:5]
	v_mov_b32_e32 v19, v15
	v_pk_fma_f32 v[14:15], v[48:49], v[8:9], v[16:17] op_sel_hi:[0,1,1]
	v_pk_fma_f32 v[98:99], v[44:45], v[8:9], v[92:93] op_sel_hi:[0,1,1]
	v_pk_fma_f32 v[12:13], v[52:53], v[8:9], v[12:13] neg_lo:[0,0,1] neg_hi:[0,0,1]
	v_mov_b32_e32 v13, v97
	v_pk_fma_f32 v[16:17], v[48:49], v[8:9], v[16:17] neg_lo:[0,0,1] neg_hi:[0,0,1]
	v_mov_b32_e32 v17, v15
	;; [unrolled: 2-line block ×3, first 2 shown]
	v_add_nc_u64_e32 v[6:7], s[38:39], v[6:7]
	v_pk_mul_f32 v[92:93], v[42:43], v[2:3] op_sel_hi:[0,1]
	s_clause 0x3
	flat_store_b64 v[10:11], v[18:19]
	flat_store_b64 v[10:11], v[12:13] offset:128
	flat_store_b64 v[10:11], v[16:17] offset:256
	;; [unrolled: 1-line block ×3, first 2 shown]
	s_wait_xcnt 0x0
	v_pk_mul_f32 v[10:11], v[38:39], v[2:3] op_sel_hi:[0,1]
	v_pk_fma_f32 v[12:13], v[40:41], v[8:9], v[92:93] op_sel_hi:[0,1,1]
	v_add_nc_u64_e32 v[6:7], v[6:7], v[4:5]
	v_pk_mul_f32 v[4:5], v[34:35], v[2:3] op_sel_hi:[0,1]
	s_delay_alu instid0(VALU_DEP_4)
	v_pk_fma_f32 v[16:17], v[36:37], v[8:9], v[10:11] op_sel_hi:[0,1,1]
	v_pk_fma_f32 v[14:15], v[40:41], v[8:9], v[92:93] neg_lo:[0,0,1] neg_hi:[0,0,1]
	v_pk_fma_f32 v[10:11], v[36:37], v[8:9], v[10:11] neg_lo:[0,0,1] neg_hi:[0,0,1]
	v_mov_b32_e32 v15, v13
	v_pk_fma_f32 v[12:13], v[20:21], v[8:9], v[4:5] op_sel_hi:[0,1,1]
	v_mov_b32_e32 v11, v17
	v_pk_mul_f32 v[16:17], v[32:33], v[2:3]
	v_mul_f32_e32 v12, s22, v32
	v_add_nc_u64_e32 v[2:3], 0x180, v[6:7]
	v_pk_fma_f32 v[8:9], v[20:21], v[8:9], v[4:5] neg_lo:[0,0,1] neg_hi:[0,0,1]
	s_delay_alu instid0(VALU_DEP_4) | instskip(NEXT) | instid1(VALU_DEP_4)
	v_dual_mov_b32 v9, v13 :: v_dual_add_f32 v4, v16, v17
	v_fma_f32 v5, -v33, s6, v12
	s_clause 0x3
	flat_store_b64 v[6:7], v[14:15]
	flat_store_b64 v[6:7], v[10:11] offset:128
	flat_store_b64 v[6:7], v[8:9] offset:256
	flat_store_b32 v[6:7], v5 offset:384
	s_cbranch_execnz .LBB229_2
.LBB229_9:                              ;   in Loop: Header=BB229_3 Depth=1
	v_add_nc_u64_e32 v[2:3], s[16:17], v[68:69]
	s_wait_xcnt 0x0
	v_lshlrev_b64_e32 v[4:5], 3, v[26:27]
	v_mov_b64_e32 v[10:11], s[6:7]
	v_mov_b64_e32 v[12:13], s[36:37]
	;; [unrolled: 1-line block ×4, first 2 shown]
	v_lshl_add_u64 v[0:1], v[22:23], 3, v[0:1]
	v_lshl_add_u64 v[2:3], v[24:25], 3, v[2:3]
	v_pk_mul_f32 v[16:17], v[94:95], v[10:11] op_sel_hi:[0,1]
	s_delay_alu instid0(VALU_DEP_2) | instskip(SKIP_1) | instid1(VALU_DEP_3)
	v_add_nc_u64_e32 v[6:7], v[2:3], v[4:5]
	v_add_nc_u64_e32 v[2:3], s[30:31], v[2:3]
	v_pk_fma_f32 v[92:93], v[90:91], v[14:15], v[16:17] op_sel_hi:[0,1,1]
	v_pk_fma_f32 v[16:17], v[90:91], v[14:15], v[16:17] neg_lo:[0,0,1] neg_hi:[0,0,1]
	flat_load_b64 v[8:9], v[6:7]
	s_wait_loadcnt_dscnt 0x0
	v_pk_mul_f32 v[68:69], v[8:9], v[12:13]
	s_delay_alu instid0(VALU_DEP_1)
	v_pk_fma_f32 v[94:95], v[8:9], v[18:19], v[68:69] op_sel:[0,0,1] op_sel_hi:[1,1,0]
	v_pk_fma_f32 v[8:9], v[8:9], v[18:19], v[68:69] op_sel:[0,0,1] op_sel_hi:[1,1,0] neg_lo:[0,0,1] neg_hi:[0,0,1]
	v_mov_b32_e32 v17, v93
	v_add_nc_u64_e32 v[68:69], v[0:1], v[4:5]
	v_add_nc_u64_e32 v[0:1], s[38:39], v[0:1]
	v_mov_b32_e32 v9, v95
	s_delay_alu instid0(VALU_DEP_1)
	v_pk_add_f32 v[8:9], v[16:17], v[8:9]
	v_pk_mul_f32 v[16:17], v[88:89], v[10:11] op_sel_hi:[0,1]
	flat_store_b64 v[68:69], v[8:9]
	flat_load_b64 v[8:9], v[6:7] offset:128
	v_pk_fma_f32 v[90:91], v[86:87], v[14:15], v[16:17] op_sel_hi:[0,1,1]
	v_pk_fma_f32 v[16:17], v[86:87], v[14:15], v[16:17] neg_lo:[0,0,1] neg_hi:[0,0,1]
	s_wait_loadcnt_dscnt 0x0
	v_pk_mul_f32 v[88:89], v[8:9], v[12:13]
	s_delay_alu instid0(VALU_DEP_1) | instskip(SKIP_1) | instid1(VALU_DEP_2)
	v_pk_fma_f32 v[92:93], v[8:9], v[18:19], v[88:89] op_sel:[0,0,1] op_sel_hi:[1,1,0]
	v_pk_fma_f32 v[8:9], v[8:9], v[18:19], v[88:89] op_sel:[0,0,1] op_sel_hi:[1,1,0] neg_lo:[0,0,1] neg_hi:[0,0,1]
	v_dual_mov_b32 v17, v91 :: v_dual_mov_b32 v9, v93
	s_delay_alu instid0(VALU_DEP_1)
	v_pk_add_f32 v[8:9], v[16:17], v[8:9]
	v_pk_mul_f32 v[16:17], v[84:85], v[10:11] op_sel_hi:[0,1]
	flat_store_b64 v[68:69], v[8:9] offset:128
	flat_load_b64 v[8:9], v[6:7] offset:256
	v_pk_fma_f32 v[86:87], v[82:83], v[14:15], v[16:17] op_sel_hi:[0,1,1]
	v_pk_fma_f32 v[16:17], v[82:83], v[14:15], v[16:17] neg_lo:[0,0,1] neg_hi:[0,0,1]
	s_wait_loadcnt_dscnt 0x0
	v_pk_mul_f32 v[84:85], v[8:9], v[12:13]
	s_delay_alu instid0(VALU_DEP_1) | instskip(SKIP_1) | instid1(VALU_DEP_2)
	v_pk_fma_f32 v[88:89], v[8:9], v[18:19], v[84:85] op_sel:[0,0,1] op_sel_hi:[1,1,0]
	v_pk_fma_f32 v[8:9], v[8:9], v[18:19], v[84:85] op_sel:[0,0,1] op_sel_hi:[1,1,0] neg_lo:[0,0,1] neg_hi:[0,0,1]
	v_dual_mov_b32 v17, v87 :: v_dual_mov_b32 v9, v89
	s_delay_alu instid0(VALU_DEP_1) | instskip(SKIP_4) | instid1(VALU_DEP_1)
	v_pk_add_f32 v[8:9], v[16:17], v[8:9]
	flat_store_b64 v[68:69], v[8:9] offset:256
	flat_load_b64 v[6:7], v[6:7] offset:384
	s_wait_xcnt 0x1
	v_pk_mul_f32 v[8:9], v[80:81], v[10:11] op_sel_hi:[0,1]
	v_pk_fma_f32 v[80:81], v[78:79], v[14:15], v[8:9] op_sel_hi:[0,1,1]
	v_pk_fma_f32 v[8:9], v[78:79], v[14:15], v[8:9] neg_lo:[0,0,1] neg_hi:[0,0,1]
	s_wait_loadcnt_dscnt 0x0
	v_pk_mul_f32 v[16:17], v[6:7], v[12:13]
	s_delay_alu instid0(VALU_DEP_1)
	v_pk_fma_f32 v[82:83], v[6:7], v[18:19], v[16:17] op_sel:[0,0,1] op_sel_hi:[1,1,0]
	s_wait_xcnt 0x0
	v_pk_fma_f32 v[6:7], v[6:7], v[18:19], v[16:17] op_sel:[0,0,1] op_sel_hi:[1,1,0] neg_lo:[0,0,1] neg_hi:[0,0,1]
	v_mov_b32_e32 v9, v81
	v_add_nc_u64_e32 v[16:17], v[2:3], v[4:5]
	v_add_nc_u64_e32 v[2:3], s[30:31], v[2:3]
	v_mov_b32_e32 v7, v83
	s_delay_alu instid0(VALU_DEP_1)
	v_pk_add_f32 v[6:7], v[8:9], v[6:7]
	v_pk_mul_f32 v[8:9], v[74:75], v[10:11] op_sel_hi:[0,1]
	flat_store_b64 v[68:69], v[6:7] offset:384
	flat_load_b64 v[6:7], v[16:17]
	v_pk_fma_f32 v[74:75], v[76:77], v[14:15], v[8:9] op_sel_hi:[0,1,1]
	v_pk_fma_f32 v[8:9], v[76:77], v[14:15], v[8:9] neg_lo:[0,0,1] neg_hi:[0,0,1]
	s_wait_loadcnt_dscnt 0x0
	v_pk_mul_f32 v[68:69], v[6:7], v[12:13]
	s_delay_alu instid0(VALU_DEP_1)
	v_pk_fma_f32 v[78:79], v[6:7], v[18:19], v[68:69] op_sel:[0,0,1] op_sel_hi:[1,1,0]
	v_pk_fma_f32 v[6:7], v[6:7], v[18:19], v[68:69] op_sel:[0,0,1] op_sel_hi:[1,1,0] neg_lo:[0,0,1] neg_hi:[0,0,1]
	v_mov_b32_e32 v9, v75
	v_add_nc_u64_e32 v[68:69], v[0:1], v[4:5]
	v_add_nc_u64_e32 v[0:1], s[38:39], v[0:1]
	v_mov_b32_e32 v7, v79
	s_delay_alu instid0(VALU_DEP_1)
	v_pk_add_f32 v[6:7], v[8:9], v[6:7]
	v_pk_mul_f32 v[8:9], v[72:73], v[10:11] op_sel_hi:[0,1]
	flat_store_b64 v[68:69], v[6:7]
	flat_load_b64 v[6:7], v[16:17] offset:128
	v_pk_fma_f32 v[74:75], v[70:71], v[14:15], v[8:9] op_sel_hi:[0,1,1]
	v_pk_fma_f32 v[8:9], v[70:71], v[14:15], v[8:9] neg_lo:[0,0,1] neg_hi:[0,0,1]
	s_wait_loadcnt_dscnt 0x0
	v_pk_mul_f32 v[72:73], v[6:7], v[12:13]
	s_delay_alu instid0(VALU_DEP_1) | instskip(SKIP_1) | instid1(VALU_DEP_2)
	v_pk_fma_f32 v[76:77], v[6:7], v[18:19], v[72:73] op_sel:[0,0,1] op_sel_hi:[1,1,0]
	v_pk_fma_f32 v[6:7], v[6:7], v[18:19], v[72:73] op_sel:[0,0,1] op_sel_hi:[1,1,0] neg_lo:[0,0,1] neg_hi:[0,0,1]
	v_dual_mov_b32 v9, v75 :: v_dual_mov_b32 v7, v77
	s_delay_alu instid0(VALU_DEP_1)
	v_pk_add_f32 v[6:7], v[8:9], v[6:7]
	v_pk_mul_f32 v[8:9], v[66:67], v[10:11] op_sel_hi:[0,1]
	flat_store_b64 v[68:69], v[6:7] offset:128
	flat_load_b64 v[6:7], v[16:17] offset:256
	v_pk_fma_f32 v[70:71], v[64:65], v[14:15], v[8:9] op_sel_hi:[0,1,1]
	v_pk_fma_f32 v[8:9], v[64:65], v[14:15], v[8:9] neg_lo:[0,0,1] neg_hi:[0,0,1]
	s_wait_loadcnt_dscnt 0x0
	v_pk_mul_f32 v[66:67], v[6:7], v[12:13]
	s_delay_alu instid0(VALU_DEP_1) | instskip(SKIP_1) | instid1(VALU_DEP_2)
	v_pk_fma_f32 v[72:73], v[6:7], v[18:19], v[66:67] op_sel:[0,0,1] op_sel_hi:[1,1,0]
	v_pk_fma_f32 v[6:7], v[6:7], v[18:19], v[66:67] op_sel:[0,0,1] op_sel_hi:[1,1,0] neg_lo:[0,0,1] neg_hi:[0,0,1]
	v_dual_mov_b32 v9, v71 :: v_dual_mov_b32 v7, v73
	s_delay_alu instid0(VALU_DEP_1)
	v_pk_add_f32 v[6:7], v[8:9], v[6:7]
	v_pk_mul_f32 v[8:9], v[62:63], v[10:11] op_sel_hi:[0,1]
	flat_store_b64 v[68:69], v[6:7] offset:256
	flat_load_b64 v[6:7], v[16:17] offset:384
	v_pk_fma_f32 v[62:63], v[60:61], v[14:15], v[8:9] op_sel_hi:[0,1,1]
	v_pk_fma_f32 v[8:9], v[60:61], v[14:15], v[8:9] neg_lo:[0,0,1] neg_hi:[0,0,1]
	s_wait_loadcnt_dscnt 0x0
	s_wait_xcnt 0x0
	v_pk_mul_f32 v[16:17], v[6:7], v[12:13]
	s_delay_alu instid0(VALU_DEP_1)
	v_pk_fma_f32 v[64:65], v[6:7], v[18:19], v[16:17] op_sel:[0,0,1] op_sel_hi:[1,1,0]
	v_pk_fma_f32 v[6:7], v[6:7], v[18:19], v[16:17] op_sel:[0,0,1] op_sel_hi:[1,1,0] neg_lo:[0,0,1] neg_hi:[0,0,1]
	v_mov_b32_e32 v9, v63
	v_add_nc_u64_e32 v[16:17], v[2:3], v[4:5]
	v_add_nc_u64_e32 v[2:3], s[30:31], v[2:3]
	v_mov_b32_e32 v7, v65
	s_delay_alu instid0(VALU_DEP_1) | instskip(SKIP_1) | instid1(VALU_DEP_4)
	v_pk_add_f32 v[6:7], v[8:9], v[6:7]
	v_pk_mul_f32 v[8:9], v[58:59], v[10:11] op_sel_hi:[0,1]
	v_add_nc_u64_e32 v[2:3], v[2:3], v[4:5]
	flat_store_b64 v[68:69], v[6:7] offset:384
	flat_load_b64 v[6:7], v[16:17]
	v_pk_fma_f32 v[60:61], v[56:57], v[14:15], v[8:9] op_sel_hi:[0,1,1]
	v_pk_fma_f32 v[8:9], v[56:57], v[14:15], v[8:9] neg_lo:[0,0,1] neg_hi:[0,0,1]
	v_add_nc_u64_e32 v[56:57], v[0:1], v[4:5]
	v_add_nc_u64_e32 v[0:1], s[38:39], v[0:1]
	s_delay_alu instid0(VALU_DEP_1) | instskip(SKIP_2) | instid1(VALU_DEP_1)
	v_add_nc_u64_e32 v[0:1], v[0:1], v[4:5]
	s_wait_loadcnt_dscnt 0x0
	v_pk_mul_f32 v[58:59], v[6:7], v[12:13]
	v_pk_fma_f32 v[62:63], v[6:7], v[18:19], v[58:59] op_sel:[0,0,1] op_sel_hi:[1,1,0]
	v_pk_fma_f32 v[6:7], v[6:7], v[18:19], v[58:59] op_sel:[0,0,1] op_sel_hi:[1,1,0] neg_lo:[0,0,1] neg_hi:[0,0,1]
	s_delay_alu instid0(VALU_DEP_2) | instskip(NEXT) | instid1(VALU_DEP_1)
	v_dual_mov_b32 v9, v61 :: v_dual_mov_b32 v7, v63
	v_pk_add_f32 v[6:7], v[8:9], v[6:7]
	v_pk_mul_f32 v[8:9], v[54:55], v[10:11] op_sel_hi:[0,1]
	flat_store_b64 v[56:57], v[6:7]
	flat_load_b64 v[6:7], v[16:17] offset:128
	v_pk_fma_f32 v[58:59], v[52:53], v[14:15], v[8:9] op_sel_hi:[0,1,1]
	v_pk_fma_f32 v[8:9], v[52:53], v[14:15], v[8:9] neg_lo:[0,0,1] neg_hi:[0,0,1]
	s_wait_loadcnt_dscnt 0x0
	v_pk_mul_f32 v[54:55], v[6:7], v[12:13]
	s_delay_alu instid0(VALU_DEP_1) | instskip(SKIP_1) | instid1(VALU_DEP_2)
	v_pk_fma_f32 v[60:61], v[6:7], v[18:19], v[54:55] op_sel:[0,0,1] op_sel_hi:[1,1,0]
	v_pk_fma_f32 v[6:7], v[6:7], v[18:19], v[54:55] op_sel:[0,0,1] op_sel_hi:[1,1,0] neg_lo:[0,0,1] neg_hi:[0,0,1]
	v_dual_mov_b32 v9, v59 :: v_dual_mov_b32 v7, v61
	s_delay_alu instid0(VALU_DEP_1)
	v_pk_add_f32 v[6:7], v[8:9], v[6:7]
	v_pk_mul_f32 v[8:9], v[50:51], v[10:11] op_sel_hi:[0,1]
	flat_store_b64 v[56:57], v[6:7] offset:128
	flat_load_b64 v[6:7], v[16:17] offset:256
	v_pk_fma_f32 v[52:53], v[48:49], v[14:15], v[8:9] op_sel_hi:[0,1,1]
	v_pk_fma_f32 v[8:9], v[48:49], v[14:15], v[8:9] neg_lo:[0,0,1] neg_hi:[0,0,1]
	s_wait_loadcnt_dscnt 0x0
	v_pk_mul_f32 v[50:51], v[6:7], v[12:13]
	s_delay_alu instid0(VALU_DEP_1) | instskip(SKIP_1) | instid1(VALU_DEP_2)
	v_pk_fma_f32 v[54:55], v[6:7], v[18:19], v[50:51] op_sel:[0,0,1] op_sel_hi:[1,1,0]
	v_pk_fma_f32 v[6:7], v[6:7], v[18:19], v[50:51] op_sel:[0,0,1] op_sel_hi:[1,1,0] neg_lo:[0,0,1] neg_hi:[0,0,1]
	v_dual_mov_b32 v9, v53 :: v_dual_mov_b32 v7, v55
	s_delay_alu instid0(VALU_DEP_1)
	v_pk_add_f32 v[6:7], v[8:9], v[6:7]
	v_pk_mul_f32 v[8:9], v[46:47], v[10:11] op_sel_hi:[0,1]
	flat_store_b64 v[56:57], v[6:7] offset:256
	flat_load_b64 v[6:7], v[16:17] offset:384
	v_pk_fma_f32 v[46:47], v[44:45], v[14:15], v[8:9] op_sel_hi:[0,1,1]
	v_pk_fma_f32 v[8:9], v[44:45], v[14:15], v[8:9] neg_lo:[0,0,1] neg_hi:[0,0,1]
	s_wait_loadcnt_dscnt 0x0
	s_wait_xcnt 0x0
	v_pk_mul_f32 v[16:17], v[6:7], v[12:13]
	s_delay_alu instid0(VALU_DEP_1) | instskip(SKIP_1) | instid1(VALU_DEP_2)
	v_pk_fma_f32 v[48:49], v[6:7], v[18:19], v[16:17] op_sel:[0,0,1] op_sel_hi:[1,1,0]
	v_pk_fma_f32 v[6:7], v[6:7], v[18:19], v[16:17] op_sel:[0,0,1] op_sel_hi:[1,1,0] neg_lo:[0,0,1] neg_hi:[0,0,1]
	v_dual_mov_b32 v9, v47 :: v_dual_mov_b32 v7, v49
	s_delay_alu instid0(VALU_DEP_1)
	v_pk_add_f32 v[6:7], v[8:9], v[6:7]
	v_pk_mul_f32 v[8:9], v[42:43], v[10:11] op_sel_hi:[0,1]
	flat_store_b64 v[56:57], v[6:7] offset:384
	flat_load_b64 v[6:7], v[2:3]
	v_pk_fma_f32 v[42:43], v[40:41], v[14:15], v[8:9] op_sel_hi:[0,1,1]
	v_pk_fma_f32 v[8:9], v[40:41], v[14:15], v[8:9] neg_lo:[0,0,1] neg_hi:[0,0,1]
	s_wait_loadcnt_dscnt 0x0
	v_pk_mul_f32 v[16:17], v[6:7], v[12:13]
	s_delay_alu instid0(VALU_DEP_1) | instskip(SKIP_1) | instid1(VALU_DEP_2)
	v_pk_fma_f32 v[44:45], v[6:7], v[18:19], v[16:17] op_sel:[0,0,1] op_sel_hi:[1,1,0]
	v_pk_fma_f32 v[6:7], v[6:7], v[18:19], v[16:17] op_sel:[0,0,1] op_sel_hi:[1,1,0] neg_lo:[0,0,1] neg_hi:[0,0,1]
	v_dual_mov_b32 v9, v43 :: v_dual_mov_b32 v7, v45
	s_delay_alu instid0(VALU_DEP_1)
	v_pk_add_f32 v[4:5], v[8:9], v[6:7]
	v_pk_mul_f32 v[6:7], v[38:39], v[10:11] op_sel_hi:[0,1]
	flat_store_b64 v[0:1], v[4:5]
	flat_load_b64 v[4:5], v[2:3] offset:128
	v_pk_fma_f32 v[16:17], v[36:37], v[14:15], v[6:7] op_sel_hi:[0,1,1]
	v_pk_fma_f32 v[6:7], v[36:37], v[14:15], v[6:7] neg_lo:[0,0,1] neg_hi:[0,0,1]
	s_wait_loadcnt_dscnt 0x0
	v_pk_mul_f32 v[8:9], v[4:5], v[12:13]
	s_delay_alu instid0(VALU_DEP_1) | instskip(SKIP_1) | instid1(VALU_DEP_2)
	v_pk_fma_f32 v[42:43], v[4:5], v[18:19], v[8:9] op_sel:[0,0,1] op_sel_hi:[1,1,0]
	v_pk_fma_f32 v[4:5], v[4:5], v[18:19], v[8:9] op_sel:[0,0,1] op_sel_hi:[1,1,0] neg_lo:[0,0,1] neg_hi:[0,0,1]
	v_dual_mov_b32 v7, v17 :: v_dual_mov_b32 v5, v43
	s_delay_alu instid0(VALU_DEP_1)
	v_pk_add_f32 v[4:5], v[6:7], v[4:5]
	v_pk_mul_f32 v[6:7], v[34:35], v[10:11] op_sel_hi:[0,1]
	flat_store_b64 v[0:1], v[4:5] offset:128
	flat_load_b64 v[4:5], v[2:3] offset:256
	v_pk_fma_f32 v[10:11], v[20:21], v[14:15], v[6:7] op_sel_hi:[0,1,1]
	v_pk_fma_f32 v[6:7], v[20:21], v[14:15], v[6:7] neg_lo:[0,0,1] neg_hi:[0,0,1]
	s_wait_loadcnt_dscnt 0x0
	v_pk_mul_f32 v[8:9], v[4:5], v[12:13]
	s_delay_alu instid0(VALU_DEP_1) | instskip(SKIP_2) | instid1(VALU_DEP_3)
	v_pk_fma_f32 v[12:13], v[4:5], v[18:19], v[8:9] op_sel:[0,0,1] op_sel_hi:[1,1,0]
	v_pk_fma_f32 v[4:5], v[4:5], v[18:19], v[8:9] op_sel:[0,0,1] op_sel_hi:[1,1,0] neg_lo:[0,0,1] neg_hi:[0,0,1]
	v_dual_mov_b32 v7, v11 :: v_dual_mul_f32 v9, s22, v32
	v_mov_b32_e32 v5, v13
	s_delay_alu instid0(VALU_DEP_2) | instskip(NEXT) | instid1(VALU_DEP_2)
	v_fma_f32 v9, -v33, s6, v9
	v_pk_add_f32 v[4:5], v[6:7], v[4:5]
	flat_store_b64 v[0:1], v[4:5] offset:256
	flat_load_b64 v[2:3], v[2:3] offset:384
	s_wait_xcnt 0x1
	v_mov_b64_e32 v[4:5], s[14:15]
	s_wait_loadcnt_dscnt 0x0
	v_dual_mul_f32 v6, s35, v3 :: v_dual_mov_b32 v7, v2
	s_delay_alu instid0(VALU_DEP_1) | instskip(SKIP_2) | instid1(VALU_DEP_1)
	v_fma_f32 v8, v2, s34, -v6
	s_wait_xcnt 0x0
	v_dual_mov_b32 v2, v33 :: v_dual_mov_b32 v6, v32
	v_pk_mul_f32 v[2:3], v[2:3], v[4:5]
	v_mov_b64_e32 v[4:5], s[8:9]
	s_delay_alu instid0(VALU_DEP_1) | instskip(SKIP_1) | instid1(VALU_DEP_2)
	v_pk_fma_f32 v[4:5], v[6:7], v[4:5], v[2:3]
	v_add_nc_u64_e32 v[2:3], 0x180, v[0:1]
	v_dual_add_f32 v6, v9, v8 :: v_dual_add_f32 v4, v4, v5
	flat_store_b32 v[0:1], v6 offset:384
	s_branch .LBB229_2
.LBB229_10:
	s_sendmsg sendmsg(MSG_DEALLOC_VGPRS)
	s_endpgm
	.section	.rodata,"a",@progbits
	.p2align	6, 0x0
	.amdhsa_kernel _ZN12_GLOBAL__N_127rocblas_gemm_batched_kernelI19rocblas_complex_numIfELi16ELi16ELi64ELi64ELi4ELi64ELi4ELi4ELi64ELc67ELc84EKPKS2_S5_KPS2_EEvlllT_PT11_llSA_llS8_PT12_llPT13_lli
		.amdhsa_group_segment_fixed_size 4096
		.amdhsa_private_segment_fixed_size 0
		.amdhsa_kernarg_size 140
		.amdhsa_user_sgpr_count 2
		.amdhsa_user_sgpr_dispatch_ptr 0
		.amdhsa_user_sgpr_queue_ptr 0
		.amdhsa_user_sgpr_kernarg_segment_ptr 1
		.amdhsa_user_sgpr_dispatch_id 0
		.amdhsa_user_sgpr_kernarg_preload_length 0
		.amdhsa_user_sgpr_kernarg_preload_offset 0
		.amdhsa_user_sgpr_private_segment_size 0
		.amdhsa_wavefront_size32 1
		.amdhsa_uses_dynamic_stack 0
		.amdhsa_enable_private_segment 0
		.amdhsa_system_sgpr_workgroup_id_x 1
		.amdhsa_system_sgpr_workgroup_id_y 1
		.amdhsa_system_sgpr_workgroup_id_z 1
		.amdhsa_system_sgpr_workgroup_info 0
		.amdhsa_system_vgpr_workitem_id 1
		.amdhsa_next_free_vgpr 198
		.amdhsa_next_free_sgpr 44
		.amdhsa_named_barrier_count 0
		.amdhsa_reserve_vcc 1
		.amdhsa_float_round_mode_32 0
		.amdhsa_float_round_mode_16_64 0
		.amdhsa_float_denorm_mode_32 3
		.amdhsa_float_denorm_mode_16_64 3
		.amdhsa_fp16_overflow 0
		.amdhsa_memory_ordered 1
		.amdhsa_forward_progress 1
		.amdhsa_inst_pref_size 48
		.amdhsa_round_robin_scheduling 0
		.amdhsa_exception_fp_ieee_invalid_op 0
		.amdhsa_exception_fp_denorm_src 0
		.amdhsa_exception_fp_ieee_div_zero 0
		.amdhsa_exception_fp_ieee_overflow 0
		.amdhsa_exception_fp_ieee_underflow 0
		.amdhsa_exception_fp_ieee_inexact 0
		.amdhsa_exception_int_div_zero 0
	.end_amdhsa_kernel
	.section	.text._ZN12_GLOBAL__N_127rocblas_gemm_batched_kernelI19rocblas_complex_numIfELi16ELi16ELi64ELi64ELi4ELi64ELi4ELi4ELi64ELc67ELc84EKPKS2_S5_KPS2_EEvlllT_PT11_llSA_llS8_PT12_llPT13_lli,"axG",@progbits,_ZN12_GLOBAL__N_127rocblas_gemm_batched_kernelI19rocblas_complex_numIfELi16ELi16ELi64ELi64ELi4ELi64ELi4ELi4ELi64ELc67ELc84EKPKS2_S5_KPS2_EEvlllT_PT11_llSA_llS8_PT12_llPT13_lli,comdat
.Lfunc_end229:
	.size	_ZN12_GLOBAL__N_127rocblas_gemm_batched_kernelI19rocblas_complex_numIfELi16ELi16ELi64ELi64ELi4ELi64ELi4ELi4ELi64ELc67ELc84EKPKS2_S5_KPS2_EEvlllT_PT11_llSA_llS8_PT12_llPT13_lli, .Lfunc_end229-_ZN12_GLOBAL__N_127rocblas_gemm_batched_kernelI19rocblas_complex_numIfELi16ELi16ELi64ELi64ELi4ELi64ELi4ELi4ELi64ELc67ELc84EKPKS2_S5_KPS2_EEvlllT_PT11_llSA_llS8_PT12_llPT13_lli
                                        ; -- End function
	.set _ZN12_GLOBAL__N_127rocblas_gemm_batched_kernelI19rocblas_complex_numIfELi16ELi16ELi64ELi64ELi4ELi64ELi4ELi4ELi64ELc67ELc84EKPKS2_S5_KPS2_EEvlllT_PT11_llSA_llS8_PT12_llPT13_lli.num_vgpr, 198
	.set _ZN12_GLOBAL__N_127rocblas_gemm_batched_kernelI19rocblas_complex_numIfELi16ELi16ELi64ELi64ELi4ELi64ELi4ELi4ELi64ELc67ELc84EKPKS2_S5_KPS2_EEvlllT_PT11_llSA_llS8_PT12_llPT13_lli.num_agpr, 0
	.set _ZN12_GLOBAL__N_127rocblas_gemm_batched_kernelI19rocblas_complex_numIfELi16ELi16ELi64ELi64ELi4ELi64ELi4ELi4ELi64ELc67ELc84EKPKS2_S5_KPS2_EEvlllT_PT11_llSA_llS8_PT12_llPT13_lli.numbered_sgpr, 44
	.set _ZN12_GLOBAL__N_127rocblas_gemm_batched_kernelI19rocblas_complex_numIfELi16ELi16ELi64ELi64ELi4ELi64ELi4ELi4ELi64ELc67ELc84EKPKS2_S5_KPS2_EEvlllT_PT11_llSA_llS8_PT12_llPT13_lli.num_named_barrier, 0
	.set _ZN12_GLOBAL__N_127rocblas_gemm_batched_kernelI19rocblas_complex_numIfELi16ELi16ELi64ELi64ELi4ELi64ELi4ELi4ELi64ELc67ELc84EKPKS2_S5_KPS2_EEvlllT_PT11_llSA_llS8_PT12_llPT13_lli.private_seg_size, 0
	.set _ZN12_GLOBAL__N_127rocblas_gemm_batched_kernelI19rocblas_complex_numIfELi16ELi16ELi64ELi64ELi4ELi64ELi4ELi4ELi64ELc67ELc84EKPKS2_S5_KPS2_EEvlllT_PT11_llSA_llS8_PT12_llPT13_lli.uses_vcc, 1
	.set _ZN12_GLOBAL__N_127rocblas_gemm_batched_kernelI19rocblas_complex_numIfELi16ELi16ELi64ELi64ELi4ELi64ELi4ELi4ELi64ELc67ELc84EKPKS2_S5_KPS2_EEvlllT_PT11_llSA_llS8_PT12_llPT13_lli.uses_flat_scratch, 1
	.set _ZN12_GLOBAL__N_127rocblas_gemm_batched_kernelI19rocblas_complex_numIfELi16ELi16ELi64ELi64ELi4ELi64ELi4ELi4ELi64ELc67ELc84EKPKS2_S5_KPS2_EEvlllT_PT11_llSA_llS8_PT12_llPT13_lli.has_dyn_sized_stack, 0
	.set _ZN12_GLOBAL__N_127rocblas_gemm_batched_kernelI19rocblas_complex_numIfELi16ELi16ELi64ELi64ELi4ELi64ELi4ELi4ELi64ELc67ELc84EKPKS2_S5_KPS2_EEvlllT_PT11_llSA_llS8_PT12_llPT13_lli.has_recursion, 0
	.set _ZN12_GLOBAL__N_127rocblas_gemm_batched_kernelI19rocblas_complex_numIfELi16ELi16ELi64ELi64ELi4ELi64ELi4ELi4ELi64ELc67ELc84EKPKS2_S5_KPS2_EEvlllT_PT11_llSA_llS8_PT12_llPT13_lli.has_indirect_call, 0
	.section	.AMDGPU.csdata,"",@progbits
; Kernel info:
; codeLenInByte = 6064
; TotalNumSgprs: 46
; NumVgprs: 198
; ScratchSize: 0
; MemoryBound: 0
; FloatMode: 240
; IeeeMode: 1
; LDSByteSize: 4096 bytes/workgroup (compile time only)
; SGPRBlocks: 0
; VGPRBlocks: 12
; NumSGPRsForWavesPerEU: 46
; NumVGPRsForWavesPerEU: 198
; NamedBarCnt: 0
; Occupancy: 4
; WaveLimiterHint : 1
; COMPUTE_PGM_RSRC2:SCRATCH_EN: 0
; COMPUTE_PGM_RSRC2:USER_SGPR: 2
; COMPUTE_PGM_RSRC2:TRAP_HANDLER: 0
; COMPUTE_PGM_RSRC2:TGID_X_EN: 1
; COMPUTE_PGM_RSRC2:TGID_Y_EN: 1
; COMPUTE_PGM_RSRC2:TGID_Z_EN: 1
; COMPUTE_PGM_RSRC2:TIDIG_COMP_CNT: 1
	.section	.text._ZN12_GLOBAL__N_127rocblas_gemm_batched_kernelI19rocblas_complex_numIfELi16ELi16ELi64ELi64ELi4ELi64ELi4ELi4ELi64ELc78ELc67EKPKS2_S5_KPS2_EEvlllT_PT11_llSA_llS8_PT12_llPT13_lli,"axG",@progbits,_ZN12_GLOBAL__N_127rocblas_gemm_batched_kernelI19rocblas_complex_numIfELi16ELi16ELi64ELi64ELi4ELi64ELi4ELi4ELi64ELc78ELc67EKPKS2_S5_KPS2_EEvlllT_PT11_llSA_llS8_PT12_llPT13_lli,comdat
	.globl	_ZN12_GLOBAL__N_127rocblas_gemm_batched_kernelI19rocblas_complex_numIfELi16ELi16ELi64ELi64ELi4ELi64ELi4ELi4ELi64ELc78ELc67EKPKS2_S5_KPS2_EEvlllT_PT11_llSA_llS8_PT12_llPT13_lli ; -- Begin function _ZN12_GLOBAL__N_127rocblas_gemm_batched_kernelI19rocblas_complex_numIfELi16ELi16ELi64ELi64ELi4ELi64ELi4ELi4ELi64ELc78ELc67EKPKS2_S5_KPS2_EEvlllT_PT11_llSA_llS8_PT12_llPT13_lli
	.p2align	8
	.type	_ZN12_GLOBAL__N_127rocblas_gemm_batched_kernelI19rocblas_complex_numIfELi16ELi16ELi64ELi64ELi4ELi64ELi4ELi4ELi64ELc78ELc67EKPKS2_S5_KPS2_EEvlllT_PT11_llSA_llS8_PT12_llPT13_lli,@function
_ZN12_GLOBAL__N_127rocblas_gemm_batched_kernelI19rocblas_complex_numIfELi16ELi16ELi64ELi64ELi4ELi64ELi4ELi4ELi64ELc78ELc67EKPKS2_S5_KPS2_EEvlllT_PT11_llSA_llS8_PT12_llPT13_lli: ; @_ZN12_GLOBAL__N_127rocblas_gemm_batched_kernelI19rocblas_complex_numIfELi16ELi16ELi64ELi64ELi4ELi64ELi4ELi4ELi64ELc78ELc67EKPKS2_S5_KPS2_EEvlllT_PT11_llSA_llS8_PT12_llPT13_lli
; %bb.0:
	s_load_b32 s33, s[0:1], 0x88
	s_bfe_u32 s2, ttmp6, 0x40014
	s_lshr_b32 s3, ttmp7, 16
	s_add_co_i32 s2, s2, 1
	s_bfe_u32 s4, ttmp6, 0x40008
	s_mul_i32 s2, s3, s2
	s_getreg_b32 s12, hwreg(HW_REG_IB_STS2, 6, 4)
	s_add_co_i32 s4, s4, s2
	s_cmp_eq_u32 s12, 0
	s_cselect_b32 s2, s3, s4
	s_mov_b32 s3, 0
	s_wait_kmcnt 0x0
	s_cmp_ge_i32 s2, s33
	s_cbranch_scc1 .LBB230_10
; %bb.1:
	v_bfe_u32 v20, v0, 10, 10
	v_and_b32_e32 v2, 0x3ff, v0
	s_clause 0x1
	s_load_b256 s[4:11], s[0:1], 0x20
	s_load_b128 s[24:27], s[0:1], 0x40
	s_bfe_u32 s14, ttmp6, 0x4000c
	s_bfe_u32 s15, ttmp6, 0x40010
	s_add_co_i32 s14, s14, 1
	s_and_b32 s16, ttmp7, 0xffff
	s_add_co_i32 s15, s15, 1
	v_lshl_add_u32 v3, v20, 4, v2
	v_mov_b32_e32 v21, 0
	s_and_b32 s13, ttmp6, 15
	s_mul_i32 s14, ttmp9, s14
	s_mul_i32 s15, s16, s15
	s_bfe_u32 s17, ttmp6, 0x40004
	s_add_co_i32 s13, s13, s14
	s_add_co_i32 s17, s17, s15
	s_cmp_eq_u32 s12, 0
	v_dual_mov_b32 v5, v21 :: v_dual_lshrrev_b32 v4, 2, v3
	v_lshrrev_b32_e32 v10, 6, v3
	s_cselect_b32 s12, s16, s17
	s_cselect_b32 s36, ttmp9, s13
	s_lshl_b32 s38, s12, 6
	s_mov_b32 s39, s3
	s_clause 0x2
	s_load_b128 s[20:23], s[0:1], 0x10
	s_load_b128 s[28:31], s[0:1], 0x78
	s_load_b256 s[12:19], s[0:1], 0x58
	v_add_nc_u64_e32 v[6:7], s[38:39], v[4:5]
	v_and_b32_e32 v5, 3, v0
	s_ashr_i32 s37, s36, 31
	s_load_b64 s[34:35], s[0:1], 0x50
	s_lshl_b64 s[36:37], s[36:37], 6
	v_lshl_add_u32 v41, v20, 5, 0x800
	s_wait_kmcnt 0x0
	v_mad_nc_u64_u32 v[8:9], s6, v10, s[36:37]
	v_mad_nc_u64_u32 v[0:1], s24, v5, v[6:7]
	v_dual_mov_b32 v3, v21 :: v_dual_bitop2_b32 v6, 63, v3 bitop3:0x40
	s_delay_alu instid0(VALU_DEP_1) | instskip(NEXT) | instid1(VALU_DEP_4)
	v_dual_lshlrev_b32 v11, 3, v6 :: v_dual_lshlrev_b32 v7, 3, v5
	v_mad_u32 v9, s7, v10, v9
	s_delay_alu instid0(VALU_DEP_4) | instskip(NEXT) | instid1(VALU_DEP_3)
	v_mad_u32 v1, s25, v5, v1
	v_lshl_or_b32 v12, v4, 5, v7
	v_add_nc_u64_e32 v[4:5], s[38:39], v[20:21]
	v_mov_b32_e32 v7, v21
	v_add_nc_u64_e32 v[26:27], s[36:37], v[2:3]
	s_or_b32 s0, s34, s35
	v_lshl_or_b32 v35, v10, 9, v11
	s_bitset0_b32 s0, 31
	v_add_nc_u32_e32 v37, 0x800, v12
	v_mul_u64_e32 v[22:23], s[28:29], v[4:5]
	v_mul_u64_e32 v[24:25], s[14:15], v[4:5]
	v_lshlrev_b64_e32 v[0:1], 3, v[0:1]
	s_cmp_eq_u32 s0, 0
	v_cmp_gt_i64_e64 s0, s[20:21], 0
	s_cselect_b32 s1, -1, 0
	s_lshl_b64 s[42:43], s[28:29], 4
	s_lshl_b64 s[44:45], s[14:15], 4
	s_mov_b32 s36, s23
	v_lshl_add_u64 v[28:29], s[26:27], 3, v[0:1]
	v_lshlrev_b32_e32 v39, 3, v2
	v_add_nc_u64_e32 v[2:3], v[8:9], v[6:7]
	v_cndmask_b32_e64 v0, 0, 1, s0
	s_mov_b32 s37, s22
	v_or_b32_e32 v28, 4, v28
	s_mov_b32 s14, s23
	s_mov_b32 s15, s35
	v_cmp_ne_u32_e64 s0, 1, v0
	v_lshlrev_b64_e32 v[2:3], 3, v[2:3]
	s_mov_b32 s28, s22
	s_mov_b32 s29, s34
	;; [unrolled: 1-line block ×6, first 2 shown]
	v_lshl_add_u64 v[30:31], s[8:9], 3, v[2:3]
	s_lshl_b64 s[6:7], s[6:7], 5
	s_lshl_b64 s[8:9], s[24:25], 5
	;; [unrolled: 1-line block ×6, first 2 shown]
	s_branch .LBB230_3
.LBB230_2:                              ;   in Loop: Header=BB230_3 Depth=1
	s_add_co_i32 s2, s2, 0x10000
	flat_store_b32 v[2:3], v4 offset:4
	s_cmp_lt_i32 s2, s33
	s_cbranch_scc0 .LBB230_10
.LBB230_3:                              ; =>This Loop Header: Depth=1
                                        ;     Child Loop BB230_5 Depth 2
	s_wait_xcnt 0x1
	v_dual_mov_b32 v0, s2 :: v_dual_mov_b32 v33, 0
	v_dual_mov_b32 v32, 0 :: v_dual_mov_b32 v90, 0
	;; [unrolled: 1-line block ×3, first 2 shown]
	s_clause 0x1
	global_load_b64 v[68:69], v0, s[12:13] scale_offset
	global_load_b64 v[92:93], v0, s[18:19] scale_offset
	v_dual_mov_b32 v88, 0 :: v_dual_mov_b32 v82, 0
	v_dual_mov_b32 v84, 0 :: v_dual_mov_b32 v78, 0
	;; [unrolled: 1-line block ×13, first 2 shown]
	v_mov_b32_e32 v34, 0
	s_and_b32 vcc_lo, exec_lo, s0
	s_cbranch_vccnz .LBB230_6
; %bb.4:                                ;   in Loop: Header=BB230_3 Depth=1
	s_lshl_b64 s[42:43], s[2:3], 3
	v_dual_mov_b32 v34, 0 :: v_dual_mov_b32 v20, 0
	s_add_nc_u64 s[44:45], s[4:5], s[42:43]
	s_add_nc_u64 s[42:43], s[10:11], s[42:43]
	s_clause 0x1
	global_load_b64 v[0:1], v21, s[44:45]
	global_load_b64 v[2:3], v21, s[42:43]
	v_dual_mov_b32 v38, 0 :: v_dual_mov_b32 v36, 0
	v_dual_mov_b32 v42, 0 :: v_dual_mov_b32 v40, 0
	;; [unrolled: 1-line block ×15, first 2 shown]
	s_wait_xcnt 0x0
	s_mov_b64 s[42:43], 0
	s_wait_loadcnt 0x1
	v_add_nc_u64_e32 v[96:97], v[0:1], v[30:31]
	s_wait_loadcnt 0x0
	v_add_nc_u64_e32 v[98:99], v[2:3], v[28:29]
.LBB230_5:                              ;   Parent Loop BB230_3 Depth=1
                                        ; =>  This Inner Loop Header: Depth=2
	flat_load_b64 v[0:1], v[96:97]
	s_add_nc_u64 s[42:43], s[42:43], 4
	s_wait_xcnt 0x0
	v_add_nc_u64_e32 v[96:97], s[6:7], v[96:97]
	v_cmp_lt_i64_e64 s44, s[42:43], s[20:21]
	s_and_b32 vcc_lo, exec_lo, s44
	s_wait_loadcnt_dscnt 0x0
	ds_store_b64 v35, v[0:1]
	flat_load_b64 v[0:1], v[98:99] offset:-4
	s_wait_xcnt 0x0
	v_add_nc_u64_e32 v[98:99], s[8:9], v[98:99]
	s_wait_loadcnt_dscnt 0x0
	v_xor_b32_e32 v1, 0x80000000, v1
	ds_store_b64 v37, v[0:1]
	s_wait_dscnt 0x0
	s_barrier_signal -1
	s_barrier_wait -1
	ds_load_2addr_b64 v[0:3], v39 offset1:16
	ds_load_b128 v[8:11], v41
	ds_load_2addr_b64 v[4:7], v39 offset0:32 offset1:48
	ds_load_2addr_b64 v[12:15], v39 offset0:64 offset1:80
	;; [unrolled: 1-line block ×3, first 2 shown]
	ds_load_b128 v[100:103], v41 offset:16
	ds_load_2addr_b64 v[104:107], v39 offset0:128 offset1:144
	ds_load_2addr_b64 v[108:111], v39 offset0:160 offset1:176
	;; [unrolled: 1-line block ×4, first 2 shown]
	ds_load_b128 v[120:123], v41 offset:512
	ds_load_b128 v[124:127], v41 offset:528
	;; [unrolled: 1-line block ×6, first 2 shown]
	s_wait_dscnt 0x0
	s_barrier_signal -1
	s_barrier_wait -1
	v_dual_mul_f32 v43, v9, v1 :: v_dual_mul_f32 v45, v8, v1
	v_dual_mul_f32 v47, v9, v3 :: v_dual_mul_f32 v49, v8, v3
	;; [unrolled: 1-line block ×27, first 2 shown]
	v_dual_fma_f32 v43, v8, v0, -v43 :: v_dual_fmac_f32 v45, v9, v0
	v_dual_fma_f32 v47, v8, v2, -v47 :: v_dual_fmac_f32 v49, v9, v2
	;; [unrolled: 1-line block ×6, first 2 shown]
	v_dual_fma_f32 v67, v10, v16, -v67 :: v_dual_fma_f32 v73, v10, v18, -v73
	v_dual_fmac_f32 v71, v11, v16 :: v_dual_mul_f32 v171, v138, v13
	v_dual_fmac_f32 v75, v11, v18 :: v_dual_fma_f32 v77, v120, v0, -v77
	v_pk_mul_f32 v[8:9], v[136:137], v[6:7] op_sel:[1,1] op_sel_hi:[0,1]
	v_dual_mul_f32 v5, v139, v13 :: v_dual_fmac_f32 v79, v121, v0
	v_dual_mov_b32 v10, v139 :: v_dual_mov_b32 v11, v138
	v_dual_fma_f32 v81, v120, v2, -v81 :: v_dual_fmac_f32 v83, v121, v2
	v_dual_fma_f32 v85, v120, v4, -v85 :: v_dual_fmac_f32 v87, v121, v4
	;; [unrolled: 1-line block ×16, first 2 shown]
	v_dual_fma_f32 v159, v136, v2, -v1 :: v_dual_mul_f32 v161, v101, v107
	v_dual_fmac_f32 v169, v137, v2 :: v_dual_mul_f32 v163, v100, v107
	v_dual_fma_f32 v165, v136, v4, -v3 :: v_dual_fmac_f32 v170, v137, v4
	v_pk_fma_f32 v[0:1], v[136:137], v[6:7], v[8:9] neg_lo:[0,0,1] neg_hi:[0,0,1]
	v_pk_fma_f32 v[2:3], v[136:137], v[6:7], v[8:9] op_sel_hi:[1,0,1]
	v_dual_fma_f32 v137, v138, v12, -v5 :: v_dual_fmac_f32 v171, v139, v12
	v_pk_mul_f32 v[4:5], v[10:11], v[18:19] op_sel:[0,1]
	v_dual_mul_f32 v13, v139, v15 :: v_dual_mul_f32 v123, v138, v15
	v_dual_mul_f32 v15, v139, v17 :: v_dual_mul_f32 v17, v138, v17
	s_delay_alu instid0(VALU_DEP_3)
	v_pk_fma_f32 v[6:7], v[138:139], v[18:19], v[4:5] neg_lo:[0,0,1] neg_hi:[0,0,1]
	v_pk_fma_f32 v[4:5], v[138:139], v[18:19], v[4:5] op_sel_hi:[1,0,1]
	v_dual_mul_f32 v131, v101, v105 :: v_dual_mul_f32 v155, v100, v105
	v_dual_mul_f32 v1, v101, v109 :: v_dual_mul_f32 v2, v100, v109
	;; [unrolled: 1-line block ×4, first 2 shown]
	v_dual_mul_f32 v136, v100, v111 :: v_dual_fma_f32 v167, v138, v14, -v13
	v_fmac_f32_e32 v123, v139, v14
	v_dual_mul_f32 v9, v103, v113 :: v_dual_mul_f32 v172, v102, v113
	v_dual_fma_f32 v173, v138, v16, -v15 :: v_dual_fmac_f32 v17, v139, v16
	v_mul_f32_e32 v16, v102, v115
	v_dual_mul_f32 v10, v103, v119 :: v_dual_mul_f32 v19, v102, v119
	v_dual_fma_f32 v131, v100, v104, -v131 :: v_dual_fma_f32 v139, v100, v106, -v161
	v_dual_fmac_f32 v163, v101, v106 :: v_dual_fma_f32 v161, v100, v108, -v1
	v_dual_fma_f32 v4, v102, v114, -v4 :: v_dual_fma_f32 v174, v102, v116, -v7
	v_dual_mul_f32 v1, v125, v107 :: v_dual_mul_f32 v7, v125, v109
	v_mul_f32_e32 v175, v124, v109
	v_dual_mul_f32 v11, v125, v105 :: v_dual_mul_f32 v138, v124, v105
	v_dual_fmac_f32 v155, v101, v104 :: v_dual_fma_f32 v100, v100, v110, -v8
	v_dual_fmac_f32 v2, v101, v108 :: v_dual_fmac_f32 v136, v101, v110
	v_dual_fma_f32 v101, v102, v112, -v9 :: v_dual_fmac_f32 v172, v103, v112
	v_dual_fmac_f32 v16, v103, v114 :: v_dual_fmac_f32 v18, v103, v116
	v_dual_fma_f32 v102, v102, v118, -v10 :: v_dual_fmac_f32 v19, v103, v118
	v_dual_mul_f32 v103, v124, v107 :: v_dual_fma_f32 v177, v124, v106, -v1
	v_dual_fma_f32 v178, v124, v108, -v7 :: v_dual_mul_f32 v1, v125, v111
	v_dual_fma_f32 v176, v124, v104, -v11 :: v_dual_fmac_f32 v138, v125, v104
	v_fmac_f32_e32 v175, v125, v108
	s_delay_alu instid0(VALU_DEP_4) | instskip(NEXT) | instid1(VALU_DEP_4)
	v_fmac_f32_e32 v103, v125, v106
	v_dual_fma_f32 v179, v124, v110, -v1 :: v_dual_mul_f32 v124, v124, v111
	v_dual_mul_f32 v1, v127, v113 :: v_dual_mul_f32 v180, v126, v113
	v_dual_mul_f32 v182, v126, v115 :: v_dual_mul_f32 v184, v126, v117
	s_delay_alu instid0(VALU_DEP_2) | instskip(NEXT) | instid1(VALU_DEP_3)
	v_dual_fmac_f32 v124, v125, v110 :: v_dual_fma_f32 v125, v126, v112, -v1
	v_dual_mul_f32 v1, v127, v115 :: v_dual_fmac_f32 v180, v127, v112
	v_dual_mul_f32 v186, v132, v105 :: v_dual_mul_f32 v188, v132, v107
	s_delay_alu instid0(VALU_DEP_2) | instskip(SKIP_3) | instid1(VALU_DEP_3)
	v_dual_mul_f32 v190, v132, v109 :: v_dual_fma_f32 v181, v126, v114, -v1
	v_dual_mul_f32 v1, v127, v117 :: v_dual_fmac_f32 v182, v127, v114
	v_dual_mul_f32 v192, v134, v113 :: v_dual_mul_f32 v194, v134, v115
	v_mul_f32_e32 v196, v134, v117
	v_dual_fma_f32 v183, v126, v116, -v1 :: v_dual_mul_f32 v1, v127, v119
	v_fmac_f32_e32 v184, v127, v116
	v_pk_mul_f32 v[8:9], v[140:141], v[110:111] op_sel:[1,1] op_sel_hi:[0,1]
	v_dual_mov_b32 v12, v143 :: v_dual_mov_b32 v13, v142
	s_delay_alu instid0(VALU_DEP_4) | instskip(SKIP_1) | instid1(VALU_DEP_4)
	v_dual_fma_f32 v185, v126, v118, -v1 :: v_dual_mul_f32 v126, v126, v119
	v_mul_f32_e32 v1, v133, v105
	v_pk_fma_f32 v[10:11], v[140:141], v[110:111], v[8:9] neg_lo:[0,0,1] neg_hi:[0,0,1]
	v_pk_fma_f32 v[8:9], v[140:141], v[110:111], v[8:9] op_sel_hi:[1,0,1]
	v_pk_mul_f32 v[12:13], v[12:13], v[118:119] op_sel:[0,1]
	s_delay_alu instid0(VALU_DEP_4) | instskip(SKIP_2) | instid1(VALU_DEP_4)
	v_dual_fmac_f32 v126, v127, v118 :: v_dual_fma_f32 v127, v132, v104, -v1
	v_dual_mul_f32 v1, v133, v107 :: v_dual_fmac_f32 v186, v133, v104
	v_add_f32_e32 v42, v42, v168
	v_pk_fma_f32 v[14:15], v[142:143], v[118:119], v[12:13] neg_lo:[0,0,1] neg_hi:[0,0,1]
	v_pk_fma_f32 v[12:13], v[142:143], v[118:119], v[12:13] op_sel_hi:[1,0,1]
	s_delay_alu instid0(VALU_DEP_4) | instskip(SKIP_2) | instid1(VALU_DEP_3)
	v_dual_fma_f32 v187, v132, v106, -v1 :: v_dual_mul_f32 v1, v133, v109
	v_dual_fmac_f32 v188, v133, v106 :: v_dual_add_f32 v12, v90, v43
	v_dual_add_f32 v43, v94, v45 :: v_dual_add_f32 v72, v72, v83
	v_dual_fma_f32 v189, v132, v108, -v1 :: v_dual_mul_f32 v1, v133, v111
	v_dual_fmac_f32 v190, v133, v108 :: v_dual_add_f32 v45, v86, v47
	v_dual_add_f32 v47, v88, v49 :: v_dual_add_f32 v49, v82, v51
	s_delay_alu instid0(VALU_DEP_3) | instskip(SKIP_2) | instid1(VALU_DEP_2)
	v_dual_fma_f32 v191, v132, v110, -v1 :: v_dual_mul_f32 v132, v132, v111
	v_dual_mul_f32 v1, v135, v113 :: v_dual_mul_f32 v111, v142, v115
	v_dual_add_f32 v51, v84, v53 :: v_dual_add_f32 v53, v78, v55
	v_dual_fmac_f32 v132, v133, v110 :: v_dual_fma_f32 v133, v134, v112, -v1
	v_dual_mul_f32 v1, v135, v115 :: v_dual_fmac_f32 v192, v135, v112
	v_add_f32_e32 v55, v80, v57
	v_dual_add_f32 v57, v76, v77 :: v_dual_add_f32 v74, v74, v79
	s_delay_alu instid0(VALU_DEP_3) | instskip(SKIP_3) | instid1(VALU_DEP_3)
	v_dual_add_f32 v64, v64, v85 :: v_dual_fma_f32 v193, v134, v114, -v1
	v_dual_mul_f32 v1, v135, v117 :: v_dual_fmac_f32 v194, v135, v114
	v_dual_add_f32 v70, v70, v81 :: v_dual_add_f32 v52, v52, v147
	v_dual_add_f32 v66, v66, v87 :: v_dual_add_f32 v60, v60, v89
	v_dual_fma_f32 v195, v134, v116, -v1 :: v_dual_mul_f32 v1, v135, v119
	v_dual_fmac_f32 v196, v135, v116 :: v_dual_add_f32 v62, v62, v91
	v_dual_add_f32 v56, v56, v145 :: v_dual_add_f32 v58, v58, v152
	s_delay_alu instid0(VALU_DEP_3) | instskip(SKIP_2) | instid1(VALU_DEP_2)
	v_dual_add_f32 v48, v48, v149 :: v_dual_fma_f32 v197, v134, v118, -v1
	v_dual_mul_f32 v134, v134, v119 :: v_dual_mul_f32 v1, v141, v105
	v_dual_mul_f32 v105, v140, v105 :: v_dual_add_f32 v54, v54, v154
	v_dual_add_f32 v44, v44, v128 :: v_dual_fmac_f32 v134, v135, v118
	s_delay_alu instid0(VALU_DEP_3) | instskip(NEXT) | instid1(VALU_DEP_3)
	v_dual_fma_f32 v135, v140, v104, -v1 :: v_dual_mul_f32 v1, v141, v107
	v_dual_fmac_f32 v105, v141, v104 :: v_dual_mul_f32 v107, v140, v107
	v_dual_add_f32 v50, v50, v156 :: v_dual_add_f32 v40, v40, v157
	s_delay_alu instid0(VALU_DEP_3) | instskip(NEXT) | instid1(VALU_DEP_3)
	v_dual_fma_f32 v104, v140, v106, -v1 :: v_dual_mul_f32 v1, v141, v109
	v_dual_mul_f32 v109, v140, v109 :: v_dual_fmac_f32 v107, v141, v106
	v_dual_add_f32 v46, v46, v158 :: v_dual_add_f32 v36, v36, v159
	s_delay_alu instid0(VALU_DEP_3) | instskip(NEXT) | instid1(VALU_DEP_3)
	v_dual_fma_f32 v106, v140, v108, -v1 :: v_dual_mul_f32 v1, v143, v113
	v_dual_fmac_f32 v109, v141, v108 :: v_dual_mul_f32 v108, v142, v113
	v_mul_f32_e32 v113, v142, v117
	v_dual_add_f32 v20, v20, v165 :: v_dual_add_f32 v34, v34, v170
	s_delay_alu instid0(VALU_DEP_3) | instskip(NEXT) | instid1(VALU_DEP_3)
	v_dual_fma_f32 v8, v142, v112, -v1 :: v_dual_fmac_f32 v108, v143, v112
	v_dual_mul_f32 v1, v143, v115 :: v_dual_fmac_f32 v113, v143, v116
	v_dual_mov_b32 v7, v5 :: v_dual_mov_b32 v15, v13
	s_delay_alu instid0(VALU_DEP_2) | instskip(SKIP_3) | instid1(VALU_DEP_3)
	v_dual_mov_b32 v11, v9 :: v_dual_fma_f32 v110, v142, v114, -v1
	v_dual_fmac_f32 v111, v143, v114 :: v_dual_mul_f32 v1, v143, v117
	v_dual_add_f32 v5, v12, v59 :: v_dual_add_f32 v9, v43, v61
	v_dual_add_f32 v12, v45, v63 :: v_dual_add_f32 v13, v47, v65
	v_dual_fma_f32 v112, v142, v116, -v1 :: v_dual_mov_b32 v1, v3
	v_add_f32_e32 v3, v38, v169
	v_dual_add_f32 v38, v53, v73 :: v_dual_add_f32 v43, v55, v75
	v_add_f32_e32 v45, v57, v95
	s_delay_alu instid0(VALU_DEP_4)
	v_pk_add_f32 v[0:1], v[32:33], v[0:1]
	v_dual_add_f32 v32, v49, v67 :: v_dual_add_f32 v47, v74, v144
	v_dual_add_f32 v33, v51, v71 :: v_dual_add_f32 v49, v70, v120
	v_add_f32_e32 v51, v72, v146
	v_dual_add_f32 v53, v64, v121 :: v_dual_add_f32 v55, v66, v148
	v_dual_add_f32 v57, v60, v122 :: v_dual_add_f32 v58, v58, v160
	;; [unrolled: 1-line block ×9, first 2 shown]
	v_pk_add_f32 v[0:1], v[0:1], v[6:7]
	v_add_f32_e32 v5, v5, v131
	v_add_f32_e32 v6, v9, v155
	v_dual_add_f32 v7, v12, v139 :: v_dual_add_f32 v2, v33, v2
	v_dual_add_f32 v9, v13, v163 :: v_dual_add_f32 v12, v32, v161
	v_add_f32_e32 v13, v38, v100
	v_add_f32_e32 v32, v43, v136
	v_dual_add_f32 v33, v45, v176 :: v_dual_add_f32 v34, v47, v138
	v_dual_add_f32 v38, v49, v177 :: v_dual_add_f32 v43, v51, v103
	;; [unrolled: 1-line block ×11, first 2 shown]
	v_pk_add_f32 v[0:1], v[0:1], v[10:11]
	v_dual_add_f32 v90, v5, v101 :: v_dual_add_f32 v94, v6, v172
	v_dual_add_f32 v86, v7, v4 :: v_dual_add_f32 v82, v12, v174
	;; [unrolled: 1-line block ×15, first 2 shown]
	v_pk_add_f32 v[32:33], v[0:1], v[14:15]
	s_cbranch_vccnz .LBB230_5
.LBB230_6:                              ;   in Loop: Header=BB230_3 Depth=1
	s_wait_loadcnt 0x0
	s_wait_xcnt 0x0
	v_add_nc_u64_e32 v[0:1], s[24:25], v[92:93]
	s_and_not1_b32 vcc_lo, exec_lo, s1
	s_mov_b32 s42, -1
                                        ; implicit-def: $vgpr4
                                        ; implicit-def: $vgpr2_vgpr3
	s_cbranch_vccz .LBB230_8
; %bb.7:                                ;   in Loop: Header=BB230_3 Depth=1
	s_and_not1_b32 vcc_lo, exec_lo, s42
	s_cbranch_vccnz .LBB230_2
	s_branch .LBB230_9
.LBB230_8:                              ;   in Loop: Header=BB230_3 Depth=1
	v_mov_b64_e32 v[2:3], s[36:37]
	v_mov_b64_e32 v[8:9], s[22:23]
	v_lshlrev_b64_e32 v[4:5], 3, v[26:27]
	v_lshl_add_u64 v[6:7], v[22:23], 3, v[0:1]
	s_delay_alu instid0(VALU_DEP_4)
	v_pk_mul_f32 v[10:11], v[94:95], v[2:3] op_sel_hi:[0,1]
	v_pk_mul_f32 v[12:13], v[88:89], v[2:3] op_sel_hi:[0,1]
	;; [unrolled: 1-line block ×4, first 2 shown]
	v_add_nc_u64_e32 v[18:19], v[6:7], v[4:5]
	v_pk_fma_f32 v[92:93], v[90:91], v[8:9], v[10:11] neg_lo:[0,0,1] neg_hi:[0,0,1]
	v_pk_fma_f32 v[10:11], v[90:91], v[8:9], v[10:11] op_sel_hi:[0,1,1]
	v_pk_fma_f32 v[96:97], v[86:87], v[8:9], v[12:13] op_sel_hi:[0,1,1]
	;; [unrolled: 1-line block ×4, first 2 shown]
	v_pk_fma_f32 v[12:13], v[86:87], v[8:9], v[12:13] neg_lo:[0,0,1] neg_hi:[0,0,1]
	s_delay_alu instid0(VALU_DEP_4)
	v_dual_mov_b32 v93, v11 :: v_dual_mov_b32 v13, v97
	v_pk_fma_f32 v[10:11], v[82:83], v[8:9], v[14:15] neg_lo:[0,0,1] neg_hi:[0,0,1]
	v_mov_b32_e32 v11, v99
	v_pk_fma_f32 v[14:15], v[78:79], v[8:9], v[16:17] neg_lo:[0,0,1] neg_hi:[0,0,1]
	v_mov_b32_e32 v15, v101
	v_pk_mul_f32 v[16:17], v[74:75], v[2:3] op_sel_hi:[0,1]
	s_clause 0x3
	flat_store_b64 v[18:19], v[92:93]
	flat_store_b64 v[18:19], v[12:13] offset:128
	flat_store_b64 v[18:19], v[10:11] offset:256
	;; [unrolled: 1-line block ×3, first 2 shown]
	s_wait_xcnt 0x1
	v_pk_mul_f32 v[10:11], v[72:73], v[2:3] op_sel_hi:[0,1]
	s_wait_xcnt 0x0
	v_pk_mul_f32 v[18:19], v[66:67], v[2:3] op_sel_hi:[0,1]
	v_add_nc_u64_e32 v[6:7], s[30:31], v[6:7]
	v_pk_fma_f32 v[14:15], v[76:77], v[8:9], v[16:17] op_sel_hi:[0,1,1]
	v_pk_mul_f32 v[96:97], v[62:63], v[2:3] op_sel_hi:[0,1]
	v_pk_fma_f32 v[92:93], v[70:71], v[8:9], v[10:11] op_sel_hi:[0,1,1]
	v_pk_fma_f32 v[16:17], v[76:77], v[8:9], v[16:17] neg_lo:[0,0,1] neg_hi:[0,0,1]
	v_pk_fma_f32 v[10:11], v[70:71], v[8:9], v[10:11] neg_lo:[0,0,1] neg_hi:[0,0,1]
	v_mov_b32_e32 v17, v15
	v_pk_fma_f32 v[14:15], v[64:65], v[8:9], v[18:19] op_sel_hi:[0,1,1]
	v_mov_b32_e32 v11, v93
	v_pk_fma_f32 v[92:93], v[60:61], v[8:9], v[96:97] op_sel_hi:[0,1,1]
	v_add_nc_u64_e32 v[12:13], v[6:7], v[4:5]
	v_pk_fma_f32 v[18:19], v[64:65], v[8:9], v[18:19] neg_lo:[0,0,1] neg_hi:[0,0,1]
	v_mov_b32_e32 v19, v15
	v_pk_fma_f32 v[14:15], v[60:61], v[8:9], v[96:97] neg_lo:[0,0,1] neg_hi:[0,0,1]
	v_mov_b32_e32 v15, v93
	v_pk_mul_f32 v[92:93], v[58:59], v[2:3] op_sel_hi:[0,1]
	v_add_nc_u64_e32 v[6:7], s[30:31], v[6:7]
	s_clause 0x3
	flat_store_b64 v[12:13], v[16:17]
	flat_store_b64 v[12:13], v[10:11] offset:128
	flat_store_b64 v[12:13], v[18:19] offset:256
	;; [unrolled: 1-line block ×3, first 2 shown]
	s_wait_xcnt 0x0
	v_pk_mul_f32 v[12:13], v[54:55], v[2:3] op_sel_hi:[0,1]
	v_pk_mul_f32 v[16:17], v[50:51], v[2:3] op_sel_hi:[0,1]
	v_pk_fma_f32 v[14:15], v[56:57], v[8:9], v[92:93] op_sel_hi:[0,1,1]
	v_pk_fma_f32 v[18:19], v[56:57], v[8:9], v[92:93] neg_lo:[0,0,1] neg_hi:[0,0,1]
	v_pk_mul_f32 v[92:93], v[46:47], v[2:3] op_sel_hi:[0,1]
	v_pk_fma_f32 v[96:97], v[52:53], v[8:9], v[12:13] op_sel_hi:[0,1,1]
	v_add_nc_u64_e32 v[10:11], v[6:7], v[4:5]
	v_mov_b32_e32 v19, v15
	v_pk_fma_f32 v[14:15], v[48:49], v[8:9], v[16:17] op_sel_hi:[0,1,1]
	v_pk_fma_f32 v[98:99], v[44:45], v[8:9], v[92:93] op_sel_hi:[0,1,1]
	v_pk_fma_f32 v[12:13], v[52:53], v[8:9], v[12:13] neg_lo:[0,0,1] neg_hi:[0,0,1]
	v_mov_b32_e32 v13, v97
	v_pk_fma_f32 v[16:17], v[48:49], v[8:9], v[16:17] neg_lo:[0,0,1] neg_hi:[0,0,1]
	v_mov_b32_e32 v17, v15
	;; [unrolled: 2-line block ×3, first 2 shown]
	v_add_nc_u64_e32 v[6:7], s[30:31], v[6:7]
	v_pk_mul_f32 v[92:93], v[42:43], v[2:3] op_sel_hi:[0,1]
	s_clause 0x3
	flat_store_b64 v[10:11], v[18:19]
	flat_store_b64 v[10:11], v[12:13] offset:128
	flat_store_b64 v[10:11], v[16:17] offset:256
	flat_store_b64 v[10:11], v[14:15] offset:384
	s_wait_xcnt 0x0
	v_pk_mul_f32 v[10:11], v[38:39], v[2:3] op_sel_hi:[0,1]
	v_pk_fma_f32 v[12:13], v[40:41], v[8:9], v[92:93] op_sel_hi:[0,1,1]
	v_add_nc_u64_e32 v[6:7], v[6:7], v[4:5]
	v_pk_mul_f32 v[4:5], v[34:35], v[2:3] op_sel_hi:[0,1]
	s_delay_alu instid0(VALU_DEP_4)
	v_pk_fma_f32 v[16:17], v[36:37], v[8:9], v[10:11] op_sel_hi:[0,1,1]
	v_pk_fma_f32 v[14:15], v[40:41], v[8:9], v[92:93] neg_lo:[0,0,1] neg_hi:[0,0,1]
	v_pk_fma_f32 v[10:11], v[36:37], v[8:9], v[10:11] neg_lo:[0,0,1] neg_hi:[0,0,1]
	v_mov_b32_e32 v15, v13
	v_pk_fma_f32 v[12:13], v[20:21], v[8:9], v[4:5] op_sel_hi:[0,1,1]
	v_mov_b32_e32 v11, v17
	v_pk_mul_f32 v[16:17], v[32:33], v[2:3]
	v_mul_f32_e32 v12, s22, v32
	v_add_nc_u64_e32 v[2:3], 0x180, v[6:7]
	v_pk_fma_f32 v[8:9], v[20:21], v[8:9], v[4:5] neg_lo:[0,0,1] neg_hi:[0,0,1]
	s_delay_alu instid0(VALU_DEP_4) | instskip(NEXT) | instid1(VALU_DEP_4)
	v_dual_mov_b32 v9, v13 :: v_dual_add_f32 v4, v16, v17
	v_fma_f32 v5, -v33, s36, v12
	s_clause 0x3
	flat_store_b64 v[6:7], v[14:15]
	flat_store_b64 v[6:7], v[10:11] offset:128
	flat_store_b64 v[6:7], v[8:9] offset:256
	flat_store_b32 v[6:7], v5 offset:384
	s_cbranch_execnz .LBB230_2
.LBB230_9:                              ;   in Loop: Header=BB230_3 Depth=1
	v_add_nc_u64_e32 v[2:3], s[16:17], v[68:69]
	s_wait_xcnt 0x0
	v_lshlrev_b64_e32 v[4:5], 3, v[26:27]
	v_mov_b64_e32 v[10:11], s[36:37]
	v_mov_b64_e32 v[12:13], s[40:41]
	v_mov_b64_e32 v[14:15], s[22:23]
	v_mov_b64_e32 v[18:19], s[38:39]
	v_lshl_add_u64 v[0:1], v[22:23], 3, v[0:1]
	v_lshl_add_u64 v[2:3], v[24:25], 3, v[2:3]
	v_pk_mul_f32 v[16:17], v[94:95], v[10:11] op_sel_hi:[0,1]
	s_delay_alu instid0(VALU_DEP_2) | instskip(SKIP_1) | instid1(VALU_DEP_3)
	v_add_nc_u64_e32 v[6:7], v[2:3], v[4:5]
	v_add_nc_u64_e32 v[2:3], s[26:27], v[2:3]
	v_pk_fma_f32 v[92:93], v[90:91], v[14:15], v[16:17] op_sel_hi:[0,1,1]
	v_pk_fma_f32 v[16:17], v[90:91], v[14:15], v[16:17] neg_lo:[0,0,1] neg_hi:[0,0,1]
	flat_load_b64 v[8:9], v[6:7]
	s_wait_loadcnt_dscnt 0x0
	v_pk_mul_f32 v[68:69], v[8:9], v[12:13]
	s_delay_alu instid0(VALU_DEP_1)
	v_pk_fma_f32 v[94:95], v[8:9], v[18:19], v[68:69] op_sel:[0,0,1] op_sel_hi:[1,1,0]
	v_pk_fma_f32 v[8:9], v[8:9], v[18:19], v[68:69] op_sel:[0,0,1] op_sel_hi:[1,1,0] neg_lo:[0,0,1] neg_hi:[0,0,1]
	v_mov_b32_e32 v17, v93
	v_add_nc_u64_e32 v[68:69], v[0:1], v[4:5]
	v_add_nc_u64_e32 v[0:1], s[30:31], v[0:1]
	v_mov_b32_e32 v9, v95
	s_delay_alu instid0(VALU_DEP_1)
	v_pk_add_f32 v[8:9], v[16:17], v[8:9]
	v_pk_mul_f32 v[16:17], v[88:89], v[10:11] op_sel_hi:[0,1]
	flat_store_b64 v[68:69], v[8:9]
	flat_load_b64 v[8:9], v[6:7] offset:128
	v_pk_fma_f32 v[90:91], v[86:87], v[14:15], v[16:17] op_sel_hi:[0,1,1]
	v_pk_fma_f32 v[16:17], v[86:87], v[14:15], v[16:17] neg_lo:[0,0,1] neg_hi:[0,0,1]
	s_wait_loadcnt_dscnt 0x0
	v_pk_mul_f32 v[88:89], v[8:9], v[12:13]
	s_delay_alu instid0(VALU_DEP_1) | instskip(SKIP_1) | instid1(VALU_DEP_2)
	v_pk_fma_f32 v[92:93], v[8:9], v[18:19], v[88:89] op_sel:[0,0,1] op_sel_hi:[1,1,0]
	v_pk_fma_f32 v[8:9], v[8:9], v[18:19], v[88:89] op_sel:[0,0,1] op_sel_hi:[1,1,0] neg_lo:[0,0,1] neg_hi:[0,0,1]
	v_dual_mov_b32 v17, v91 :: v_dual_mov_b32 v9, v93
	s_delay_alu instid0(VALU_DEP_1)
	v_pk_add_f32 v[8:9], v[16:17], v[8:9]
	v_pk_mul_f32 v[16:17], v[84:85], v[10:11] op_sel_hi:[0,1]
	flat_store_b64 v[68:69], v[8:9] offset:128
	flat_load_b64 v[8:9], v[6:7] offset:256
	v_pk_fma_f32 v[86:87], v[82:83], v[14:15], v[16:17] op_sel_hi:[0,1,1]
	v_pk_fma_f32 v[16:17], v[82:83], v[14:15], v[16:17] neg_lo:[0,0,1] neg_hi:[0,0,1]
	s_wait_loadcnt_dscnt 0x0
	v_pk_mul_f32 v[84:85], v[8:9], v[12:13]
	s_delay_alu instid0(VALU_DEP_1) | instskip(SKIP_1) | instid1(VALU_DEP_2)
	v_pk_fma_f32 v[88:89], v[8:9], v[18:19], v[84:85] op_sel:[0,0,1] op_sel_hi:[1,1,0]
	v_pk_fma_f32 v[8:9], v[8:9], v[18:19], v[84:85] op_sel:[0,0,1] op_sel_hi:[1,1,0] neg_lo:[0,0,1] neg_hi:[0,0,1]
	v_dual_mov_b32 v17, v87 :: v_dual_mov_b32 v9, v89
	s_delay_alu instid0(VALU_DEP_1) | instskip(SKIP_4) | instid1(VALU_DEP_1)
	v_pk_add_f32 v[8:9], v[16:17], v[8:9]
	flat_store_b64 v[68:69], v[8:9] offset:256
	flat_load_b64 v[6:7], v[6:7] offset:384
	s_wait_xcnt 0x1
	v_pk_mul_f32 v[8:9], v[80:81], v[10:11] op_sel_hi:[0,1]
	v_pk_fma_f32 v[80:81], v[78:79], v[14:15], v[8:9] op_sel_hi:[0,1,1]
	v_pk_fma_f32 v[8:9], v[78:79], v[14:15], v[8:9] neg_lo:[0,0,1] neg_hi:[0,0,1]
	s_wait_loadcnt_dscnt 0x0
	v_pk_mul_f32 v[16:17], v[6:7], v[12:13]
	s_delay_alu instid0(VALU_DEP_1)
	v_pk_fma_f32 v[82:83], v[6:7], v[18:19], v[16:17] op_sel:[0,0,1] op_sel_hi:[1,1,0]
	s_wait_xcnt 0x0
	v_pk_fma_f32 v[6:7], v[6:7], v[18:19], v[16:17] op_sel:[0,0,1] op_sel_hi:[1,1,0] neg_lo:[0,0,1] neg_hi:[0,0,1]
	v_mov_b32_e32 v9, v81
	v_add_nc_u64_e32 v[16:17], v[2:3], v[4:5]
	v_add_nc_u64_e32 v[2:3], s[26:27], v[2:3]
	v_mov_b32_e32 v7, v83
	s_delay_alu instid0(VALU_DEP_1)
	v_pk_add_f32 v[6:7], v[8:9], v[6:7]
	v_pk_mul_f32 v[8:9], v[74:75], v[10:11] op_sel_hi:[0,1]
	flat_store_b64 v[68:69], v[6:7] offset:384
	flat_load_b64 v[6:7], v[16:17]
	v_pk_fma_f32 v[74:75], v[76:77], v[14:15], v[8:9] op_sel_hi:[0,1,1]
	v_pk_fma_f32 v[8:9], v[76:77], v[14:15], v[8:9] neg_lo:[0,0,1] neg_hi:[0,0,1]
	s_wait_loadcnt_dscnt 0x0
	v_pk_mul_f32 v[68:69], v[6:7], v[12:13]
	s_delay_alu instid0(VALU_DEP_1)
	v_pk_fma_f32 v[78:79], v[6:7], v[18:19], v[68:69] op_sel:[0,0,1] op_sel_hi:[1,1,0]
	v_pk_fma_f32 v[6:7], v[6:7], v[18:19], v[68:69] op_sel:[0,0,1] op_sel_hi:[1,1,0] neg_lo:[0,0,1] neg_hi:[0,0,1]
	v_mov_b32_e32 v9, v75
	v_add_nc_u64_e32 v[68:69], v[0:1], v[4:5]
	v_add_nc_u64_e32 v[0:1], s[30:31], v[0:1]
	v_mov_b32_e32 v7, v79
	s_delay_alu instid0(VALU_DEP_1)
	v_pk_add_f32 v[6:7], v[8:9], v[6:7]
	v_pk_mul_f32 v[8:9], v[72:73], v[10:11] op_sel_hi:[0,1]
	flat_store_b64 v[68:69], v[6:7]
	flat_load_b64 v[6:7], v[16:17] offset:128
	v_pk_fma_f32 v[74:75], v[70:71], v[14:15], v[8:9] op_sel_hi:[0,1,1]
	v_pk_fma_f32 v[8:9], v[70:71], v[14:15], v[8:9] neg_lo:[0,0,1] neg_hi:[0,0,1]
	s_wait_loadcnt_dscnt 0x0
	v_pk_mul_f32 v[72:73], v[6:7], v[12:13]
	s_delay_alu instid0(VALU_DEP_1) | instskip(SKIP_1) | instid1(VALU_DEP_2)
	v_pk_fma_f32 v[76:77], v[6:7], v[18:19], v[72:73] op_sel:[0,0,1] op_sel_hi:[1,1,0]
	v_pk_fma_f32 v[6:7], v[6:7], v[18:19], v[72:73] op_sel:[0,0,1] op_sel_hi:[1,1,0] neg_lo:[0,0,1] neg_hi:[0,0,1]
	v_dual_mov_b32 v9, v75 :: v_dual_mov_b32 v7, v77
	s_delay_alu instid0(VALU_DEP_1)
	v_pk_add_f32 v[6:7], v[8:9], v[6:7]
	v_pk_mul_f32 v[8:9], v[66:67], v[10:11] op_sel_hi:[0,1]
	flat_store_b64 v[68:69], v[6:7] offset:128
	flat_load_b64 v[6:7], v[16:17] offset:256
	v_pk_fma_f32 v[70:71], v[64:65], v[14:15], v[8:9] op_sel_hi:[0,1,1]
	v_pk_fma_f32 v[8:9], v[64:65], v[14:15], v[8:9] neg_lo:[0,0,1] neg_hi:[0,0,1]
	s_wait_loadcnt_dscnt 0x0
	v_pk_mul_f32 v[66:67], v[6:7], v[12:13]
	s_delay_alu instid0(VALU_DEP_1) | instskip(SKIP_1) | instid1(VALU_DEP_2)
	v_pk_fma_f32 v[72:73], v[6:7], v[18:19], v[66:67] op_sel:[0,0,1] op_sel_hi:[1,1,0]
	v_pk_fma_f32 v[6:7], v[6:7], v[18:19], v[66:67] op_sel:[0,0,1] op_sel_hi:[1,1,0] neg_lo:[0,0,1] neg_hi:[0,0,1]
	v_dual_mov_b32 v9, v71 :: v_dual_mov_b32 v7, v73
	s_delay_alu instid0(VALU_DEP_1)
	v_pk_add_f32 v[6:7], v[8:9], v[6:7]
	v_pk_mul_f32 v[8:9], v[62:63], v[10:11] op_sel_hi:[0,1]
	flat_store_b64 v[68:69], v[6:7] offset:256
	flat_load_b64 v[6:7], v[16:17] offset:384
	v_pk_fma_f32 v[62:63], v[60:61], v[14:15], v[8:9] op_sel_hi:[0,1,1]
	v_pk_fma_f32 v[8:9], v[60:61], v[14:15], v[8:9] neg_lo:[0,0,1] neg_hi:[0,0,1]
	s_wait_loadcnt_dscnt 0x0
	s_wait_xcnt 0x0
	v_pk_mul_f32 v[16:17], v[6:7], v[12:13]
	s_delay_alu instid0(VALU_DEP_1)
	v_pk_fma_f32 v[64:65], v[6:7], v[18:19], v[16:17] op_sel:[0,0,1] op_sel_hi:[1,1,0]
	v_pk_fma_f32 v[6:7], v[6:7], v[18:19], v[16:17] op_sel:[0,0,1] op_sel_hi:[1,1,0] neg_lo:[0,0,1] neg_hi:[0,0,1]
	v_mov_b32_e32 v9, v63
	v_add_nc_u64_e32 v[16:17], v[2:3], v[4:5]
	v_add_nc_u64_e32 v[2:3], s[26:27], v[2:3]
	v_mov_b32_e32 v7, v65
	s_delay_alu instid0(VALU_DEP_1) | instskip(SKIP_1) | instid1(VALU_DEP_4)
	v_pk_add_f32 v[6:7], v[8:9], v[6:7]
	v_pk_mul_f32 v[8:9], v[58:59], v[10:11] op_sel_hi:[0,1]
	v_add_nc_u64_e32 v[2:3], v[2:3], v[4:5]
	flat_store_b64 v[68:69], v[6:7] offset:384
	flat_load_b64 v[6:7], v[16:17]
	v_pk_fma_f32 v[60:61], v[56:57], v[14:15], v[8:9] op_sel_hi:[0,1,1]
	v_pk_fma_f32 v[8:9], v[56:57], v[14:15], v[8:9] neg_lo:[0,0,1] neg_hi:[0,0,1]
	v_add_nc_u64_e32 v[56:57], v[0:1], v[4:5]
	v_add_nc_u64_e32 v[0:1], s[30:31], v[0:1]
	s_delay_alu instid0(VALU_DEP_1) | instskip(SKIP_2) | instid1(VALU_DEP_1)
	v_add_nc_u64_e32 v[0:1], v[0:1], v[4:5]
	s_wait_loadcnt_dscnt 0x0
	v_pk_mul_f32 v[58:59], v[6:7], v[12:13]
	v_pk_fma_f32 v[62:63], v[6:7], v[18:19], v[58:59] op_sel:[0,0,1] op_sel_hi:[1,1,0]
	v_pk_fma_f32 v[6:7], v[6:7], v[18:19], v[58:59] op_sel:[0,0,1] op_sel_hi:[1,1,0] neg_lo:[0,0,1] neg_hi:[0,0,1]
	s_delay_alu instid0(VALU_DEP_2) | instskip(NEXT) | instid1(VALU_DEP_1)
	v_dual_mov_b32 v9, v61 :: v_dual_mov_b32 v7, v63
	v_pk_add_f32 v[6:7], v[8:9], v[6:7]
	v_pk_mul_f32 v[8:9], v[54:55], v[10:11] op_sel_hi:[0,1]
	flat_store_b64 v[56:57], v[6:7]
	flat_load_b64 v[6:7], v[16:17] offset:128
	v_pk_fma_f32 v[58:59], v[52:53], v[14:15], v[8:9] op_sel_hi:[0,1,1]
	v_pk_fma_f32 v[8:9], v[52:53], v[14:15], v[8:9] neg_lo:[0,0,1] neg_hi:[0,0,1]
	s_wait_loadcnt_dscnt 0x0
	v_pk_mul_f32 v[54:55], v[6:7], v[12:13]
	s_delay_alu instid0(VALU_DEP_1) | instskip(SKIP_1) | instid1(VALU_DEP_2)
	v_pk_fma_f32 v[60:61], v[6:7], v[18:19], v[54:55] op_sel:[0,0,1] op_sel_hi:[1,1,0]
	v_pk_fma_f32 v[6:7], v[6:7], v[18:19], v[54:55] op_sel:[0,0,1] op_sel_hi:[1,1,0] neg_lo:[0,0,1] neg_hi:[0,0,1]
	v_dual_mov_b32 v9, v59 :: v_dual_mov_b32 v7, v61
	s_delay_alu instid0(VALU_DEP_1)
	v_pk_add_f32 v[6:7], v[8:9], v[6:7]
	v_pk_mul_f32 v[8:9], v[50:51], v[10:11] op_sel_hi:[0,1]
	flat_store_b64 v[56:57], v[6:7] offset:128
	flat_load_b64 v[6:7], v[16:17] offset:256
	v_pk_fma_f32 v[52:53], v[48:49], v[14:15], v[8:9] op_sel_hi:[0,1,1]
	v_pk_fma_f32 v[8:9], v[48:49], v[14:15], v[8:9] neg_lo:[0,0,1] neg_hi:[0,0,1]
	s_wait_loadcnt_dscnt 0x0
	v_pk_mul_f32 v[50:51], v[6:7], v[12:13]
	s_delay_alu instid0(VALU_DEP_1) | instskip(SKIP_1) | instid1(VALU_DEP_2)
	v_pk_fma_f32 v[54:55], v[6:7], v[18:19], v[50:51] op_sel:[0,0,1] op_sel_hi:[1,1,0]
	v_pk_fma_f32 v[6:7], v[6:7], v[18:19], v[50:51] op_sel:[0,0,1] op_sel_hi:[1,1,0] neg_lo:[0,0,1] neg_hi:[0,0,1]
	v_dual_mov_b32 v9, v53 :: v_dual_mov_b32 v7, v55
	s_delay_alu instid0(VALU_DEP_1)
	v_pk_add_f32 v[6:7], v[8:9], v[6:7]
	v_pk_mul_f32 v[8:9], v[46:47], v[10:11] op_sel_hi:[0,1]
	flat_store_b64 v[56:57], v[6:7] offset:256
	flat_load_b64 v[6:7], v[16:17] offset:384
	v_pk_fma_f32 v[46:47], v[44:45], v[14:15], v[8:9] op_sel_hi:[0,1,1]
	v_pk_fma_f32 v[8:9], v[44:45], v[14:15], v[8:9] neg_lo:[0,0,1] neg_hi:[0,0,1]
	s_wait_loadcnt_dscnt 0x0
	s_wait_xcnt 0x0
	v_pk_mul_f32 v[16:17], v[6:7], v[12:13]
	s_delay_alu instid0(VALU_DEP_1) | instskip(SKIP_1) | instid1(VALU_DEP_2)
	v_pk_fma_f32 v[48:49], v[6:7], v[18:19], v[16:17] op_sel:[0,0,1] op_sel_hi:[1,1,0]
	v_pk_fma_f32 v[6:7], v[6:7], v[18:19], v[16:17] op_sel:[0,0,1] op_sel_hi:[1,1,0] neg_lo:[0,0,1] neg_hi:[0,0,1]
	v_dual_mov_b32 v9, v47 :: v_dual_mov_b32 v7, v49
	s_delay_alu instid0(VALU_DEP_1)
	v_pk_add_f32 v[6:7], v[8:9], v[6:7]
	v_pk_mul_f32 v[8:9], v[42:43], v[10:11] op_sel_hi:[0,1]
	flat_store_b64 v[56:57], v[6:7] offset:384
	flat_load_b64 v[6:7], v[2:3]
	v_pk_fma_f32 v[42:43], v[40:41], v[14:15], v[8:9] op_sel_hi:[0,1,1]
	v_pk_fma_f32 v[8:9], v[40:41], v[14:15], v[8:9] neg_lo:[0,0,1] neg_hi:[0,0,1]
	s_wait_loadcnt_dscnt 0x0
	v_pk_mul_f32 v[16:17], v[6:7], v[12:13]
	s_delay_alu instid0(VALU_DEP_1) | instskip(SKIP_1) | instid1(VALU_DEP_2)
	v_pk_fma_f32 v[44:45], v[6:7], v[18:19], v[16:17] op_sel:[0,0,1] op_sel_hi:[1,1,0]
	v_pk_fma_f32 v[6:7], v[6:7], v[18:19], v[16:17] op_sel:[0,0,1] op_sel_hi:[1,1,0] neg_lo:[0,0,1] neg_hi:[0,0,1]
	v_dual_mov_b32 v9, v43 :: v_dual_mov_b32 v7, v45
	s_delay_alu instid0(VALU_DEP_1)
	v_pk_add_f32 v[4:5], v[8:9], v[6:7]
	v_pk_mul_f32 v[6:7], v[38:39], v[10:11] op_sel_hi:[0,1]
	flat_store_b64 v[0:1], v[4:5]
	flat_load_b64 v[4:5], v[2:3] offset:128
	v_pk_fma_f32 v[16:17], v[36:37], v[14:15], v[6:7] op_sel_hi:[0,1,1]
	v_pk_fma_f32 v[6:7], v[36:37], v[14:15], v[6:7] neg_lo:[0,0,1] neg_hi:[0,0,1]
	s_wait_loadcnt_dscnt 0x0
	v_pk_mul_f32 v[8:9], v[4:5], v[12:13]
	s_delay_alu instid0(VALU_DEP_1) | instskip(SKIP_1) | instid1(VALU_DEP_2)
	v_pk_fma_f32 v[42:43], v[4:5], v[18:19], v[8:9] op_sel:[0,0,1] op_sel_hi:[1,1,0]
	v_pk_fma_f32 v[4:5], v[4:5], v[18:19], v[8:9] op_sel:[0,0,1] op_sel_hi:[1,1,0] neg_lo:[0,0,1] neg_hi:[0,0,1]
	v_dual_mov_b32 v7, v17 :: v_dual_mov_b32 v5, v43
	s_delay_alu instid0(VALU_DEP_1)
	v_pk_add_f32 v[4:5], v[6:7], v[4:5]
	v_pk_mul_f32 v[6:7], v[34:35], v[10:11] op_sel_hi:[0,1]
	flat_store_b64 v[0:1], v[4:5] offset:128
	flat_load_b64 v[4:5], v[2:3] offset:256
	v_pk_fma_f32 v[10:11], v[20:21], v[14:15], v[6:7] op_sel_hi:[0,1,1]
	v_pk_fma_f32 v[6:7], v[20:21], v[14:15], v[6:7] neg_lo:[0,0,1] neg_hi:[0,0,1]
	s_wait_loadcnt_dscnt 0x0
	v_pk_mul_f32 v[8:9], v[4:5], v[12:13]
	s_delay_alu instid0(VALU_DEP_1) | instskip(SKIP_2) | instid1(VALU_DEP_3)
	v_pk_fma_f32 v[12:13], v[4:5], v[18:19], v[8:9] op_sel:[0,0,1] op_sel_hi:[1,1,0]
	v_pk_fma_f32 v[4:5], v[4:5], v[18:19], v[8:9] op_sel:[0,0,1] op_sel_hi:[1,1,0] neg_lo:[0,0,1] neg_hi:[0,0,1]
	v_dual_mov_b32 v7, v11 :: v_dual_mul_f32 v9, s22, v32
	v_mov_b32_e32 v5, v13
	s_delay_alu instid0(VALU_DEP_2) | instskip(NEXT) | instid1(VALU_DEP_2)
	v_fma_f32 v9, -v33, s36, v9
	v_pk_add_f32 v[4:5], v[6:7], v[4:5]
	flat_store_b64 v[0:1], v[4:5] offset:256
	flat_load_b64 v[2:3], v[2:3] offset:384
	s_wait_xcnt 0x1
	v_mov_b64_e32 v[4:5], s[28:29]
	s_wait_loadcnt_dscnt 0x0
	v_dual_mul_f32 v6, s35, v3 :: v_dual_mov_b32 v7, v2
	s_delay_alu instid0(VALU_DEP_1) | instskip(SKIP_2) | instid1(VALU_DEP_1)
	v_fma_f32 v8, v2, s34, -v6
	s_wait_xcnt 0x0
	v_dual_mov_b32 v2, v33 :: v_dual_mov_b32 v6, v32
	v_pk_mul_f32 v[2:3], v[2:3], v[4:5]
	v_mov_b64_e32 v[4:5], s[14:15]
	s_delay_alu instid0(VALU_DEP_1) | instskip(SKIP_1) | instid1(VALU_DEP_2)
	v_pk_fma_f32 v[4:5], v[6:7], v[4:5], v[2:3]
	v_add_nc_u64_e32 v[2:3], 0x180, v[0:1]
	v_dual_add_f32 v6, v9, v8 :: v_dual_add_f32 v4, v4, v5
	flat_store_b32 v[0:1], v6 offset:384
	s_branch .LBB230_2
.LBB230_10:
	s_sendmsg sendmsg(MSG_DEALLOC_VGPRS)
	s_endpgm
	.section	.rodata,"a",@progbits
	.p2align	6, 0x0
	.amdhsa_kernel _ZN12_GLOBAL__N_127rocblas_gemm_batched_kernelI19rocblas_complex_numIfELi16ELi16ELi64ELi64ELi4ELi64ELi4ELi4ELi64ELc78ELc67EKPKS2_S5_KPS2_EEvlllT_PT11_llSA_llS8_PT12_llPT13_lli
		.amdhsa_group_segment_fixed_size 4096
		.amdhsa_private_segment_fixed_size 0
		.amdhsa_kernarg_size 140
		.amdhsa_user_sgpr_count 2
		.amdhsa_user_sgpr_dispatch_ptr 0
		.amdhsa_user_sgpr_queue_ptr 0
		.amdhsa_user_sgpr_kernarg_segment_ptr 1
		.amdhsa_user_sgpr_dispatch_id 0
		.amdhsa_user_sgpr_kernarg_preload_length 0
		.amdhsa_user_sgpr_kernarg_preload_offset 0
		.amdhsa_user_sgpr_private_segment_size 0
		.amdhsa_wavefront_size32 1
		.amdhsa_uses_dynamic_stack 0
		.amdhsa_enable_private_segment 0
		.amdhsa_system_sgpr_workgroup_id_x 1
		.amdhsa_system_sgpr_workgroup_id_y 1
		.amdhsa_system_sgpr_workgroup_id_z 1
		.amdhsa_system_sgpr_workgroup_info 0
		.amdhsa_system_vgpr_workitem_id 1
		.amdhsa_next_free_vgpr 198
		.amdhsa_next_free_sgpr 46
		.amdhsa_named_barrier_count 0
		.amdhsa_reserve_vcc 1
		.amdhsa_float_round_mode_32 0
		.amdhsa_float_round_mode_16_64 0
		.amdhsa_float_denorm_mode_32 3
		.amdhsa_float_denorm_mode_16_64 3
		.amdhsa_fp16_overflow 0
		.amdhsa_memory_ordered 1
		.amdhsa_forward_progress 1
		.amdhsa_inst_pref_size 48
		.amdhsa_round_robin_scheduling 0
		.amdhsa_exception_fp_ieee_invalid_op 0
		.amdhsa_exception_fp_denorm_src 0
		.amdhsa_exception_fp_ieee_div_zero 0
		.amdhsa_exception_fp_ieee_overflow 0
		.amdhsa_exception_fp_ieee_underflow 0
		.amdhsa_exception_fp_ieee_inexact 0
		.amdhsa_exception_int_div_zero 0
	.end_amdhsa_kernel
	.section	.text._ZN12_GLOBAL__N_127rocblas_gemm_batched_kernelI19rocblas_complex_numIfELi16ELi16ELi64ELi64ELi4ELi64ELi4ELi4ELi64ELc78ELc67EKPKS2_S5_KPS2_EEvlllT_PT11_llSA_llS8_PT12_llPT13_lli,"axG",@progbits,_ZN12_GLOBAL__N_127rocblas_gemm_batched_kernelI19rocblas_complex_numIfELi16ELi16ELi64ELi64ELi4ELi64ELi4ELi4ELi64ELc78ELc67EKPKS2_S5_KPS2_EEvlllT_PT11_llSA_llS8_PT12_llPT13_lli,comdat
.Lfunc_end230:
	.size	_ZN12_GLOBAL__N_127rocblas_gemm_batched_kernelI19rocblas_complex_numIfELi16ELi16ELi64ELi64ELi4ELi64ELi4ELi4ELi64ELc78ELc67EKPKS2_S5_KPS2_EEvlllT_PT11_llSA_llS8_PT12_llPT13_lli, .Lfunc_end230-_ZN12_GLOBAL__N_127rocblas_gemm_batched_kernelI19rocblas_complex_numIfELi16ELi16ELi64ELi64ELi4ELi64ELi4ELi4ELi64ELc78ELc67EKPKS2_S5_KPS2_EEvlllT_PT11_llSA_llS8_PT12_llPT13_lli
                                        ; -- End function
	.set _ZN12_GLOBAL__N_127rocblas_gemm_batched_kernelI19rocblas_complex_numIfELi16ELi16ELi64ELi64ELi4ELi64ELi4ELi4ELi64ELc78ELc67EKPKS2_S5_KPS2_EEvlllT_PT11_llSA_llS8_PT12_llPT13_lli.num_vgpr, 198
	.set _ZN12_GLOBAL__N_127rocblas_gemm_batched_kernelI19rocblas_complex_numIfELi16ELi16ELi64ELi64ELi4ELi64ELi4ELi4ELi64ELc78ELc67EKPKS2_S5_KPS2_EEvlllT_PT11_llSA_llS8_PT12_llPT13_lli.num_agpr, 0
	.set _ZN12_GLOBAL__N_127rocblas_gemm_batched_kernelI19rocblas_complex_numIfELi16ELi16ELi64ELi64ELi4ELi64ELi4ELi4ELi64ELc78ELc67EKPKS2_S5_KPS2_EEvlllT_PT11_llSA_llS8_PT12_llPT13_lli.numbered_sgpr, 46
	.set _ZN12_GLOBAL__N_127rocblas_gemm_batched_kernelI19rocblas_complex_numIfELi16ELi16ELi64ELi64ELi4ELi64ELi4ELi4ELi64ELc78ELc67EKPKS2_S5_KPS2_EEvlllT_PT11_llSA_llS8_PT12_llPT13_lli.num_named_barrier, 0
	.set _ZN12_GLOBAL__N_127rocblas_gemm_batched_kernelI19rocblas_complex_numIfELi16ELi16ELi64ELi64ELi4ELi64ELi4ELi4ELi64ELc78ELc67EKPKS2_S5_KPS2_EEvlllT_PT11_llSA_llS8_PT12_llPT13_lli.private_seg_size, 0
	.set _ZN12_GLOBAL__N_127rocblas_gemm_batched_kernelI19rocblas_complex_numIfELi16ELi16ELi64ELi64ELi4ELi64ELi4ELi4ELi64ELc78ELc67EKPKS2_S5_KPS2_EEvlllT_PT11_llSA_llS8_PT12_llPT13_lli.uses_vcc, 1
	.set _ZN12_GLOBAL__N_127rocblas_gemm_batched_kernelI19rocblas_complex_numIfELi16ELi16ELi64ELi64ELi4ELi64ELi4ELi4ELi64ELc78ELc67EKPKS2_S5_KPS2_EEvlllT_PT11_llSA_llS8_PT12_llPT13_lli.uses_flat_scratch, 1
	.set _ZN12_GLOBAL__N_127rocblas_gemm_batched_kernelI19rocblas_complex_numIfELi16ELi16ELi64ELi64ELi4ELi64ELi4ELi4ELi64ELc78ELc67EKPKS2_S5_KPS2_EEvlllT_PT11_llSA_llS8_PT12_llPT13_lli.has_dyn_sized_stack, 0
	.set _ZN12_GLOBAL__N_127rocblas_gemm_batched_kernelI19rocblas_complex_numIfELi16ELi16ELi64ELi64ELi4ELi64ELi4ELi4ELi64ELc78ELc67EKPKS2_S5_KPS2_EEvlllT_PT11_llSA_llS8_PT12_llPT13_lli.has_recursion, 0
	.set _ZN12_GLOBAL__N_127rocblas_gemm_batched_kernelI19rocblas_complex_numIfELi16ELi16ELi64ELi64ELi4ELi64ELi4ELi4ELi64ELc78ELc67EKPKS2_S5_KPS2_EEvlllT_PT11_llSA_llS8_PT12_llPT13_lli.has_indirect_call, 0
	.section	.AMDGPU.csdata,"",@progbits
; Kernel info:
; codeLenInByte = 6060
; TotalNumSgprs: 48
; NumVgprs: 198
; ScratchSize: 0
; MemoryBound: 0
; FloatMode: 240
; IeeeMode: 1
; LDSByteSize: 4096 bytes/workgroup (compile time only)
; SGPRBlocks: 0
; VGPRBlocks: 12
; NumSGPRsForWavesPerEU: 48
; NumVGPRsForWavesPerEU: 198
; NamedBarCnt: 0
; Occupancy: 4
; WaveLimiterHint : 1
; COMPUTE_PGM_RSRC2:SCRATCH_EN: 0
; COMPUTE_PGM_RSRC2:USER_SGPR: 2
; COMPUTE_PGM_RSRC2:TRAP_HANDLER: 0
; COMPUTE_PGM_RSRC2:TGID_X_EN: 1
; COMPUTE_PGM_RSRC2:TGID_Y_EN: 1
; COMPUTE_PGM_RSRC2:TGID_Z_EN: 1
; COMPUTE_PGM_RSRC2:TIDIG_COMP_CNT: 1
	.section	.text._ZN12_GLOBAL__N_127rocblas_gemm_batched_kernelI19rocblas_complex_numIfELi16ELi16ELi64ELi64ELi4ELi64ELi4ELi4ELi64ELc84ELc67EKPKS2_S5_KPS2_EEvlllT_PT11_llSA_llS8_PT12_llPT13_lli,"axG",@progbits,_ZN12_GLOBAL__N_127rocblas_gemm_batched_kernelI19rocblas_complex_numIfELi16ELi16ELi64ELi64ELi4ELi64ELi4ELi4ELi64ELc84ELc67EKPKS2_S5_KPS2_EEvlllT_PT11_llSA_llS8_PT12_llPT13_lli,comdat
	.globl	_ZN12_GLOBAL__N_127rocblas_gemm_batched_kernelI19rocblas_complex_numIfELi16ELi16ELi64ELi64ELi4ELi64ELi4ELi4ELi64ELc84ELc67EKPKS2_S5_KPS2_EEvlllT_PT11_llSA_llS8_PT12_llPT13_lli ; -- Begin function _ZN12_GLOBAL__N_127rocblas_gemm_batched_kernelI19rocblas_complex_numIfELi16ELi16ELi64ELi64ELi4ELi64ELi4ELi4ELi64ELc84ELc67EKPKS2_S5_KPS2_EEvlllT_PT11_llSA_llS8_PT12_llPT13_lli
	.p2align	8
	.type	_ZN12_GLOBAL__N_127rocblas_gemm_batched_kernelI19rocblas_complex_numIfELi16ELi16ELi64ELi64ELi4ELi64ELi4ELi4ELi64ELc84ELc67EKPKS2_S5_KPS2_EEvlllT_PT11_llSA_llS8_PT12_llPT13_lli,@function
_ZN12_GLOBAL__N_127rocblas_gemm_batched_kernelI19rocblas_complex_numIfELi16ELi16ELi64ELi64ELi4ELi64ELi4ELi4ELi64ELc84ELc67EKPKS2_S5_KPS2_EEvlllT_PT11_llSA_llS8_PT12_llPT13_lli: ; @_ZN12_GLOBAL__N_127rocblas_gemm_batched_kernelI19rocblas_complex_numIfELi16ELi16ELi64ELi64ELi4ELi64ELi4ELi4ELi64ELc84ELc67EKPKS2_S5_KPS2_EEvlllT_PT11_llSA_llS8_PT12_llPT13_lli
; %bb.0:
	s_load_b32 s33, s[0:1], 0x88
	s_bfe_u32 s2, ttmp6, 0x40014
	s_lshr_b32 s3, ttmp7, 16
	s_add_co_i32 s2, s2, 1
	s_bfe_u32 s4, ttmp6, 0x40008
	s_mul_i32 s2, s3, s2
	s_getreg_b32 s12, hwreg(HW_REG_IB_STS2, 6, 4)
	s_add_co_i32 s4, s4, s2
	s_cmp_eq_u32 s12, 0
	s_cselect_b32 s2, s3, s4
	s_mov_b32 s3, 0
	s_wait_kmcnt 0x0
	s_cmp_ge_i32 s2, s33
	s_cbranch_scc1 .LBB231_10
; %bb.1:
	v_bfe_u32 v20, v0, 10, 10
	v_and_b32_e32 v2, 0x3ff, v0
	s_clause 0x1
	s_load_b256 s[4:11], s[0:1], 0x20
	s_load_b128 s[24:27], s[0:1], 0x40
	s_bfe_u32 s14, ttmp6, 0x4000c
	s_bfe_u32 s15, ttmp6, 0x40010
	s_add_co_i32 s14, s14, 1
	s_and_b32 s16, ttmp7, 0xffff
	s_add_co_i32 s15, s15, 1
	v_lshl_add_u32 v3, v20, 4, v2
	v_mov_b32_e32 v21, 0
	s_and_b32 s13, ttmp6, 15
	s_mul_i32 s14, ttmp9, s14
	s_mul_i32 s15, s16, s15
	s_bfe_u32 s17, ttmp6, 0x40004
	s_add_co_i32 s13, s13, s14
	s_add_co_i32 s17, s17, s15
	s_cmp_eq_u32 s12, 0
	v_dual_mov_b32 v5, v21 :: v_dual_lshrrev_b32 v4, 2, v3
	v_and_b32_e32 v8, 63, v3
	s_cselect_b32 s12, s16, s17
	s_cselect_b32 s20, ttmp9, s13
	s_lshl_b32 s36, s12, 6
	s_mov_b32 s37, s3
	s_ashr_i32 s21, s20, 31
	v_add_nc_u64_e32 v[6:7], s[36:37], v[4:5]
	s_lshl_b64 s[38:39], s[20:21], 6
	v_and_b32_e32 v5, 3, v0
	s_clause 0x3
	s_load_b128 s[28:31], s[0:1], 0x78
	s_load_b256 s[12:19], s[0:1], 0x58
	s_load_b64 s[34:35], s[0:1], 0x50
	s_load_b128 s[20:23], s[0:1], 0x10
	s_wait_kmcnt 0x0
	v_mad_nc_u64_u32 v[0:1], s24, v5, v[6:7]
	v_dual_mov_b32 v7, s39 :: v_dual_bitop2_b32 v6, s38, v8 bitop3:0x54
	v_dual_lshlrev_b32 v9, 3, v5 :: v_dual_lshrrev_b32 v10, 6, v3
	v_dual_mov_b32 v3, v21 :: v_dual_lshlrev_b32 v8, 3, v8
	v_lshlrev_b32_e32 v39, 3, v2
	s_delay_alu instid0(VALU_DEP_4) | instskip(NEXT) | instid1(VALU_DEP_4)
	v_mul_u64_e32 v[6:7], s[6:7], v[6:7]
	v_lshl_or_b32 v9, v4, 5, v9
	v_lshl_add_u32 v41, v20, 5, 0x800
	v_mad_u32 v1, s25, v5, v1
	v_add_nc_u64_e32 v[4:5], s[36:37], v[20:21]
	v_add_nc_u64_e32 v[26:27], s[38:39], v[2:3]
	v_lshl_or_b32 v35, v10, 9, v8
	v_add_nc_u32_e32 v37, 0x800, v9
	s_or_b32 s0, s34, s35
	s_delay_alu instid0(VALU_DEP_4)
	v_mul_u64_e32 v[22:23], s[28:29], v[4:5]
	v_mul_u64_e32 v[24:25], s[14:15], v[4:5]
	s_bitset0_b32 s0, 31
	v_lshlrev_b64_e32 v[0:1], 3, v[0:1]
	s_cmp_eq_u32 s0, 0
	v_cmp_gt_i64_e64 s0, s[20:21], 0
	s_cselect_b32 s1, -1, 0
	s_lshl_b64 s[42:43], s[8:9], 3
	s_lshl_b64 s[38:39], s[28:29], 4
	;; [unrolled: 1-line block ×3, first 2 shown]
	v_lshl_add_u64 v[28:29], s[26:27], 3, v[0:1]
	v_lshlrev_b32_e32 v20, 3, v10
	v_cndmask_b32_e64 v0, 0, 1, s0
	s_mov_b32 s6, s23
	s_mov_b32 s7, s22
	v_or_b32_e32 v28, 4, v28
	s_mov_b32 s14, s23
	v_cmp_ne_u32_e64 s0, 1, v0
	s_mov_b32 s15, s35
	s_mov_b32 s28, s22
	;; [unrolled: 1-line block ×3, first 2 shown]
	v_lshl_add_u64 v[2:3], v[6:7], 3, s[42:43]
	s_mov_b32 s36, s34
	s_mov_b32 s37, s34
	;; [unrolled: 1-line block ×4, first 2 shown]
	v_add_nc_u64_e32 v[30:31], v[2:3], v[20:21]
	s_lshl_b64 s[24:25], s[24:25], 5
	s_lshl_b64 s[26:27], s[30:31], 3
	;; [unrolled: 1-line block ×5, first 2 shown]
	s_branch .LBB231_3
.LBB231_2:                              ;   in Loop: Header=BB231_3 Depth=1
	s_add_co_i32 s2, s2, 0x10000
	flat_store_b32 v[2:3], v4 offset:4
	s_cmp_lt_i32 s2, s33
	s_cbranch_scc0 .LBB231_10
.LBB231_3:                              ; =>This Loop Header: Depth=1
                                        ;     Child Loop BB231_5 Depth 2
	s_wait_xcnt 0x1
	v_dual_mov_b32 v0, s2 :: v_dual_mov_b32 v33, 0
	v_dual_mov_b32 v32, 0 :: v_dual_mov_b32 v90, 0
	;; [unrolled: 1-line block ×3, first 2 shown]
	s_clause 0x1
	global_load_b64 v[68:69], v0, s[12:13] scale_offset
	global_load_b64 v[92:93], v0, s[18:19] scale_offset
	v_dual_mov_b32 v88, 0 :: v_dual_mov_b32 v82, 0
	v_dual_mov_b32 v84, 0 :: v_dual_mov_b32 v78, 0
	;; [unrolled: 1-line block ×13, first 2 shown]
	v_mov_b32_e32 v34, 0
	s_and_b32 vcc_lo, exec_lo, s0
	s_cbranch_vccnz .LBB231_6
; %bb.4:                                ;   in Loop: Header=BB231_3 Depth=1
	s_lshl_b64 s[40:41], s[2:3], 3
	v_dual_mov_b32 v34, 0 :: v_dual_mov_b32 v20, 0
	s_add_nc_u64 s[42:43], s[4:5], s[40:41]
	s_add_nc_u64 s[40:41], s[10:11], s[40:41]
	s_clause 0x1
	global_load_b64 v[0:1], v21, s[42:43]
	global_load_b64 v[2:3], v21, s[40:41]
	v_dual_mov_b32 v38, 0 :: v_dual_mov_b32 v36, 0
	v_dual_mov_b32 v42, 0 :: v_dual_mov_b32 v40, 0
	;; [unrolled: 1-line block ×15, first 2 shown]
	s_wait_xcnt 0x0
	s_mov_b64 s[40:41], 0
	s_wait_loadcnt 0x1
	v_add_nc_u64_e32 v[96:97], v[0:1], v[30:31]
	s_wait_loadcnt 0x0
	v_add_nc_u64_e32 v[98:99], v[2:3], v[28:29]
.LBB231_5:                              ;   Parent Loop BB231_3 Depth=1
                                        ; =>  This Inner Loop Header: Depth=2
	flat_load_b64 v[0:1], v[96:97]
	s_add_nc_u64 s[40:41], s[40:41], 4
	s_wait_xcnt 0x0
	v_add_nc_u64_e32 v[96:97], 32, v[96:97]
	v_cmp_lt_i64_e64 s42, s[40:41], s[20:21]
	s_and_b32 vcc_lo, exec_lo, s42
	s_wait_loadcnt_dscnt 0x0
	ds_store_b64 v35, v[0:1]
	flat_load_b64 v[0:1], v[98:99] offset:-4
	s_wait_xcnt 0x0
	v_add_nc_u64_e32 v[98:99], s[24:25], v[98:99]
	s_wait_loadcnt_dscnt 0x0
	v_xor_b32_e32 v1, 0x80000000, v1
	ds_store_b64 v37, v[0:1]
	s_wait_dscnt 0x0
	s_barrier_signal -1
	s_barrier_wait -1
	ds_load_2addr_b64 v[0:3], v39 offset1:16
	ds_load_b128 v[8:11], v41
	ds_load_2addr_b64 v[4:7], v39 offset0:32 offset1:48
	ds_load_2addr_b64 v[12:15], v39 offset0:64 offset1:80
	;; [unrolled: 1-line block ×3, first 2 shown]
	ds_load_b128 v[100:103], v41 offset:16
	ds_load_2addr_b64 v[104:107], v39 offset0:128 offset1:144
	ds_load_2addr_b64 v[108:111], v39 offset0:160 offset1:176
	ds_load_2addr_b64 v[112:115], v39 offset0:192 offset1:208
	ds_load_2addr_b64 v[116:119], v39 offset0:224 offset1:240
	ds_load_b128 v[120:123], v41 offset:512
	ds_load_b128 v[124:127], v41 offset:528
	;; [unrolled: 1-line block ×6, first 2 shown]
	s_wait_dscnt 0x0
	s_barrier_signal -1
	s_barrier_wait -1
	v_dual_mul_f32 v43, v9, v1 :: v_dual_mul_f32 v45, v8, v1
	v_dual_mul_f32 v47, v9, v3 :: v_dual_mul_f32 v49, v8, v3
	;; [unrolled: 1-line block ×27, first 2 shown]
	v_dual_fma_f32 v43, v8, v0, -v43 :: v_dual_fmac_f32 v45, v9, v0
	v_dual_fma_f32 v47, v8, v2, -v47 :: v_dual_fmac_f32 v49, v9, v2
	;; [unrolled: 1-line block ×6, first 2 shown]
	v_dual_fma_f32 v67, v10, v16, -v67 :: v_dual_fma_f32 v73, v10, v18, -v73
	v_dual_fmac_f32 v71, v11, v16 :: v_dual_mul_f32 v171, v138, v13
	v_dual_fmac_f32 v75, v11, v18 :: v_dual_fma_f32 v77, v120, v0, -v77
	v_pk_mul_f32 v[8:9], v[136:137], v[6:7] op_sel:[1,1] op_sel_hi:[0,1]
	v_dual_mul_f32 v5, v139, v13 :: v_dual_fmac_f32 v79, v121, v0
	v_dual_mov_b32 v10, v139 :: v_dual_mov_b32 v11, v138
	v_dual_fma_f32 v81, v120, v2, -v81 :: v_dual_fmac_f32 v83, v121, v2
	v_dual_fma_f32 v85, v120, v4, -v85 :: v_dual_fmac_f32 v87, v121, v4
	;; [unrolled: 1-line block ×16, first 2 shown]
	v_dual_fma_f32 v159, v136, v2, -v1 :: v_dual_mul_f32 v161, v101, v107
	v_dual_fmac_f32 v169, v137, v2 :: v_dual_mul_f32 v163, v100, v107
	v_dual_fma_f32 v165, v136, v4, -v3 :: v_dual_fmac_f32 v170, v137, v4
	v_pk_fma_f32 v[0:1], v[136:137], v[6:7], v[8:9] neg_lo:[0,0,1] neg_hi:[0,0,1]
	v_pk_fma_f32 v[2:3], v[136:137], v[6:7], v[8:9] op_sel_hi:[1,0,1]
	v_dual_fma_f32 v137, v138, v12, -v5 :: v_dual_fmac_f32 v171, v139, v12
	v_pk_mul_f32 v[4:5], v[10:11], v[18:19] op_sel:[0,1]
	v_dual_mul_f32 v13, v139, v15 :: v_dual_mul_f32 v123, v138, v15
	v_dual_mul_f32 v15, v139, v17 :: v_dual_mul_f32 v17, v138, v17
	s_delay_alu instid0(VALU_DEP_3)
	v_pk_fma_f32 v[6:7], v[138:139], v[18:19], v[4:5] neg_lo:[0,0,1] neg_hi:[0,0,1]
	v_pk_fma_f32 v[4:5], v[138:139], v[18:19], v[4:5] op_sel_hi:[1,0,1]
	v_dual_mul_f32 v131, v101, v105 :: v_dual_mul_f32 v155, v100, v105
	v_dual_mul_f32 v1, v101, v109 :: v_dual_mul_f32 v2, v100, v109
	;; [unrolled: 1-line block ×4, first 2 shown]
	v_dual_mul_f32 v136, v100, v111 :: v_dual_fma_f32 v167, v138, v14, -v13
	v_fmac_f32_e32 v123, v139, v14
	v_dual_mul_f32 v9, v103, v113 :: v_dual_mul_f32 v172, v102, v113
	v_dual_fma_f32 v173, v138, v16, -v15 :: v_dual_fmac_f32 v17, v139, v16
	v_mul_f32_e32 v16, v102, v115
	v_dual_mul_f32 v10, v103, v119 :: v_dual_mul_f32 v19, v102, v119
	v_dual_fma_f32 v131, v100, v104, -v131 :: v_dual_fma_f32 v139, v100, v106, -v161
	v_dual_fmac_f32 v163, v101, v106 :: v_dual_fma_f32 v161, v100, v108, -v1
	v_dual_fma_f32 v4, v102, v114, -v4 :: v_dual_fma_f32 v174, v102, v116, -v7
	v_dual_mul_f32 v1, v125, v107 :: v_dual_mul_f32 v7, v125, v109
	v_mul_f32_e32 v175, v124, v109
	v_dual_mul_f32 v11, v125, v105 :: v_dual_mul_f32 v138, v124, v105
	v_dual_fmac_f32 v155, v101, v104 :: v_dual_fma_f32 v100, v100, v110, -v8
	v_dual_fmac_f32 v2, v101, v108 :: v_dual_fmac_f32 v136, v101, v110
	v_dual_fma_f32 v101, v102, v112, -v9 :: v_dual_fmac_f32 v172, v103, v112
	v_dual_fmac_f32 v16, v103, v114 :: v_dual_fmac_f32 v18, v103, v116
	v_dual_fma_f32 v102, v102, v118, -v10 :: v_dual_fmac_f32 v19, v103, v118
	v_dual_mul_f32 v103, v124, v107 :: v_dual_fma_f32 v177, v124, v106, -v1
	v_dual_fma_f32 v178, v124, v108, -v7 :: v_dual_mul_f32 v1, v125, v111
	v_dual_fma_f32 v176, v124, v104, -v11 :: v_dual_fmac_f32 v138, v125, v104
	v_fmac_f32_e32 v175, v125, v108
	s_delay_alu instid0(VALU_DEP_4) | instskip(NEXT) | instid1(VALU_DEP_4)
	v_fmac_f32_e32 v103, v125, v106
	v_dual_fma_f32 v179, v124, v110, -v1 :: v_dual_mul_f32 v124, v124, v111
	v_dual_mul_f32 v1, v127, v113 :: v_dual_mul_f32 v180, v126, v113
	v_dual_mul_f32 v182, v126, v115 :: v_dual_mul_f32 v184, v126, v117
	s_delay_alu instid0(VALU_DEP_2) | instskip(NEXT) | instid1(VALU_DEP_3)
	v_dual_fmac_f32 v124, v125, v110 :: v_dual_fma_f32 v125, v126, v112, -v1
	v_dual_mul_f32 v1, v127, v115 :: v_dual_fmac_f32 v180, v127, v112
	v_dual_mul_f32 v186, v132, v105 :: v_dual_mul_f32 v188, v132, v107
	s_delay_alu instid0(VALU_DEP_2) | instskip(SKIP_3) | instid1(VALU_DEP_3)
	v_dual_mul_f32 v190, v132, v109 :: v_dual_fma_f32 v181, v126, v114, -v1
	v_dual_mul_f32 v1, v127, v117 :: v_dual_fmac_f32 v182, v127, v114
	v_dual_mul_f32 v192, v134, v113 :: v_dual_mul_f32 v194, v134, v115
	v_mul_f32_e32 v196, v134, v117
	v_dual_fma_f32 v183, v126, v116, -v1 :: v_dual_mul_f32 v1, v127, v119
	v_fmac_f32_e32 v184, v127, v116
	v_pk_mul_f32 v[8:9], v[140:141], v[110:111] op_sel:[1,1] op_sel_hi:[0,1]
	v_dual_mov_b32 v12, v143 :: v_dual_mov_b32 v13, v142
	s_delay_alu instid0(VALU_DEP_4) | instskip(SKIP_1) | instid1(VALU_DEP_4)
	v_dual_fma_f32 v185, v126, v118, -v1 :: v_dual_mul_f32 v126, v126, v119
	v_mul_f32_e32 v1, v133, v105
	v_pk_fma_f32 v[10:11], v[140:141], v[110:111], v[8:9] neg_lo:[0,0,1] neg_hi:[0,0,1]
	v_pk_fma_f32 v[8:9], v[140:141], v[110:111], v[8:9] op_sel_hi:[1,0,1]
	v_pk_mul_f32 v[12:13], v[12:13], v[118:119] op_sel:[0,1]
	s_delay_alu instid0(VALU_DEP_4) | instskip(SKIP_2) | instid1(VALU_DEP_4)
	v_dual_fmac_f32 v126, v127, v118 :: v_dual_fma_f32 v127, v132, v104, -v1
	v_dual_mul_f32 v1, v133, v107 :: v_dual_fmac_f32 v186, v133, v104
	v_add_f32_e32 v42, v42, v168
	v_pk_fma_f32 v[14:15], v[142:143], v[118:119], v[12:13] neg_lo:[0,0,1] neg_hi:[0,0,1]
	v_pk_fma_f32 v[12:13], v[142:143], v[118:119], v[12:13] op_sel_hi:[1,0,1]
	s_delay_alu instid0(VALU_DEP_4) | instskip(SKIP_2) | instid1(VALU_DEP_3)
	v_dual_fma_f32 v187, v132, v106, -v1 :: v_dual_mul_f32 v1, v133, v109
	v_dual_fmac_f32 v188, v133, v106 :: v_dual_add_f32 v12, v90, v43
	v_dual_add_f32 v43, v94, v45 :: v_dual_add_f32 v72, v72, v83
	v_dual_fma_f32 v189, v132, v108, -v1 :: v_dual_mul_f32 v1, v133, v111
	v_dual_fmac_f32 v190, v133, v108 :: v_dual_add_f32 v45, v86, v47
	v_dual_add_f32 v47, v88, v49 :: v_dual_add_f32 v49, v82, v51
	s_delay_alu instid0(VALU_DEP_3) | instskip(SKIP_2) | instid1(VALU_DEP_2)
	v_dual_fma_f32 v191, v132, v110, -v1 :: v_dual_mul_f32 v132, v132, v111
	v_dual_mul_f32 v1, v135, v113 :: v_dual_mul_f32 v111, v142, v115
	v_dual_add_f32 v51, v84, v53 :: v_dual_add_f32 v53, v78, v55
	v_dual_fmac_f32 v132, v133, v110 :: v_dual_fma_f32 v133, v134, v112, -v1
	v_dual_mul_f32 v1, v135, v115 :: v_dual_fmac_f32 v192, v135, v112
	v_add_f32_e32 v55, v80, v57
	v_dual_add_f32 v57, v76, v77 :: v_dual_add_f32 v74, v74, v79
	s_delay_alu instid0(VALU_DEP_3) | instskip(SKIP_3) | instid1(VALU_DEP_3)
	v_dual_add_f32 v64, v64, v85 :: v_dual_fma_f32 v193, v134, v114, -v1
	v_dual_mul_f32 v1, v135, v117 :: v_dual_fmac_f32 v194, v135, v114
	v_dual_add_f32 v70, v70, v81 :: v_dual_add_f32 v52, v52, v147
	v_dual_add_f32 v66, v66, v87 :: v_dual_add_f32 v60, v60, v89
	v_dual_fma_f32 v195, v134, v116, -v1 :: v_dual_mul_f32 v1, v135, v119
	v_dual_fmac_f32 v196, v135, v116 :: v_dual_add_f32 v62, v62, v91
	v_dual_add_f32 v56, v56, v145 :: v_dual_add_f32 v58, v58, v152
	s_delay_alu instid0(VALU_DEP_3) | instskip(SKIP_2) | instid1(VALU_DEP_2)
	v_dual_add_f32 v48, v48, v149 :: v_dual_fma_f32 v197, v134, v118, -v1
	v_dual_mul_f32 v134, v134, v119 :: v_dual_mul_f32 v1, v141, v105
	v_dual_mul_f32 v105, v140, v105 :: v_dual_add_f32 v54, v54, v154
	v_dual_add_f32 v44, v44, v128 :: v_dual_fmac_f32 v134, v135, v118
	s_delay_alu instid0(VALU_DEP_3) | instskip(NEXT) | instid1(VALU_DEP_3)
	v_dual_fma_f32 v135, v140, v104, -v1 :: v_dual_mul_f32 v1, v141, v107
	v_dual_fmac_f32 v105, v141, v104 :: v_dual_mul_f32 v107, v140, v107
	v_dual_add_f32 v50, v50, v156 :: v_dual_add_f32 v40, v40, v157
	s_delay_alu instid0(VALU_DEP_3) | instskip(NEXT) | instid1(VALU_DEP_3)
	v_dual_fma_f32 v104, v140, v106, -v1 :: v_dual_mul_f32 v1, v141, v109
	v_dual_mul_f32 v109, v140, v109 :: v_dual_fmac_f32 v107, v141, v106
	v_dual_add_f32 v46, v46, v158 :: v_dual_add_f32 v36, v36, v159
	s_delay_alu instid0(VALU_DEP_3) | instskip(NEXT) | instid1(VALU_DEP_3)
	v_dual_fma_f32 v106, v140, v108, -v1 :: v_dual_mul_f32 v1, v143, v113
	v_dual_fmac_f32 v109, v141, v108 :: v_dual_mul_f32 v108, v142, v113
	v_mul_f32_e32 v113, v142, v117
	v_dual_add_f32 v20, v20, v165 :: v_dual_add_f32 v34, v34, v170
	s_delay_alu instid0(VALU_DEP_3) | instskip(NEXT) | instid1(VALU_DEP_3)
	v_dual_fma_f32 v8, v142, v112, -v1 :: v_dual_fmac_f32 v108, v143, v112
	v_dual_mul_f32 v1, v143, v115 :: v_dual_fmac_f32 v113, v143, v116
	v_dual_mov_b32 v7, v5 :: v_dual_mov_b32 v15, v13
	s_delay_alu instid0(VALU_DEP_2) | instskip(SKIP_3) | instid1(VALU_DEP_3)
	v_dual_mov_b32 v11, v9 :: v_dual_fma_f32 v110, v142, v114, -v1
	v_dual_fmac_f32 v111, v143, v114 :: v_dual_mul_f32 v1, v143, v117
	v_dual_add_f32 v5, v12, v59 :: v_dual_add_f32 v9, v43, v61
	v_dual_add_f32 v12, v45, v63 :: v_dual_add_f32 v13, v47, v65
	v_dual_fma_f32 v112, v142, v116, -v1 :: v_dual_mov_b32 v1, v3
	v_add_f32_e32 v3, v38, v169
	v_dual_add_f32 v38, v53, v73 :: v_dual_add_f32 v43, v55, v75
	v_add_f32_e32 v45, v57, v95
	s_delay_alu instid0(VALU_DEP_4)
	v_pk_add_f32 v[0:1], v[32:33], v[0:1]
	v_dual_add_f32 v32, v49, v67 :: v_dual_add_f32 v47, v74, v144
	v_dual_add_f32 v33, v51, v71 :: v_dual_add_f32 v49, v70, v120
	v_add_f32_e32 v51, v72, v146
	v_dual_add_f32 v53, v64, v121 :: v_dual_add_f32 v55, v66, v148
	v_dual_add_f32 v57, v60, v122 :: v_dual_add_f32 v58, v58, v160
	v_dual_add_f32 v59, v62, v150 :: v_dual_add_f32 v56, v56, v129
	v_dual_add_f32 v52, v52, v151 :: v_dual_add_f32 v54, v54, v162
	v_dual_add_f32 v48, v48, v153 :: v_dual_add_f32 v50, v50, v164
	v_dual_add_f32 v44, v44, v130 :: v_dual_add_f32 v42, v42, v171
	v_dual_add_f32 v46, v46, v166 :: v_dual_add_f32 v40, v40, v137
	v_dual_add_f32 v36, v36, v167 :: v_dual_add_f32 v17, v34, v17
	v_dual_add_f32 v3, v3, v123 :: v_dual_add_f32 v20, v20, v173
	v_pk_add_f32 v[0:1], v[0:1], v[6:7]
	v_add_f32_e32 v5, v5, v131
	v_add_f32_e32 v6, v9, v155
	v_dual_add_f32 v7, v12, v139 :: v_dual_add_f32 v2, v33, v2
	v_dual_add_f32 v9, v13, v163 :: v_dual_add_f32 v12, v32, v161
	v_add_f32_e32 v13, v38, v100
	v_add_f32_e32 v32, v43, v136
	v_dual_add_f32 v33, v45, v176 :: v_dual_add_f32 v34, v47, v138
	v_dual_add_f32 v38, v49, v177 :: v_dual_add_f32 v43, v51, v103
	;; [unrolled: 1-line block ×11, first 2 shown]
	v_pk_add_f32 v[0:1], v[0:1], v[10:11]
	v_dual_add_f32 v90, v5, v101 :: v_dual_add_f32 v94, v6, v172
	v_dual_add_f32 v86, v7, v4 :: v_dual_add_f32 v82, v12, v174
	;; [unrolled: 1-line block ×15, first 2 shown]
	v_pk_add_f32 v[32:33], v[0:1], v[14:15]
	s_cbranch_vccnz .LBB231_5
.LBB231_6:                              ;   in Loop: Header=BB231_3 Depth=1
	s_wait_loadcnt 0x0
	s_wait_xcnt 0x0
	v_add_nc_u64_e32 v[0:1], s[26:27], v[92:93]
	s_and_not1_b32 vcc_lo, exec_lo, s1
	s_mov_b32 s40, -1
                                        ; implicit-def: $vgpr4
                                        ; implicit-def: $vgpr2_vgpr3
	s_cbranch_vccz .LBB231_8
; %bb.7:                                ;   in Loop: Header=BB231_3 Depth=1
	s_and_not1_b32 vcc_lo, exec_lo, s40
	s_cbranch_vccnz .LBB231_2
	s_branch .LBB231_9
.LBB231_8:                              ;   in Loop: Header=BB231_3 Depth=1
	v_mov_b64_e32 v[2:3], s[6:7]
	v_mov_b64_e32 v[8:9], s[22:23]
	v_lshlrev_b64_e32 v[4:5], 3, v[26:27]
	v_lshl_add_u64 v[6:7], v[22:23], 3, v[0:1]
	s_delay_alu instid0(VALU_DEP_4)
	v_pk_mul_f32 v[10:11], v[94:95], v[2:3] op_sel_hi:[0,1]
	v_pk_mul_f32 v[12:13], v[88:89], v[2:3] op_sel_hi:[0,1]
	;; [unrolled: 1-line block ×4, first 2 shown]
	v_add_nc_u64_e32 v[18:19], v[6:7], v[4:5]
	v_pk_fma_f32 v[92:93], v[90:91], v[8:9], v[10:11] neg_lo:[0,0,1] neg_hi:[0,0,1]
	v_pk_fma_f32 v[10:11], v[90:91], v[8:9], v[10:11] op_sel_hi:[0,1,1]
	v_pk_fma_f32 v[96:97], v[86:87], v[8:9], v[12:13] op_sel_hi:[0,1,1]
	;; [unrolled: 1-line block ×4, first 2 shown]
	v_pk_fma_f32 v[12:13], v[86:87], v[8:9], v[12:13] neg_lo:[0,0,1] neg_hi:[0,0,1]
	s_delay_alu instid0(VALU_DEP_4)
	v_dual_mov_b32 v93, v11 :: v_dual_mov_b32 v13, v97
	v_pk_fma_f32 v[10:11], v[82:83], v[8:9], v[14:15] neg_lo:[0,0,1] neg_hi:[0,0,1]
	v_mov_b32_e32 v11, v99
	v_pk_fma_f32 v[14:15], v[78:79], v[8:9], v[16:17] neg_lo:[0,0,1] neg_hi:[0,0,1]
	v_mov_b32_e32 v15, v101
	v_pk_mul_f32 v[16:17], v[74:75], v[2:3] op_sel_hi:[0,1]
	s_clause 0x3
	flat_store_b64 v[18:19], v[92:93]
	flat_store_b64 v[18:19], v[12:13] offset:128
	flat_store_b64 v[18:19], v[10:11] offset:256
	;; [unrolled: 1-line block ×3, first 2 shown]
	s_wait_xcnt 0x1
	v_pk_mul_f32 v[10:11], v[72:73], v[2:3] op_sel_hi:[0,1]
	s_wait_xcnt 0x0
	v_pk_mul_f32 v[18:19], v[66:67], v[2:3] op_sel_hi:[0,1]
	v_add_nc_u64_e32 v[6:7], s[38:39], v[6:7]
	v_pk_fma_f32 v[14:15], v[76:77], v[8:9], v[16:17] op_sel_hi:[0,1,1]
	v_pk_mul_f32 v[96:97], v[62:63], v[2:3] op_sel_hi:[0,1]
	v_pk_fma_f32 v[92:93], v[70:71], v[8:9], v[10:11] op_sel_hi:[0,1,1]
	v_pk_fma_f32 v[16:17], v[76:77], v[8:9], v[16:17] neg_lo:[0,0,1] neg_hi:[0,0,1]
	v_pk_fma_f32 v[10:11], v[70:71], v[8:9], v[10:11] neg_lo:[0,0,1] neg_hi:[0,0,1]
	v_mov_b32_e32 v17, v15
	v_pk_fma_f32 v[14:15], v[64:65], v[8:9], v[18:19] op_sel_hi:[0,1,1]
	v_mov_b32_e32 v11, v93
	v_pk_fma_f32 v[92:93], v[60:61], v[8:9], v[96:97] op_sel_hi:[0,1,1]
	v_add_nc_u64_e32 v[12:13], v[6:7], v[4:5]
	v_pk_fma_f32 v[18:19], v[64:65], v[8:9], v[18:19] neg_lo:[0,0,1] neg_hi:[0,0,1]
	v_mov_b32_e32 v19, v15
	v_pk_fma_f32 v[14:15], v[60:61], v[8:9], v[96:97] neg_lo:[0,0,1] neg_hi:[0,0,1]
	v_mov_b32_e32 v15, v93
	v_pk_mul_f32 v[92:93], v[58:59], v[2:3] op_sel_hi:[0,1]
	v_add_nc_u64_e32 v[6:7], s[38:39], v[6:7]
	s_clause 0x3
	flat_store_b64 v[12:13], v[16:17]
	flat_store_b64 v[12:13], v[10:11] offset:128
	flat_store_b64 v[12:13], v[18:19] offset:256
	;; [unrolled: 1-line block ×3, first 2 shown]
	s_wait_xcnt 0x0
	v_pk_mul_f32 v[12:13], v[54:55], v[2:3] op_sel_hi:[0,1]
	v_pk_mul_f32 v[16:17], v[50:51], v[2:3] op_sel_hi:[0,1]
	v_pk_fma_f32 v[14:15], v[56:57], v[8:9], v[92:93] op_sel_hi:[0,1,1]
	v_pk_fma_f32 v[18:19], v[56:57], v[8:9], v[92:93] neg_lo:[0,0,1] neg_hi:[0,0,1]
	v_pk_mul_f32 v[92:93], v[46:47], v[2:3] op_sel_hi:[0,1]
	v_pk_fma_f32 v[96:97], v[52:53], v[8:9], v[12:13] op_sel_hi:[0,1,1]
	v_add_nc_u64_e32 v[10:11], v[6:7], v[4:5]
	v_mov_b32_e32 v19, v15
	v_pk_fma_f32 v[14:15], v[48:49], v[8:9], v[16:17] op_sel_hi:[0,1,1]
	v_pk_fma_f32 v[98:99], v[44:45], v[8:9], v[92:93] op_sel_hi:[0,1,1]
	v_pk_fma_f32 v[12:13], v[52:53], v[8:9], v[12:13] neg_lo:[0,0,1] neg_hi:[0,0,1]
	v_mov_b32_e32 v13, v97
	v_pk_fma_f32 v[16:17], v[48:49], v[8:9], v[16:17] neg_lo:[0,0,1] neg_hi:[0,0,1]
	v_mov_b32_e32 v17, v15
	;; [unrolled: 2-line block ×3, first 2 shown]
	v_add_nc_u64_e32 v[6:7], s[38:39], v[6:7]
	v_pk_mul_f32 v[92:93], v[42:43], v[2:3] op_sel_hi:[0,1]
	s_clause 0x3
	flat_store_b64 v[10:11], v[18:19]
	flat_store_b64 v[10:11], v[12:13] offset:128
	flat_store_b64 v[10:11], v[16:17] offset:256
	;; [unrolled: 1-line block ×3, first 2 shown]
	s_wait_xcnt 0x0
	v_pk_mul_f32 v[10:11], v[38:39], v[2:3] op_sel_hi:[0,1]
	v_pk_fma_f32 v[12:13], v[40:41], v[8:9], v[92:93] op_sel_hi:[0,1,1]
	v_add_nc_u64_e32 v[6:7], v[6:7], v[4:5]
	v_pk_mul_f32 v[4:5], v[34:35], v[2:3] op_sel_hi:[0,1]
	s_delay_alu instid0(VALU_DEP_4)
	v_pk_fma_f32 v[16:17], v[36:37], v[8:9], v[10:11] op_sel_hi:[0,1,1]
	v_pk_fma_f32 v[14:15], v[40:41], v[8:9], v[92:93] neg_lo:[0,0,1] neg_hi:[0,0,1]
	v_pk_fma_f32 v[10:11], v[36:37], v[8:9], v[10:11] neg_lo:[0,0,1] neg_hi:[0,0,1]
	v_mov_b32_e32 v15, v13
	v_pk_fma_f32 v[12:13], v[20:21], v[8:9], v[4:5] op_sel_hi:[0,1,1]
	v_mov_b32_e32 v11, v17
	v_pk_mul_f32 v[16:17], v[32:33], v[2:3]
	v_mul_f32_e32 v12, s22, v32
	v_add_nc_u64_e32 v[2:3], 0x180, v[6:7]
	v_pk_fma_f32 v[8:9], v[20:21], v[8:9], v[4:5] neg_lo:[0,0,1] neg_hi:[0,0,1]
	s_delay_alu instid0(VALU_DEP_4) | instskip(NEXT) | instid1(VALU_DEP_4)
	v_dual_mov_b32 v9, v13 :: v_dual_add_f32 v4, v16, v17
	v_fma_f32 v5, -v33, s6, v12
	s_clause 0x3
	flat_store_b64 v[6:7], v[14:15]
	flat_store_b64 v[6:7], v[10:11] offset:128
	flat_store_b64 v[6:7], v[8:9] offset:256
	flat_store_b32 v[6:7], v5 offset:384
	s_cbranch_execnz .LBB231_2
.LBB231_9:                              ;   in Loop: Header=BB231_3 Depth=1
	v_add_nc_u64_e32 v[2:3], s[16:17], v[68:69]
	s_wait_xcnt 0x0
	v_lshlrev_b64_e32 v[4:5], 3, v[26:27]
	v_mov_b64_e32 v[10:11], s[6:7]
	v_mov_b64_e32 v[12:13], s[8:9]
	;; [unrolled: 1-line block ×4, first 2 shown]
	v_lshl_add_u64 v[0:1], v[22:23], 3, v[0:1]
	v_lshl_add_u64 v[2:3], v[24:25], 3, v[2:3]
	v_pk_mul_f32 v[16:17], v[94:95], v[10:11] op_sel_hi:[0,1]
	s_delay_alu instid0(VALU_DEP_2) | instskip(SKIP_1) | instid1(VALU_DEP_3)
	v_add_nc_u64_e32 v[6:7], v[2:3], v[4:5]
	v_add_nc_u64_e32 v[2:3], s[30:31], v[2:3]
	v_pk_fma_f32 v[92:93], v[90:91], v[14:15], v[16:17] op_sel_hi:[0,1,1]
	v_pk_fma_f32 v[16:17], v[90:91], v[14:15], v[16:17] neg_lo:[0,0,1] neg_hi:[0,0,1]
	flat_load_b64 v[8:9], v[6:7]
	s_wait_loadcnt_dscnt 0x0
	v_pk_mul_f32 v[68:69], v[8:9], v[12:13]
	s_delay_alu instid0(VALU_DEP_1)
	v_pk_fma_f32 v[94:95], v[8:9], v[18:19], v[68:69] op_sel:[0,0,1] op_sel_hi:[1,1,0]
	v_pk_fma_f32 v[8:9], v[8:9], v[18:19], v[68:69] op_sel:[0,0,1] op_sel_hi:[1,1,0] neg_lo:[0,0,1] neg_hi:[0,0,1]
	v_mov_b32_e32 v17, v93
	v_add_nc_u64_e32 v[68:69], v[0:1], v[4:5]
	v_add_nc_u64_e32 v[0:1], s[38:39], v[0:1]
	v_mov_b32_e32 v9, v95
	s_delay_alu instid0(VALU_DEP_1)
	v_pk_add_f32 v[8:9], v[16:17], v[8:9]
	v_pk_mul_f32 v[16:17], v[88:89], v[10:11] op_sel_hi:[0,1]
	flat_store_b64 v[68:69], v[8:9]
	flat_load_b64 v[8:9], v[6:7] offset:128
	v_pk_fma_f32 v[90:91], v[86:87], v[14:15], v[16:17] op_sel_hi:[0,1,1]
	v_pk_fma_f32 v[16:17], v[86:87], v[14:15], v[16:17] neg_lo:[0,0,1] neg_hi:[0,0,1]
	s_wait_loadcnt_dscnt 0x0
	v_pk_mul_f32 v[88:89], v[8:9], v[12:13]
	s_delay_alu instid0(VALU_DEP_1) | instskip(SKIP_1) | instid1(VALU_DEP_2)
	v_pk_fma_f32 v[92:93], v[8:9], v[18:19], v[88:89] op_sel:[0,0,1] op_sel_hi:[1,1,0]
	v_pk_fma_f32 v[8:9], v[8:9], v[18:19], v[88:89] op_sel:[0,0,1] op_sel_hi:[1,1,0] neg_lo:[0,0,1] neg_hi:[0,0,1]
	v_dual_mov_b32 v17, v91 :: v_dual_mov_b32 v9, v93
	s_delay_alu instid0(VALU_DEP_1)
	v_pk_add_f32 v[8:9], v[16:17], v[8:9]
	v_pk_mul_f32 v[16:17], v[84:85], v[10:11] op_sel_hi:[0,1]
	flat_store_b64 v[68:69], v[8:9] offset:128
	flat_load_b64 v[8:9], v[6:7] offset:256
	v_pk_fma_f32 v[86:87], v[82:83], v[14:15], v[16:17] op_sel_hi:[0,1,1]
	v_pk_fma_f32 v[16:17], v[82:83], v[14:15], v[16:17] neg_lo:[0,0,1] neg_hi:[0,0,1]
	s_wait_loadcnt_dscnt 0x0
	v_pk_mul_f32 v[84:85], v[8:9], v[12:13]
	s_delay_alu instid0(VALU_DEP_1) | instskip(SKIP_1) | instid1(VALU_DEP_2)
	v_pk_fma_f32 v[88:89], v[8:9], v[18:19], v[84:85] op_sel:[0,0,1] op_sel_hi:[1,1,0]
	v_pk_fma_f32 v[8:9], v[8:9], v[18:19], v[84:85] op_sel:[0,0,1] op_sel_hi:[1,1,0] neg_lo:[0,0,1] neg_hi:[0,0,1]
	v_dual_mov_b32 v17, v87 :: v_dual_mov_b32 v9, v89
	s_delay_alu instid0(VALU_DEP_1) | instskip(SKIP_4) | instid1(VALU_DEP_1)
	v_pk_add_f32 v[8:9], v[16:17], v[8:9]
	flat_store_b64 v[68:69], v[8:9] offset:256
	flat_load_b64 v[6:7], v[6:7] offset:384
	s_wait_xcnt 0x1
	v_pk_mul_f32 v[8:9], v[80:81], v[10:11] op_sel_hi:[0,1]
	v_pk_fma_f32 v[80:81], v[78:79], v[14:15], v[8:9] op_sel_hi:[0,1,1]
	v_pk_fma_f32 v[8:9], v[78:79], v[14:15], v[8:9] neg_lo:[0,0,1] neg_hi:[0,0,1]
	s_wait_loadcnt_dscnt 0x0
	v_pk_mul_f32 v[16:17], v[6:7], v[12:13]
	s_delay_alu instid0(VALU_DEP_1)
	v_pk_fma_f32 v[82:83], v[6:7], v[18:19], v[16:17] op_sel:[0,0,1] op_sel_hi:[1,1,0]
	s_wait_xcnt 0x0
	v_pk_fma_f32 v[6:7], v[6:7], v[18:19], v[16:17] op_sel:[0,0,1] op_sel_hi:[1,1,0] neg_lo:[0,0,1] neg_hi:[0,0,1]
	v_mov_b32_e32 v9, v81
	v_add_nc_u64_e32 v[16:17], v[2:3], v[4:5]
	v_add_nc_u64_e32 v[2:3], s[30:31], v[2:3]
	v_mov_b32_e32 v7, v83
	s_delay_alu instid0(VALU_DEP_1)
	v_pk_add_f32 v[6:7], v[8:9], v[6:7]
	v_pk_mul_f32 v[8:9], v[74:75], v[10:11] op_sel_hi:[0,1]
	flat_store_b64 v[68:69], v[6:7] offset:384
	flat_load_b64 v[6:7], v[16:17]
	v_pk_fma_f32 v[74:75], v[76:77], v[14:15], v[8:9] op_sel_hi:[0,1,1]
	v_pk_fma_f32 v[8:9], v[76:77], v[14:15], v[8:9] neg_lo:[0,0,1] neg_hi:[0,0,1]
	s_wait_loadcnt_dscnt 0x0
	v_pk_mul_f32 v[68:69], v[6:7], v[12:13]
	s_delay_alu instid0(VALU_DEP_1)
	v_pk_fma_f32 v[78:79], v[6:7], v[18:19], v[68:69] op_sel:[0,0,1] op_sel_hi:[1,1,0]
	v_pk_fma_f32 v[6:7], v[6:7], v[18:19], v[68:69] op_sel:[0,0,1] op_sel_hi:[1,1,0] neg_lo:[0,0,1] neg_hi:[0,0,1]
	v_mov_b32_e32 v9, v75
	v_add_nc_u64_e32 v[68:69], v[0:1], v[4:5]
	v_add_nc_u64_e32 v[0:1], s[38:39], v[0:1]
	v_mov_b32_e32 v7, v79
	s_delay_alu instid0(VALU_DEP_1)
	v_pk_add_f32 v[6:7], v[8:9], v[6:7]
	v_pk_mul_f32 v[8:9], v[72:73], v[10:11] op_sel_hi:[0,1]
	flat_store_b64 v[68:69], v[6:7]
	flat_load_b64 v[6:7], v[16:17] offset:128
	v_pk_fma_f32 v[74:75], v[70:71], v[14:15], v[8:9] op_sel_hi:[0,1,1]
	v_pk_fma_f32 v[8:9], v[70:71], v[14:15], v[8:9] neg_lo:[0,0,1] neg_hi:[0,0,1]
	s_wait_loadcnt_dscnt 0x0
	v_pk_mul_f32 v[72:73], v[6:7], v[12:13]
	s_delay_alu instid0(VALU_DEP_1) | instskip(SKIP_1) | instid1(VALU_DEP_2)
	v_pk_fma_f32 v[76:77], v[6:7], v[18:19], v[72:73] op_sel:[0,0,1] op_sel_hi:[1,1,0]
	v_pk_fma_f32 v[6:7], v[6:7], v[18:19], v[72:73] op_sel:[0,0,1] op_sel_hi:[1,1,0] neg_lo:[0,0,1] neg_hi:[0,0,1]
	v_dual_mov_b32 v9, v75 :: v_dual_mov_b32 v7, v77
	s_delay_alu instid0(VALU_DEP_1)
	v_pk_add_f32 v[6:7], v[8:9], v[6:7]
	v_pk_mul_f32 v[8:9], v[66:67], v[10:11] op_sel_hi:[0,1]
	flat_store_b64 v[68:69], v[6:7] offset:128
	flat_load_b64 v[6:7], v[16:17] offset:256
	v_pk_fma_f32 v[70:71], v[64:65], v[14:15], v[8:9] op_sel_hi:[0,1,1]
	v_pk_fma_f32 v[8:9], v[64:65], v[14:15], v[8:9] neg_lo:[0,0,1] neg_hi:[0,0,1]
	s_wait_loadcnt_dscnt 0x0
	v_pk_mul_f32 v[66:67], v[6:7], v[12:13]
	s_delay_alu instid0(VALU_DEP_1) | instskip(SKIP_1) | instid1(VALU_DEP_2)
	v_pk_fma_f32 v[72:73], v[6:7], v[18:19], v[66:67] op_sel:[0,0,1] op_sel_hi:[1,1,0]
	v_pk_fma_f32 v[6:7], v[6:7], v[18:19], v[66:67] op_sel:[0,0,1] op_sel_hi:[1,1,0] neg_lo:[0,0,1] neg_hi:[0,0,1]
	v_dual_mov_b32 v9, v71 :: v_dual_mov_b32 v7, v73
	s_delay_alu instid0(VALU_DEP_1)
	v_pk_add_f32 v[6:7], v[8:9], v[6:7]
	v_pk_mul_f32 v[8:9], v[62:63], v[10:11] op_sel_hi:[0,1]
	flat_store_b64 v[68:69], v[6:7] offset:256
	flat_load_b64 v[6:7], v[16:17] offset:384
	v_pk_fma_f32 v[62:63], v[60:61], v[14:15], v[8:9] op_sel_hi:[0,1,1]
	v_pk_fma_f32 v[8:9], v[60:61], v[14:15], v[8:9] neg_lo:[0,0,1] neg_hi:[0,0,1]
	s_wait_loadcnt_dscnt 0x0
	s_wait_xcnt 0x0
	v_pk_mul_f32 v[16:17], v[6:7], v[12:13]
	s_delay_alu instid0(VALU_DEP_1)
	v_pk_fma_f32 v[64:65], v[6:7], v[18:19], v[16:17] op_sel:[0,0,1] op_sel_hi:[1,1,0]
	v_pk_fma_f32 v[6:7], v[6:7], v[18:19], v[16:17] op_sel:[0,0,1] op_sel_hi:[1,1,0] neg_lo:[0,0,1] neg_hi:[0,0,1]
	v_mov_b32_e32 v9, v63
	v_add_nc_u64_e32 v[16:17], v[2:3], v[4:5]
	v_add_nc_u64_e32 v[2:3], s[30:31], v[2:3]
	v_mov_b32_e32 v7, v65
	s_delay_alu instid0(VALU_DEP_1) | instskip(SKIP_1) | instid1(VALU_DEP_4)
	v_pk_add_f32 v[6:7], v[8:9], v[6:7]
	v_pk_mul_f32 v[8:9], v[58:59], v[10:11] op_sel_hi:[0,1]
	v_add_nc_u64_e32 v[2:3], v[2:3], v[4:5]
	flat_store_b64 v[68:69], v[6:7] offset:384
	flat_load_b64 v[6:7], v[16:17]
	v_pk_fma_f32 v[60:61], v[56:57], v[14:15], v[8:9] op_sel_hi:[0,1,1]
	v_pk_fma_f32 v[8:9], v[56:57], v[14:15], v[8:9] neg_lo:[0,0,1] neg_hi:[0,0,1]
	v_add_nc_u64_e32 v[56:57], v[0:1], v[4:5]
	v_add_nc_u64_e32 v[0:1], s[38:39], v[0:1]
	s_delay_alu instid0(VALU_DEP_1) | instskip(SKIP_2) | instid1(VALU_DEP_1)
	v_add_nc_u64_e32 v[0:1], v[0:1], v[4:5]
	s_wait_loadcnt_dscnt 0x0
	v_pk_mul_f32 v[58:59], v[6:7], v[12:13]
	v_pk_fma_f32 v[62:63], v[6:7], v[18:19], v[58:59] op_sel:[0,0,1] op_sel_hi:[1,1,0]
	v_pk_fma_f32 v[6:7], v[6:7], v[18:19], v[58:59] op_sel:[0,0,1] op_sel_hi:[1,1,0] neg_lo:[0,0,1] neg_hi:[0,0,1]
	s_delay_alu instid0(VALU_DEP_2) | instskip(NEXT) | instid1(VALU_DEP_1)
	v_dual_mov_b32 v9, v61 :: v_dual_mov_b32 v7, v63
	v_pk_add_f32 v[6:7], v[8:9], v[6:7]
	v_pk_mul_f32 v[8:9], v[54:55], v[10:11] op_sel_hi:[0,1]
	flat_store_b64 v[56:57], v[6:7]
	flat_load_b64 v[6:7], v[16:17] offset:128
	v_pk_fma_f32 v[58:59], v[52:53], v[14:15], v[8:9] op_sel_hi:[0,1,1]
	v_pk_fma_f32 v[8:9], v[52:53], v[14:15], v[8:9] neg_lo:[0,0,1] neg_hi:[0,0,1]
	s_wait_loadcnt_dscnt 0x0
	v_pk_mul_f32 v[54:55], v[6:7], v[12:13]
	s_delay_alu instid0(VALU_DEP_1) | instskip(SKIP_1) | instid1(VALU_DEP_2)
	v_pk_fma_f32 v[60:61], v[6:7], v[18:19], v[54:55] op_sel:[0,0,1] op_sel_hi:[1,1,0]
	v_pk_fma_f32 v[6:7], v[6:7], v[18:19], v[54:55] op_sel:[0,0,1] op_sel_hi:[1,1,0] neg_lo:[0,0,1] neg_hi:[0,0,1]
	v_dual_mov_b32 v9, v59 :: v_dual_mov_b32 v7, v61
	s_delay_alu instid0(VALU_DEP_1)
	v_pk_add_f32 v[6:7], v[8:9], v[6:7]
	v_pk_mul_f32 v[8:9], v[50:51], v[10:11] op_sel_hi:[0,1]
	flat_store_b64 v[56:57], v[6:7] offset:128
	flat_load_b64 v[6:7], v[16:17] offset:256
	v_pk_fma_f32 v[52:53], v[48:49], v[14:15], v[8:9] op_sel_hi:[0,1,1]
	v_pk_fma_f32 v[8:9], v[48:49], v[14:15], v[8:9] neg_lo:[0,0,1] neg_hi:[0,0,1]
	s_wait_loadcnt_dscnt 0x0
	v_pk_mul_f32 v[50:51], v[6:7], v[12:13]
	s_delay_alu instid0(VALU_DEP_1) | instskip(SKIP_1) | instid1(VALU_DEP_2)
	v_pk_fma_f32 v[54:55], v[6:7], v[18:19], v[50:51] op_sel:[0,0,1] op_sel_hi:[1,1,0]
	v_pk_fma_f32 v[6:7], v[6:7], v[18:19], v[50:51] op_sel:[0,0,1] op_sel_hi:[1,1,0] neg_lo:[0,0,1] neg_hi:[0,0,1]
	v_dual_mov_b32 v9, v53 :: v_dual_mov_b32 v7, v55
	s_delay_alu instid0(VALU_DEP_1)
	v_pk_add_f32 v[6:7], v[8:9], v[6:7]
	v_pk_mul_f32 v[8:9], v[46:47], v[10:11] op_sel_hi:[0,1]
	flat_store_b64 v[56:57], v[6:7] offset:256
	flat_load_b64 v[6:7], v[16:17] offset:384
	v_pk_fma_f32 v[46:47], v[44:45], v[14:15], v[8:9] op_sel_hi:[0,1,1]
	v_pk_fma_f32 v[8:9], v[44:45], v[14:15], v[8:9] neg_lo:[0,0,1] neg_hi:[0,0,1]
	s_wait_loadcnt_dscnt 0x0
	s_wait_xcnt 0x0
	v_pk_mul_f32 v[16:17], v[6:7], v[12:13]
	s_delay_alu instid0(VALU_DEP_1) | instskip(SKIP_1) | instid1(VALU_DEP_2)
	v_pk_fma_f32 v[48:49], v[6:7], v[18:19], v[16:17] op_sel:[0,0,1] op_sel_hi:[1,1,0]
	v_pk_fma_f32 v[6:7], v[6:7], v[18:19], v[16:17] op_sel:[0,0,1] op_sel_hi:[1,1,0] neg_lo:[0,0,1] neg_hi:[0,0,1]
	v_dual_mov_b32 v9, v47 :: v_dual_mov_b32 v7, v49
	s_delay_alu instid0(VALU_DEP_1)
	v_pk_add_f32 v[6:7], v[8:9], v[6:7]
	v_pk_mul_f32 v[8:9], v[42:43], v[10:11] op_sel_hi:[0,1]
	flat_store_b64 v[56:57], v[6:7] offset:384
	flat_load_b64 v[6:7], v[2:3]
	v_pk_fma_f32 v[42:43], v[40:41], v[14:15], v[8:9] op_sel_hi:[0,1,1]
	v_pk_fma_f32 v[8:9], v[40:41], v[14:15], v[8:9] neg_lo:[0,0,1] neg_hi:[0,0,1]
	s_wait_loadcnt_dscnt 0x0
	v_pk_mul_f32 v[16:17], v[6:7], v[12:13]
	s_delay_alu instid0(VALU_DEP_1) | instskip(SKIP_1) | instid1(VALU_DEP_2)
	v_pk_fma_f32 v[44:45], v[6:7], v[18:19], v[16:17] op_sel:[0,0,1] op_sel_hi:[1,1,0]
	v_pk_fma_f32 v[6:7], v[6:7], v[18:19], v[16:17] op_sel:[0,0,1] op_sel_hi:[1,1,0] neg_lo:[0,0,1] neg_hi:[0,0,1]
	v_dual_mov_b32 v9, v43 :: v_dual_mov_b32 v7, v45
	s_delay_alu instid0(VALU_DEP_1)
	v_pk_add_f32 v[4:5], v[8:9], v[6:7]
	v_pk_mul_f32 v[6:7], v[38:39], v[10:11] op_sel_hi:[0,1]
	flat_store_b64 v[0:1], v[4:5]
	flat_load_b64 v[4:5], v[2:3] offset:128
	v_pk_fma_f32 v[16:17], v[36:37], v[14:15], v[6:7] op_sel_hi:[0,1,1]
	v_pk_fma_f32 v[6:7], v[36:37], v[14:15], v[6:7] neg_lo:[0,0,1] neg_hi:[0,0,1]
	s_wait_loadcnt_dscnt 0x0
	v_pk_mul_f32 v[8:9], v[4:5], v[12:13]
	s_delay_alu instid0(VALU_DEP_1) | instskip(SKIP_1) | instid1(VALU_DEP_2)
	v_pk_fma_f32 v[42:43], v[4:5], v[18:19], v[8:9] op_sel:[0,0,1] op_sel_hi:[1,1,0]
	v_pk_fma_f32 v[4:5], v[4:5], v[18:19], v[8:9] op_sel:[0,0,1] op_sel_hi:[1,1,0] neg_lo:[0,0,1] neg_hi:[0,0,1]
	v_dual_mov_b32 v7, v17 :: v_dual_mov_b32 v5, v43
	s_delay_alu instid0(VALU_DEP_1)
	v_pk_add_f32 v[4:5], v[6:7], v[4:5]
	v_pk_mul_f32 v[6:7], v[34:35], v[10:11] op_sel_hi:[0,1]
	flat_store_b64 v[0:1], v[4:5] offset:128
	flat_load_b64 v[4:5], v[2:3] offset:256
	v_pk_fma_f32 v[10:11], v[20:21], v[14:15], v[6:7] op_sel_hi:[0,1,1]
	v_pk_fma_f32 v[6:7], v[20:21], v[14:15], v[6:7] neg_lo:[0,0,1] neg_hi:[0,0,1]
	s_wait_loadcnt_dscnt 0x0
	v_pk_mul_f32 v[8:9], v[4:5], v[12:13]
	s_delay_alu instid0(VALU_DEP_1) | instskip(SKIP_2) | instid1(VALU_DEP_3)
	v_pk_fma_f32 v[12:13], v[4:5], v[18:19], v[8:9] op_sel:[0,0,1] op_sel_hi:[1,1,0]
	v_pk_fma_f32 v[4:5], v[4:5], v[18:19], v[8:9] op_sel:[0,0,1] op_sel_hi:[1,1,0] neg_lo:[0,0,1] neg_hi:[0,0,1]
	v_dual_mov_b32 v7, v11 :: v_dual_mul_f32 v9, s22, v32
	v_mov_b32_e32 v5, v13
	s_delay_alu instid0(VALU_DEP_2) | instskip(NEXT) | instid1(VALU_DEP_2)
	v_fma_f32 v9, -v33, s6, v9
	v_pk_add_f32 v[4:5], v[6:7], v[4:5]
	flat_store_b64 v[0:1], v[4:5] offset:256
	flat_load_b64 v[2:3], v[2:3] offset:384
	s_wait_xcnt 0x1
	v_mov_b64_e32 v[4:5], s[28:29]
	s_wait_loadcnt_dscnt 0x0
	v_dual_mul_f32 v6, s35, v3 :: v_dual_mov_b32 v7, v2
	s_delay_alu instid0(VALU_DEP_1) | instskip(SKIP_2) | instid1(VALU_DEP_1)
	v_fma_f32 v8, v2, s34, -v6
	s_wait_xcnt 0x0
	v_dual_mov_b32 v2, v33 :: v_dual_mov_b32 v6, v32
	v_pk_mul_f32 v[2:3], v[2:3], v[4:5]
	v_mov_b64_e32 v[4:5], s[14:15]
	s_delay_alu instid0(VALU_DEP_1) | instskip(SKIP_1) | instid1(VALU_DEP_2)
	v_pk_fma_f32 v[4:5], v[6:7], v[4:5], v[2:3]
	v_add_nc_u64_e32 v[2:3], 0x180, v[0:1]
	v_dual_add_f32 v6, v9, v8 :: v_dual_add_f32 v4, v4, v5
	flat_store_b32 v[0:1], v6 offset:384
	s_branch .LBB231_2
.LBB231_10:
	s_sendmsg sendmsg(MSG_DEALLOC_VGPRS)
	s_endpgm
	.section	.rodata,"a",@progbits
	.p2align	6, 0x0
	.amdhsa_kernel _ZN12_GLOBAL__N_127rocblas_gemm_batched_kernelI19rocblas_complex_numIfELi16ELi16ELi64ELi64ELi4ELi64ELi4ELi4ELi64ELc84ELc67EKPKS2_S5_KPS2_EEvlllT_PT11_llSA_llS8_PT12_llPT13_lli
		.amdhsa_group_segment_fixed_size 4096
		.amdhsa_private_segment_fixed_size 0
		.amdhsa_kernarg_size 140
		.amdhsa_user_sgpr_count 2
		.amdhsa_user_sgpr_dispatch_ptr 0
		.amdhsa_user_sgpr_queue_ptr 0
		.amdhsa_user_sgpr_kernarg_segment_ptr 1
		.amdhsa_user_sgpr_dispatch_id 0
		.amdhsa_user_sgpr_kernarg_preload_length 0
		.amdhsa_user_sgpr_kernarg_preload_offset 0
		.amdhsa_user_sgpr_private_segment_size 0
		.amdhsa_wavefront_size32 1
		.amdhsa_uses_dynamic_stack 0
		.amdhsa_enable_private_segment 0
		.amdhsa_system_sgpr_workgroup_id_x 1
		.amdhsa_system_sgpr_workgroup_id_y 1
		.amdhsa_system_sgpr_workgroup_id_z 1
		.amdhsa_system_sgpr_workgroup_info 0
		.amdhsa_system_vgpr_workitem_id 1
		.amdhsa_next_free_vgpr 198
		.amdhsa_next_free_sgpr 44
		.amdhsa_named_barrier_count 0
		.amdhsa_reserve_vcc 1
		.amdhsa_float_round_mode_32 0
		.amdhsa_float_round_mode_16_64 0
		.amdhsa_float_denorm_mode_32 3
		.amdhsa_float_denorm_mode_16_64 3
		.amdhsa_fp16_overflow 0
		.amdhsa_memory_ordered 1
		.amdhsa_forward_progress 1
		.amdhsa_inst_pref_size 48
		.amdhsa_round_robin_scheduling 0
		.amdhsa_exception_fp_ieee_invalid_op 0
		.amdhsa_exception_fp_denorm_src 0
		.amdhsa_exception_fp_ieee_div_zero 0
		.amdhsa_exception_fp_ieee_overflow 0
		.amdhsa_exception_fp_ieee_underflow 0
		.amdhsa_exception_fp_ieee_inexact 0
		.amdhsa_exception_int_div_zero 0
	.end_amdhsa_kernel
	.section	.text._ZN12_GLOBAL__N_127rocblas_gemm_batched_kernelI19rocblas_complex_numIfELi16ELi16ELi64ELi64ELi4ELi64ELi4ELi4ELi64ELc84ELc67EKPKS2_S5_KPS2_EEvlllT_PT11_llSA_llS8_PT12_llPT13_lli,"axG",@progbits,_ZN12_GLOBAL__N_127rocblas_gemm_batched_kernelI19rocblas_complex_numIfELi16ELi16ELi64ELi64ELi4ELi64ELi4ELi4ELi64ELc84ELc67EKPKS2_S5_KPS2_EEvlllT_PT11_llSA_llS8_PT12_llPT13_lli,comdat
.Lfunc_end231:
	.size	_ZN12_GLOBAL__N_127rocblas_gemm_batched_kernelI19rocblas_complex_numIfELi16ELi16ELi64ELi64ELi4ELi64ELi4ELi4ELi64ELc84ELc67EKPKS2_S5_KPS2_EEvlllT_PT11_llSA_llS8_PT12_llPT13_lli, .Lfunc_end231-_ZN12_GLOBAL__N_127rocblas_gemm_batched_kernelI19rocblas_complex_numIfELi16ELi16ELi64ELi64ELi4ELi64ELi4ELi4ELi64ELc84ELc67EKPKS2_S5_KPS2_EEvlllT_PT11_llSA_llS8_PT12_llPT13_lli
                                        ; -- End function
	.set _ZN12_GLOBAL__N_127rocblas_gemm_batched_kernelI19rocblas_complex_numIfELi16ELi16ELi64ELi64ELi4ELi64ELi4ELi4ELi64ELc84ELc67EKPKS2_S5_KPS2_EEvlllT_PT11_llSA_llS8_PT12_llPT13_lli.num_vgpr, 198
	.set _ZN12_GLOBAL__N_127rocblas_gemm_batched_kernelI19rocblas_complex_numIfELi16ELi16ELi64ELi64ELi4ELi64ELi4ELi4ELi64ELc84ELc67EKPKS2_S5_KPS2_EEvlllT_PT11_llSA_llS8_PT12_llPT13_lli.num_agpr, 0
	.set _ZN12_GLOBAL__N_127rocblas_gemm_batched_kernelI19rocblas_complex_numIfELi16ELi16ELi64ELi64ELi4ELi64ELi4ELi4ELi64ELc84ELc67EKPKS2_S5_KPS2_EEvlllT_PT11_llSA_llS8_PT12_llPT13_lli.numbered_sgpr, 44
	.set _ZN12_GLOBAL__N_127rocblas_gemm_batched_kernelI19rocblas_complex_numIfELi16ELi16ELi64ELi64ELi4ELi64ELi4ELi4ELi64ELc84ELc67EKPKS2_S5_KPS2_EEvlllT_PT11_llSA_llS8_PT12_llPT13_lli.num_named_barrier, 0
	.set _ZN12_GLOBAL__N_127rocblas_gemm_batched_kernelI19rocblas_complex_numIfELi16ELi16ELi64ELi64ELi4ELi64ELi4ELi4ELi64ELc84ELc67EKPKS2_S5_KPS2_EEvlllT_PT11_llSA_llS8_PT12_llPT13_lli.private_seg_size, 0
	.set _ZN12_GLOBAL__N_127rocblas_gemm_batched_kernelI19rocblas_complex_numIfELi16ELi16ELi64ELi64ELi4ELi64ELi4ELi4ELi64ELc84ELc67EKPKS2_S5_KPS2_EEvlllT_PT11_llSA_llS8_PT12_llPT13_lli.uses_vcc, 1
	.set _ZN12_GLOBAL__N_127rocblas_gemm_batched_kernelI19rocblas_complex_numIfELi16ELi16ELi64ELi64ELi4ELi64ELi4ELi4ELi64ELc84ELc67EKPKS2_S5_KPS2_EEvlllT_PT11_llSA_llS8_PT12_llPT13_lli.uses_flat_scratch, 1
	.set _ZN12_GLOBAL__N_127rocblas_gemm_batched_kernelI19rocblas_complex_numIfELi16ELi16ELi64ELi64ELi4ELi64ELi4ELi4ELi64ELc84ELc67EKPKS2_S5_KPS2_EEvlllT_PT11_llSA_llS8_PT12_llPT13_lli.has_dyn_sized_stack, 0
	.set _ZN12_GLOBAL__N_127rocblas_gemm_batched_kernelI19rocblas_complex_numIfELi16ELi16ELi64ELi64ELi4ELi64ELi4ELi4ELi64ELc84ELc67EKPKS2_S5_KPS2_EEvlllT_PT11_llSA_llS8_PT12_llPT13_lli.has_recursion, 0
	.set _ZN12_GLOBAL__N_127rocblas_gemm_batched_kernelI19rocblas_complex_numIfELi16ELi16ELi64ELi64ELi4ELi64ELi4ELi4ELi64ELc84ELc67EKPKS2_S5_KPS2_EEvlllT_PT11_llSA_llS8_PT12_llPT13_lli.has_indirect_call, 0
	.section	.AMDGPU.csdata,"",@progbits
; Kernel info:
; codeLenInByte = 6052
; TotalNumSgprs: 46
; NumVgprs: 198
; ScratchSize: 0
; MemoryBound: 0
; FloatMode: 240
; IeeeMode: 1
; LDSByteSize: 4096 bytes/workgroup (compile time only)
; SGPRBlocks: 0
; VGPRBlocks: 12
; NumSGPRsForWavesPerEU: 46
; NumVGPRsForWavesPerEU: 198
; NamedBarCnt: 0
; Occupancy: 4
; WaveLimiterHint : 1
; COMPUTE_PGM_RSRC2:SCRATCH_EN: 0
; COMPUTE_PGM_RSRC2:USER_SGPR: 2
; COMPUTE_PGM_RSRC2:TRAP_HANDLER: 0
; COMPUTE_PGM_RSRC2:TGID_X_EN: 1
; COMPUTE_PGM_RSRC2:TGID_Y_EN: 1
; COMPUTE_PGM_RSRC2:TGID_Z_EN: 1
; COMPUTE_PGM_RSRC2:TIDIG_COMP_CNT: 1
	.section	.text._ZN12_GLOBAL__N_127rocblas_gemm_batched_kernelI19rocblas_complex_numIfELi16ELi16ELi32ELi32ELi8ELi32ELi8ELi8ELi32ELc78ELc78EKPKS2_S5_KPS2_EEvlllT_PT11_llSA_llS8_PT12_llPT13_lli,"axG",@progbits,_ZN12_GLOBAL__N_127rocblas_gemm_batched_kernelI19rocblas_complex_numIfELi16ELi16ELi32ELi32ELi8ELi32ELi8ELi8ELi32ELc78ELc78EKPKS2_S5_KPS2_EEvlllT_PT11_llSA_llS8_PT12_llPT13_lli,comdat
	.globl	_ZN12_GLOBAL__N_127rocblas_gemm_batched_kernelI19rocblas_complex_numIfELi16ELi16ELi32ELi32ELi8ELi32ELi8ELi8ELi32ELc78ELc78EKPKS2_S5_KPS2_EEvlllT_PT11_llSA_llS8_PT12_llPT13_lli ; -- Begin function _ZN12_GLOBAL__N_127rocblas_gemm_batched_kernelI19rocblas_complex_numIfELi16ELi16ELi32ELi32ELi8ELi32ELi8ELi8ELi32ELc78ELc78EKPKS2_S5_KPS2_EEvlllT_PT11_llSA_llS8_PT12_llPT13_lli
	.p2align	8
	.type	_ZN12_GLOBAL__N_127rocblas_gemm_batched_kernelI19rocblas_complex_numIfELi16ELi16ELi32ELi32ELi8ELi32ELi8ELi8ELi32ELc78ELc78EKPKS2_S5_KPS2_EEvlllT_PT11_llSA_llS8_PT12_llPT13_lli,@function
_ZN12_GLOBAL__N_127rocblas_gemm_batched_kernelI19rocblas_complex_numIfELi16ELi16ELi32ELi32ELi8ELi32ELi8ELi8ELi32ELc78ELc78EKPKS2_S5_KPS2_EEvlllT_PT11_llSA_llS8_PT12_llPT13_lli: ; @_ZN12_GLOBAL__N_127rocblas_gemm_batched_kernelI19rocblas_complex_numIfELi16ELi16ELi32ELi32ELi8ELi32ELi8ELi8ELi32ELc78ELc78EKPKS2_S5_KPS2_EEvlllT_PT11_llSA_llS8_PT12_llPT13_lli
; %bb.0:
	s_load_b32 s33, s[0:1], 0x88
	s_bfe_u32 s2, ttmp6, 0x40014
	s_lshr_b32 s3, ttmp7, 16
	s_add_co_i32 s2, s2, 1
	s_bfe_u32 s4, ttmp6, 0x40008
	s_mul_i32 s2, s3, s2
	s_getreg_b32 s12, hwreg(HW_REG_IB_STS2, 6, 4)
	s_add_co_i32 s4, s4, s2
	s_cmp_eq_u32 s12, 0
	s_cselect_b32 s2, s3, s4
	s_mov_b32 s3, 0
	s_wait_kmcnt 0x0
	s_cmp_ge_i32 s2, s33
	s_cbranch_scc1 .LBB232_10
; %bb.1:
	v_bfe_u32 v2, v0, 10, 10
	v_and_b32_e32 v6, 0x3ff, v0
	s_bfe_u32 s14, ttmp6, 0x4000c
	s_bfe_u32 s15, ttmp6, 0x40010
	s_clause 0x3
	s_load_b256 s[4:11], s[0:1], 0x20
	s_load_b128 s[24:27], s[0:1], 0x78
	s_load_b128 s[28:31], s[0:1], 0x40
	s_load_b64 s[34:35], s[0:1], 0x50
	s_add_co_i32 s14, s14, 1
	s_and_b32 s16, ttmp7, 0xffff
	s_add_co_i32 s15, s15, 1
	v_lshl_add_u32 v1, v2, 4, v6
	v_mov_b32_e32 v3, 0
	s_and_b32 s13, ttmp6, 15
	s_mul_i32 s14, ttmp9, s14
	s_mul_i32 s15, s16, s15
	s_bfe_u32 s17, ttmp6, 0x40004
	s_add_co_i32 s13, s13, s14
	s_add_co_i32 s17, s17, s15
	s_cmp_eq_u32 s12, 0
	v_dual_mov_b32 v5, v3 :: v_dual_lshrrev_b32 v4, 3, v1
	v_lshlrev_b32_e32 v0, 3, v0
	s_cselect_b32 s12, s16, s17
	s_cselect_b32 s36, ttmp9, s13
	s_lshl_b32 s38, s12, 5
	s_mov_b32 s39, s3
	s_load_b256 s[12:19], s[0:1], 0x58
	v_add_nc_u64_e32 v[8:9], s[38:39], v[4:5]
	v_dual_lshrrev_b32 v13, 5, v1 :: v_dual_bitop2_b32 v10, 31, v1 bitop3:0x40
	s_ashr_i32 s37, s36, 31
	v_and_b32_e32 v12, 56, v0
	s_lshl_b64 s[36:37], s[36:37], 5
	s_delay_alu instid0(VALU_DEP_2)
	v_lshlrev_b32_e32 v0, 3, v10
	s_wait_kmcnt 0x0
	v_mul_u64_e32 v[8:9], s[28:29], v[8:9]
	v_mad_nc_u64_u32 v[14:15], s6, v13, s[36:37]
	v_lshl_or_b32 v1, v4, 6, v12
	v_add_nc_u64_e32 v[4:5], s[38:39], v[2:3]
	s_load_b128 s[20:23], s[0:1], 0x10
	v_lshl_or_b32 v17, v13, 8, v0
	v_dual_mov_b32 v7, v3 :: v_dual_mov_b32 v11, v3
	v_add_nc_u32_e32 v19, 0x800, v1
	s_wait_xcnt 0x0
	s_or_b32 s0, s34, s35
	v_mul_u64_e32 v[0:1], s[24:25], v[4:5]
	s_bitset0_b32 s0, 31
	v_mul_u64_e32 v[4:5], s[14:15], v[4:5]
	v_mad_u32 v15, s7, v13, v15
	s_cmp_eq_u32 s0, 0
	v_dual_lshlrev_b32 v21, 3, v6 :: v_dual_mov_b32 v13, v3
	s_cselect_b32 s1, -1, 0
	s_lshl_b64 s[30:31], s[30:31], 3
	v_lshl_add_u32 v23, v2, 6, 0x800
	v_add_nc_u64_e32 v[6:7], s[36:37], v[6:7]
	s_lshl_b64 s[24:25], s[24:25], 4
	s_lshl_b64 s[14:15], s[14:15], 4
	s_mov_b32 s37, s35
	s_delay_alu instid0(VALU_DEP_4)
	v_add_nc_u64_e32 v[10:11], v[14:15], v[10:11]
	s_wait_kmcnt 0x0
	v_cmp_gt_i64_e64 s0, s[20:21], 0
	s_mov_b32 s28, s23
	s_mov_b32 s29, s22
	;; [unrolled: 1-line block ×5, first 2 shown]
	v_lshlrev_b64_e32 v[10:11], 3, v[10:11]
	v_lshl_add_u64 v[8:9], v[8:9], 3, s[30:31]
	v_cndmask_b32_e64 v2, 0, 1, s0
	s_mov_b32 s40, s34
	s_mov_b32 s41, s34
	;; [unrolled: 1-line block ×3, first 2 shown]
	v_add_nc_u64_e32 v[8:9], v[8:9], v[12:13]
	v_lshl_add_u64 v[10:11], s[8:9], 3, v[10:11]
	v_cmp_ne_u32_e64 s0, 1, v2
	s_mov_b32 s31, s35
	s_lshl_b64 s[6:7], s[6:7], 6
	s_lshl_b64 s[8:9], s[26:27], 3
	s_lshl_b64 s[16:17], s[16:17], 3
	s_branch .LBB232_3
.LBB232_2:                              ;   in Loop: Header=BB232_3 Depth=1
	s_add_co_i32 s2, s2, 0x10000
	flat_store_b32 v[28:29], v25 offset:4
	s_cmp_lt_i32 s2, s33
	s_cbranch_scc0 .LBB232_10
.LBB232_3:                              ; =>This Loop Header: Depth=1
                                        ;     Child Loop BB232_5 Depth 2
	s_wait_xcnt 0x1
	v_dual_mov_b32 v2, s2 :: v_dual_mov_b32 v13, 0
	v_dual_mov_b32 v12, 0 :: v_dual_mov_b32 v22, 0
	;; [unrolled: 1-line block ×3, first 2 shown]
	s_clause 0x1
	global_load_b64 v[14:15], v2, s[12:13] scale_offset
	global_load_b64 v[26:27], v2, s[18:19] scale_offset
	s_wait_xcnt 0x0
	v_dual_mov_b32 v20, 0 :: v_dual_mov_b32 v2, 0
	v_mov_b32_e32 v16, 0
	s_and_b32 vcc_lo, exec_lo, s0
	s_cbranch_vccnz .LBB232_6
; %bb.4:                                ;   in Loop: Header=BB232_3 Depth=1
	s_lshl_b64 s[26:27], s[2:3], 3
	v_dual_mov_b32 v16, 0 :: v_dual_mov_b32 v2, 0
	s_add_nc_u64 s[42:43], s[4:5], s[26:27]
	s_add_nc_u64 s[26:27], s[10:11], s[26:27]
	s_clause 0x1
	global_load_b64 v[12:13], v3, s[42:43]
	global_load_b64 v[30:31], v3, s[26:27]
	v_dual_mov_b32 v20, 0 :: v_dual_mov_b32 v18, 0
	v_dual_mov_b32 v24, 0 :: v_dual_mov_b32 v22, 0
	s_wait_xcnt 0x0
	s_mov_b64 s[26:27], 0
	s_wait_loadcnt 0x1
	v_add_nc_u64_e32 v[28:29], v[12:13], v[10:11]
	s_wait_loadcnt 0x0
	v_add_nc_u64_e32 v[30:31], v[30:31], v[8:9]
	v_dual_mov_b32 v12, 0 :: v_dual_mov_b32 v13, v16
.LBB232_5:                              ;   Parent Loop BB232_3 Depth=1
                                        ; =>  This Inner Loop Header: Depth=2
	flat_load_b64 v[32:33], v[28:29]
	s_add_nc_u64 s[26:27], s[26:27], 8
	s_wait_xcnt 0x0
	v_add_nc_u64_e32 v[28:29], s[6:7], v[28:29]
	v_cmp_lt_i64_e64 s42, s[26:27], s[20:21]
	s_and_b32 vcc_lo, exec_lo, s42
	s_wait_loadcnt_dscnt 0x0
	ds_store_b64 v17, v[32:33]
	flat_load_b64 v[32:33], v[30:31]
	s_wait_xcnt 0x0
	v_add_nc_u64_e32 v[30:31], 64, v[30:31]
	s_wait_loadcnt_dscnt 0x0
	ds_store_b64 v19, v[32:33]
	s_wait_dscnt 0x0
	s_barrier_signal -1
	s_barrier_wait -1
	ds_load_b128 v[32:35], v23
	ds_load_2addr_b64 v[36:39], v21 offset1:16
	ds_load_2addr_b64 v[40:43], v21 offset0:32 offset1:48
	ds_load_b128 v[44:47], v23 offset:16
	ds_load_b128 v[48:51], v23 offset:1024
	;; [unrolled: 1-line block ×3, first 2 shown]
	ds_load_2addr_b64 v[56:59], v21 offset0:64 offset1:80
	ds_load_2addr_b64 v[60:63], v21 offset0:96 offset1:112
	;; [unrolled: 1-line block ×4, first 2 shown]
	ds_load_b128 v[72:75], v23 offset:32
	ds_load_b128 v[76:79], v23 offset:48
	ds_load_2addr_b64 v[80:83], v21 offset0:192 offset1:208
	ds_load_2addr_b64 v[84:87], v21 offset0:224 offset1:240
	ds_load_b128 v[88:91], v23 offset:1056
	ds_load_b128 v[92:95], v23 offset:1072
	s_wait_dscnt 0x0
	s_barrier_signal -1
	s_barrier_wait -1
	v_dual_mul_f32 v25, v33, v37 :: v_dual_mul_f32 v100, v32, v37
	v_dual_mul_f32 v101, v33, v39 :: v_dual_mul_f32 v102, v32, v39
	;; [unrolled: 1-line block ×3, first 2 shown]
	v_dual_mov_b32 v98, v51 :: v_dual_mov_b32 v99, v50
	v_dual_mul_f32 v103, v35, v41 :: v_dual_mul_f32 v104, v34, v41
	v_dual_mul_f32 v105, v35, v43 :: v_dual_mul_f32 v106, v34, v43
	v_pk_mul_f32 v[96:97], v[48:49], v[38:39] op_sel:[1,1] op_sel_hi:[0,1]
	v_dual_fma_f32 v25, v32, v36, -v25 :: v_dual_fmac_f32 v100, v33, v36
	v_dual_fma_f32 v107, v48, v36, -v107 :: v_dual_fmac_f32 v108, v49, v36
	v_pk_mul_f32 v[36:37], v[98:99], v[42:43] op_sel:[0,1]
	v_dual_mul_f32 v109, v51, v41 :: v_dual_mul_f32 v110, v50, v41
	v_dual_fma_f32 v101, v32, v38, -v101 :: v_dual_fmac_f32 v102, v33, v38
	v_dual_fma_f32 v103, v34, v40, -v103 :: v_dual_fmac_f32 v104, v35, v40
	;; [unrolled: 1-line block ×3, first 2 shown]
	v_pk_fma_f32 v[32:33], v[48:49], v[38:39], v[96:97] neg_lo:[0,0,1] neg_hi:[0,0,1]
	v_pk_fma_f32 v[34:35], v[48:49], v[38:39], v[96:97] op_sel_hi:[1,0,1]
	v_pk_fma_f32 v[38:39], v[50:51], v[42:43], v[36:37] neg_lo:[0,0,1] neg_hi:[0,0,1]
	v_pk_fma_f32 v[36:37], v[50:51], v[42:43], v[36:37] op_sel_hi:[1,0,1]
	v_dual_mov_b32 v42, v55 :: v_dual_mov_b32 v43, v54
	v_dual_mul_f32 v111, v45, v57 :: v_dual_mul_f32 v112, v44, v57
	v_dual_mul_f32 v113, v45, v59 :: v_dual_mul_f32 v114, v44, v59
	;; [unrolled: 1-line block ×5, first 2 shown]
	v_dual_fma_f32 v96, v50, v40, -v109 :: v_dual_fmac_f32 v110, v51, v40
	v_pk_mul_f32 v[40:41], v[52:53], v[58:59] op_sel:[1,1] op_sel_hi:[0,1]
	v_pk_mul_f32 v[42:43], v[42:43], v[62:63] op_sel:[0,1]
	v_dual_mul_f32 v39, v73, v65 :: v_dual_mul_f32 v98, v72, v65
	v_dual_fma_f32 v99, v44, v56, -v111 :: v_dual_fmac_f32 v112, v45, v56
	v_dual_fma_f32 v109, v44, v58, -v113 :: v_dual_fmac_f32 v114, v45, v58
	;; [unrolled: 1-line block ×4, first 2 shown]
	v_dual_mul_f32 v57, v73, v67 :: v_dual_mul_f32 v115, v72, v67
	v_dual_fma_f32 v117, v52, v56, -v33 :: v_dual_fmac_f32 v34, v53, v56
	v_mul_f32_e32 v33, v75, v69
	v_pk_fma_f32 v[44:45], v[52:53], v[58:59], v[40:41] neg_lo:[0,0,1] neg_hi:[0,0,1]
	v_pk_fma_f32 v[40:41], v[52:53], v[58:59], v[40:41] op_sel_hi:[1,0,1]
	v_pk_fma_f32 v[46:47], v[54:55], v[62:63], v[42:43] neg_lo:[0,0,1] neg_hi:[0,0,1]
	v_pk_fma_f32 v[42:43], v[54:55], v[62:63], v[42:43] op_sel_hi:[1,0,1]
	v_dual_mov_b32 v50, v91 :: v_dual_mov_b32 v51, v90
	v_dual_mul_f32 v40, v74, v69 :: v_dual_mul_f32 v42, v75, v71
	v_dual_mul_f32 v119, v74, v71 :: v_dual_mul_f32 v45, v89, v65
	v_mul_f32_e32 v65, v88, v65
	v_dual_fma_f32 v120, v72, v64, -v39 :: v_dual_fmac_f32 v98, v73, v64
	v_dual_fma_f32 v72, v72, v66, -v57 :: v_dual_fmac_f32 v115, v73, v66
	;; [unrolled: 1-line block ×3, first 2 shown]
	v_dual_mul_f32 v33, v91, v69 :: v_dual_mul_f32 v69, v90, v69
	v_dual_mul_f32 v36, v55, v61 :: v_dual_mul_f32 v97, v54, v61
	v_pk_mul_f32 v[50:51], v[50:51], v[70:71] op_sel:[0,1]
	v_dual_fma_f32 v42, v74, v70, -v42 :: v_dual_fmac_f32 v119, v75, v70
	v_dual_fma_f32 v74, v88, v64, -v45 :: v_dual_mul_f32 v39, v77, v81
	v_fmac_f32_e32 v65, v89, v64
	v_dual_fma_f32 v64, v90, v68, -v33 :: v_dual_mul_f32 v33, v77, v83
	v_dual_fma_f32 v36, v54, v60, -v36 :: v_dual_fmac_f32 v97, v55, v60
	v_pk_mul_f32 v[48:49], v[88:89], v[66:67] op_sel:[1,1] op_sel_hi:[0,1]
	v_pk_fma_f32 v[54:55], v[90:91], v[70:71], v[50:51] neg_lo:[0,0,1] neg_hi:[0,0,1]
	v_pk_fma_f32 v[50:51], v[90:91], v[70:71], v[50:51] op_sel_hi:[1,0,1]
	v_pk_mul_f32 v[56:57], v[92:93], v[82:83] op_sel:[1,1] op_sel_hi:[0,1]
	v_dual_fmac_f32 v69, v91, v68 :: v_dual_mul_f32 v50, v76, v83
	v_dual_mul_f32 v45, v79, v85 :: v_dual_mul_f32 v47, v79, v87
	v_dual_fma_f32 v71, v76, v82, -v33 :: v_dual_mul_f32 v33, v95, v85
	v_pk_fma_f32 v[52:53], v[88:89], v[66:67], v[48:49] neg_lo:[0,0,1] neg_hi:[0,0,1]
	v_pk_fma_f32 v[48:49], v[88:89], v[66:67], v[48:49] op_sel_hi:[1,0,1]
	v_pk_fma_f32 v[58:59], v[92:93], v[82:83], v[56:57] neg_lo:[0,0,1] neg_hi:[0,0,1]
	v_pk_fma_f32 v[56:57], v[92:93], v[82:83], v[56:57] op_sel_hi:[1,0,1]
	v_mul_f32_e32 v48, v76, v81
	v_dual_mul_f32 v66, v78, v85 :: v_dual_mul_f32 v67, v78, v87
	v_dual_mul_f32 v53, v93, v81 :: v_dual_mul_f32 v68, v92, v81
	s_delay_alu instid0(VALU_DEP_3) | instskip(NEXT) | instid1(VALU_DEP_3)
	v_dual_fma_f32 v70, v76, v80, -v39 :: v_dual_fmac_f32 v48, v77, v80
	v_dual_fma_f32 v75, v78, v84, -v45 :: v_dual_fmac_f32 v66, v79, v84
	v_fma_f32 v76, v78, v86, -v47
	v_dual_mul_f32 v56, v94, v85 :: v_dual_fma_f32 v78, v94, v84, -v33
	v_dual_add_f32 v2, v2, v107 :: v_dual_mov_b32 v33, v35
	v_dual_add_f32 v22, v22, v25 :: v_dual_add_f32 v24, v24, v100
	v_dual_add_f32 v18, v18, v101 :: v_dual_add_f32 v20, v20, v102
	v_dual_add_f32 v16, v16, v108 :: v_dual_mov_b32 v45, v41
	s_delay_alu instid0(VALU_DEP_4) | instskip(SKIP_4) | instid1(VALU_DEP_4)
	v_pk_add_f32 v[12:13], v[12:13], v[32:33]
	v_dual_mov_b32 v39, v37 :: v_dual_mov_b32 v47, v43
	v_dual_add_f32 v22, v22, v103 :: v_dual_add_f32 v24, v24, v104
	v_dual_add_f32 v18, v18, v105 :: v_dual_add_f32 v20, v20, v106
	;; [unrolled: 1-line block ×3, first 2 shown]
	v_pk_add_f32 v[12:13], v[12:13], v[38:39]
	v_dual_mov_b32 v60, v95 :: v_dual_mov_b32 v61, v94
	v_dual_add_f32 v22, v22, v99 :: v_dual_add_f32 v24, v24, v112
	v_dual_add_f32 v18, v18, v109 :: v_dual_add_f32 v20, v20, v114
	;; [unrolled: 1-line block ×3, first 2 shown]
	v_pk_add_f32 v[12:13], v[12:13], v[44:45]
	v_dual_fmac_f32 v50, v77, v82 :: v_dual_fma_f32 v77, v92, v80, -v53
	v_pk_mul_f32 v[60:61], v[60:61], v[86:87] op_sel:[0,1]
	v_dual_mov_b32 v53, v49 :: v_dual_mov_b32 v59, v57
	v_dual_add_f32 v22, v22, v111 :: v_dual_add_f32 v24, v24, v116
	v_dual_add_f32 v18, v18, v113 :: v_dual_add_f32 v20, v20, v118
	;; [unrolled: 1-line block ×3, first 2 shown]
	v_pk_add_f32 v[12:13], v[12:13], v[46:47]
	v_pk_fma_f32 v[62:63], v[94:95], v[86:87], v[60:61] neg_lo:[0,0,1] neg_hi:[0,0,1]
	v_pk_fma_f32 v[60:61], v[94:95], v[86:87], v[60:61] op_sel_hi:[1,0,1]
	v_dual_mov_b32 v55, v51 :: v_dual_add_f32 v22, v22, v120
	v_dual_add_f32 v24, v24, v98 :: v_dual_add_f32 v18, v18, v72
	v_dual_add_f32 v20, v20, v115 :: v_dual_add_f32 v2, v2, v74
	v_add_f32_e32 v16, v16, v65
	v_pk_add_f32 v[12:13], v[12:13], v[52:53]
	v_dual_fmac_f32 v67, v79, v86 :: v_dual_fmac_f32 v68, v93, v80
	v_dual_mov_b32 v63, v61 :: v_dual_add_f32 v22, v22, v73
	v_dual_add_f32 v24, v24, v40 :: v_dual_add_f32 v18, v18, v42
	v_dual_add_f32 v20, v20, v119 :: v_dual_add_f32 v2, v2, v64
	v_add_f32_e32 v16, v16, v69
	v_pk_add_f32 v[12:13], v[12:13], v[54:55]
	v_dual_fmac_f32 v56, v95, v84 :: v_dual_add_f32 v22, v22, v70
	v_dual_add_f32 v24, v24, v48 :: v_dual_add_f32 v18, v18, v71
	v_dual_add_f32 v20, v20, v50 :: v_dual_add_f32 v2, v2, v77
	v_add_f32_e32 v16, v16, v68
	v_pk_add_f32 v[12:13], v[12:13], v[58:59]
	s_delay_alu instid0(VALU_DEP_4) | instskip(NEXT) | instid1(VALU_DEP_4)
	v_dual_add_f32 v22, v22, v75 :: v_dual_add_f32 v24, v24, v66
	v_dual_add_f32 v18, v18, v76 :: v_dual_add_f32 v20, v20, v67
	s_delay_alu instid0(VALU_DEP_4) | instskip(NEXT) | instid1(VALU_DEP_4)
	v_dual_add_f32 v2, v2, v78 :: v_dual_add_f32 v16, v16, v56
	v_pk_add_f32 v[12:13], v[12:13], v[62:63]
	s_cbranch_vccnz .LBB232_5
.LBB232_6:                              ;   in Loop: Header=BB232_3 Depth=1
	s_wait_loadcnt 0x0
	v_add_nc_u64_e32 v[26:27], s[8:9], v[26:27]
	s_and_not1_b32 vcc_lo, exec_lo, s1
	s_mov_b32 s26, -1
                                        ; implicit-def: $vgpr25
                                        ; implicit-def: $vgpr28_vgpr29
	s_cbranch_vccz .LBB232_8
; %bb.7:                                ;   in Loop: Header=BB232_3 Depth=1
	s_and_not1_b32 vcc_lo, exec_lo, s26
	s_cbranch_vccnz .LBB232_2
	s_branch .LBB232_9
.LBB232_8:                              ;   in Loop: Header=BB232_3 Depth=1
	v_mov_b64_e32 v[28:29], s[28:29]
	s_delay_alu instid0(VALU_DEP_2) | instskip(SKIP_2) | instid1(VALU_DEP_3)
	v_lshl_add_u64 v[30:31], v[0:1], 3, v[26:27]
	v_mov_b64_e32 v[34:35], s[22:23]
	v_lshlrev_b64_e32 v[32:33], 3, v[6:7]
	v_lshl_add_u64 v[40:41], s[24:25], 3, v[30:31]
	v_pk_mul_f32 v[36:37], v[24:25], v[28:29] op_sel_hi:[0,1]
	v_pk_mul_f32 v[38:39], v[20:21], v[28:29] op_sel_hi:[0,1]
	;; [unrolled: 1-line block ×3, first 2 shown]
	v_add_nc_u64_e32 v[30:31], v[30:31], v[32:33]
	v_add_nc_u64_e32 v[32:33], v[40:41], v[32:33]
	v_pk_fma_f32 v[44:45], v[22:23], v[34:35], v[36:37] neg_lo:[0,0,1] neg_hi:[0,0,1]
	v_pk_fma_f32 v[36:37], v[22:23], v[34:35], v[36:37] op_sel_hi:[0,1,1]
	v_pk_fma_f32 v[46:47], v[18:19], v[34:35], v[38:39] neg_lo:[0,0,1] neg_hi:[0,0,1]
	v_pk_fma_f32 v[38:39], v[18:19], v[34:35], v[38:39] op_sel_hi:[0,1,1]
	v_pk_fma_f32 v[40:41], v[2:3], v[34:35], v[42:43] op_sel_hi:[0,1,1]
	s_delay_alu instid0(VALU_DEP_4)
	v_dual_mul_f32 v25, s22, v12 :: v_dual_mov_b32 v45, v37
	v_pk_mul_f32 v[36:37], v[12:13], v[28:29]
	v_add_nc_u64_e32 v[28:29], 0x80, v[32:33]
	v_pk_fma_f32 v[34:35], v[2:3], v[34:35], v[42:43] neg_lo:[0,0,1] neg_hi:[0,0,1]
	v_dual_mov_b32 v47, v39 :: v_dual_mov_b32 v35, v41
	v_fma_f32 v38, -v13, s28, v25
	v_add_f32_e32 v25, v36, v37
	s_clause 0x3
	flat_store_b64 v[30:31], v[44:45]
	flat_store_b64 v[30:31], v[46:47] offset:128
	flat_store_b64 v[32:33], v[34:35]
	flat_store_b32 v[32:33], v38 offset:128
	s_cbranch_execnz .LBB232_2
.LBB232_9:                              ;   in Loop: Header=BB232_3 Depth=1
	v_add_nc_u64_e32 v[14:15], s[16:17], v[14:15]
	v_lshlrev_b64_e32 v[28:29], 3, v[6:7]
	s_wait_xcnt 0x1
	v_mov_b64_e32 v[34:35], s[28:29]
	v_mov_b64_e32 v[36:37], s[30:31]
	s_wait_xcnt 0x0
	v_mov_b64_e32 v[38:39], s[22:23]
	v_mov_b64_e32 v[40:41], s[40:41]
	v_lshl_add_u64 v[26:27], v[0:1], 3, v[26:27]
	v_lshl_add_u64 v[14:15], v[4:5], 3, v[14:15]
	v_pk_mul_f32 v[24:25], v[24:25], v[34:35] op_sel_hi:[0,1]
	s_delay_alu instid0(VALU_DEP_2) | instskip(SKIP_1) | instid1(VALU_DEP_3)
	v_add_nc_u64_e32 v[30:31], v[14:15], v[28:29]
	v_lshl_add_u64 v[14:15], s[14:15], 3, v[14:15]
	v_pk_fma_f32 v[44:45], v[22:23], v[38:39], v[24:25] op_sel_hi:[0,1,1]
	v_pk_fma_f32 v[24:25], v[22:23], v[38:39], v[24:25] neg_lo:[0,0,1] neg_hi:[0,0,1]
	s_delay_alu instid0(VALU_DEP_3) | instskip(SKIP_3) | instid1(VALU_DEP_1)
	v_add_nc_u64_e32 v[14:15], v[14:15], v[28:29]
	flat_load_b64 v[32:33], v[30:31]
	s_wait_loadcnt_dscnt 0x0
	v_pk_mul_f32 v[42:43], v[32:33], v[36:37]
	v_pk_fma_f32 v[46:47], v[32:33], v[40:41], v[42:43] op_sel:[0,0,1] op_sel_hi:[1,1,0]
	v_pk_fma_f32 v[32:33], v[32:33], v[40:41], v[42:43] op_sel:[0,0,1] op_sel_hi:[1,1,0] neg_lo:[0,0,1] neg_hi:[0,0,1]
	v_mov_b32_e32 v25, v45
	v_add_nc_u64_e32 v[42:43], v[26:27], v[28:29]
	v_lshl_add_u64 v[26:27], s[24:25], 3, v[26:27]
	v_mov_b32_e32 v33, v47
	s_delay_alu instid0(VALU_DEP_2) | instskip(NEXT) | instid1(VALU_DEP_2)
	v_add_nc_u64_e32 v[26:27], v[26:27], v[28:29]
	v_pk_add_f32 v[24:25], v[24:25], v[32:33]
	v_mov_b32_e32 v28, v12
	flat_store_b64 v[42:43], v[24:25]
	flat_load_b64 v[24:25], v[30:31] offset:128
	s_wait_xcnt 0x0
	v_pk_mul_f32 v[30:31], v[20:21], v[34:35] op_sel_hi:[0,1]
	s_delay_alu instid0(VALU_DEP_1) | instskip(SKIP_3) | instid1(VALU_DEP_1)
	v_pk_fma_f32 v[44:45], v[18:19], v[38:39], v[30:31] op_sel_hi:[0,1,1]
	v_pk_fma_f32 v[30:31], v[18:19], v[38:39], v[30:31] neg_lo:[0,0,1] neg_hi:[0,0,1]
	s_wait_loadcnt_dscnt 0x0
	v_pk_mul_f32 v[32:33], v[24:25], v[36:37]
	v_pk_fma_f32 v[46:47], v[24:25], v[40:41], v[32:33] op_sel:[0,0,1] op_sel_hi:[1,1,0]
	v_pk_fma_f32 v[24:25], v[24:25], v[40:41], v[32:33] op_sel:[0,0,1] op_sel_hi:[1,1,0] neg_lo:[0,0,1] neg_hi:[0,0,1]
	s_delay_alu instid0(VALU_DEP_2) | instskip(NEXT) | instid1(VALU_DEP_1)
	v_dual_mov_b32 v31, v45 :: v_dual_mov_b32 v25, v47
	v_pk_add_f32 v[24:25], v[30:31], v[24:25]
	v_pk_mul_f32 v[30:31], v[16:17], v[34:35] op_sel_hi:[0,1]
	v_mul_f32_e32 v16, s22, v12
	flat_store_b64 v[42:43], v[24:25] offset:128
	flat_load_b64 v[24:25], v[14:15]
	v_pk_fma_f32 v[34:35], v[2:3], v[38:39], v[30:31] op_sel_hi:[0,1,1]
	v_pk_fma_f32 v[30:31], v[2:3], v[38:39], v[30:31] neg_lo:[0,0,1] neg_hi:[0,0,1]
	v_fma_f32 v16, -v13, s28, v16
	s_wait_loadcnt_dscnt 0x0
	v_pk_mul_f32 v[32:33], v[24:25], v[36:37]
	s_delay_alu instid0(VALU_DEP_1) | instskip(SKIP_1) | instid1(VALU_DEP_2)
	v_pk_fma_f32 v[36:37], v[24:25], v[40:41], v[32:33] op_sel:[0,0,1] op_sel_hi:[1,1,0]
	v_pk_fma_f32 v[24:25], v[24:25], v[40:41], v[32:33] op_sel:[0,0,1] op_sel_hi:[1,1,0] neg_lo:[0,0,1] neg_hi:[0,0,1]
	v_dual_mov_b32 v31, v35 :: v_dual_mov_b32 v25, v37
	s_delay_alu instid0(VALU_DEP_1)
	v_pk_add_f32 v[24:25], v[30:31], v[24:25]
	flat_store_b64 v[26:27], v[24:25]
	flat_load_b64 v[14:15], v[14:15] offset:128
	s_wait_xcnt 0x1
	v_mov_b64_e32 v[24:25], s[38:39]
	s_wait_loadcnt_dscnt 0x0
	v_dual_mul_f32 v2, s35, v15 :: v_dual_mov_b32 v29, v14
	s_delay_alu instid0(VALU_DEP_1) | instskip(SKIP_1) | instid1(VALU_DEP_1)
	v_fma_f32 v2, v14, s34, -v2
	s_wait_xcnt 0x0
	v_dual_mov_b32 v14, v13 :: v_dual_add_f32 v2, v16, v2
	s_delay_alu instid0(VALU_DEP_1) | instskip(SKIP_4) | instid1(VALU_DEP_2)
	v_pk_mul_f32 v[14:15], v[14:15], v[24:25]
	v_mov_b64_e32 v[24:25], s[36:37]
	flat_store_b32 v[26:27], v2 offset:128
	v_pk_fma_f32 v[12:13], v[28:29], v[24:25], v[14:15]
	v_add_nc_u64_e32 v[28:29], 0x80, v[26:27]
	v_add_f32_e32 v25, v12, v13
	s_branch .LBB232_2
.LBB232_10:
	s_sendmsg sendmsg(MSG_DEALLOC_VGPRS)
	s_endpgm
	.section	.rodata,"a",@progbits
	.p2align	6, 0x0
	.amdhsa_kernel _ZN12_GLOBAL__N_127rocblas_gemm_batched_kernelI19rocblas_complex_numIfELi16ELi16ELi32ELi32ELi8ELi32ELi8ELi8ELi32ELc78ELc78EKPKS2_S5_KPS2_EEvlllT_PT11_llSA_llS8_PT12_llPT13_lli
		.amdhsa_group_segment_fixed_size 4096
		.amdhsa_private_segment_fixed_size 0
		.amdhsa_kernarg_size 140
		.amdhsa_user_sgpr_count 2
		.amdhsa_user_sgpr_dispatch_ptr 0
		.amdhsa_user_sgpr_queue_ptr 0
		.amdhsa_user_sgpr_kernarg_segment_ptr 1
		.amdhsa_user_sgpr_dispatch_id 0
		.amdhsa_user_sgpr_kernarg_preload_length 0
		.amdhsa_user_sgpr_kernarg_preload_offset 0
		.amdhsa_user_sgpr_private_segment_size 0
		.amdhsa_wavefront_size32 1
		.amdhsa_uses_dynamic_stack 0
		.amdhsa_enable_private_segment 0
		.amdhsa_system_sgpr_workgroup_id_x 1
		.amdhsa_system_sgpr_workgroup_id_y 1
		.amdhsa_system_sgpr_workgroup_id_z 1
		.amdhsa_system_sgpr_workgroup_info 0
		.amdhsa_system_vgpr_workitem_id 1
		.amdhsa_next_free_vgpr 121
		.amdhsa_next_free_sgpr 44
		.amdhsa_named_barrier_count 0
		.amdhsa_reserve_vcc 1
		.amdhsa_float_round_mode_32 0
		.amdhsa_float_round_mode_16_64 0
		.amdhsa_float_denorm_mode_32 3
		.amdhsa_float_denorm_mode_16_64 3
		.amdhsa_fp16_overflow 0
		.amdhsa_memory_ordered 1
		.amdhsa_forward_progress 1
		.amdhsa_inst_pref_size 23
		.amdhsa_round_robin_scheduling 0
		.amdhsa_exception_fp_ieee_invalid_op 0
		.amdhsa_exception_fp_denorm_src 0
		.amdhsa_exception_fp_ieee_div_zero 0
		.amdhsa_exception_fp_ieee_overflow 0
		.amdhsa_exception_fp_ieee_underflow 0
		.amdhsa_exception_fp_ieee_inexact 0
		.amdhsa_exception_int_div_zero 0
	.end_amdhsa_kernel
	.section	.text._ZN12_GLOBAL__N_127rocblas_gemm_batched_kernelI19rocblas_complex_numIfELi16ELi16ELi32ELi32ELi8ELi32ELi8ELi8ELi32ELc78ELc78EKPKS2_S5_KPS2_EEvlllT_PT11_llSA_llS8_PT12_llPT13_lli,"axG",@progbits,_ZN12_GLOBAL__N_127rocblas_gemm_batched_kernelI19rocblas_complex_numIfELi16ELi16ELi32ELi32ELi8ELi32ELi8ELi8ELi32ELc78ELc78EKPKS2_S5_KPS2_EEvlllT_PT11_llSA_llS8_PT12_llPT13_lli,comdat
.Lfunc_end232:
	.size	_ZN12_GLOBAL__N_127rocblas_gemm_batched_kernelI19rocblas_complex_numIfELi16ELi16ELi32ELi32ELi8ELi32ELi8ELi8ELi32ELc78ELc78EKPKS2_S5_KPS2_EEvlllT_PT11_llSA_llS8_PT12_llPT13_lli, .Lfunc_end232-_ZN12_GLOBAL__N_127rocblas_gemm_batched_kernelI19rocblas_complex_numIfELi16ELi16ELi32ELi32ELi8ELi32ELi8ELi8ELi32ELc78ELc78EKPKS2_S5_KPS2_EEvlllT_PT11_llSA_llS8_PT12_llPT13_lli
                                        ; -- End function
	.set _ZN12_GLOBAL__N_127rocblas_gemm_batched_kernelI19rocblas_complex_numIfELi16ELi16ELi32ELi32ELi8ELi32ELi8ELi8ELi32ELc78ELc78EKPKS2_S5_KPS2_EEvlllT_PT11_llSA_llS8_PT12_llPT13_lli.num_vgpr, 121
	.set _ZN12_GLOBAL__N_127rocblas_gemm_batched_kernelI19rocblas_complex_numIfELi16ELi16ELi32ELi32ELi8ELi32ELi8ELi8ELi32ELc78ELc78EKPKS2_S5_KPS2_EEvlllT_PT11_llSA_llS8_PT12_llPT13_lli.num_agpr, 0
	.set _ZN12_GLOBAL__N_127rocblas_gemm_batched_kernelI19rocblas_complex_numIfELi16ELi16ELi32ELi32ELi8ELi32ELi8ELi8ELi32ELc78ELc78EKPKS2_S5_KPS2_EEvlllT_PT11_llSA_llS8_PT12_llPT13_lli.numbered_sgpr, 44
	.set _ZN12_GLOBAL__N_127rocblas_gemm_batched_kernelI19rocblas_complex_numIfELi16ELi16ELi32ELi32ELi8ELi32ELi8ELi8ELi32ELc78ELc78EKPKS2_S5_KPS2_EEvlllT_PT11_llSA_llS8_PT12_llPT13_lli.num_named_barrier, 0
	.set _ZN12_GLOBAL__N_127rocblas_gemm_batched_kernelI19rocblas_complex_numIfELi16ELi16ELi32ELi32ELi8ELi32ELi8ELi8ELi32ELc78ELc78EKPKS2_S5_KPS2_EEvlllT_PT11_llSA_llS8_PT12_llPT13_lli.private_seg_size, 0
	.set _ZN12_GLOBAL__N_127rocblas_gemm_batched_kernelI19rocblas_complex_numIfELi16ELi16ELi32ELi32ELi8ELi32ELi8ELi8ELi32ELc78ELc78EKPKS2_S5_KPS2_EEvlllT_PT11_llSA_llS8_PT12_llPT13_lli.uses_vcc, 1
	.set _ZN12_GLOBAL__N_127rocblas_gemm_batched_kernelI19rocblas_complex_numIfELi16ELi16ELi32ELi32ELi8ELi32ELi8ELi8ELi32ELc78ELc78EKPKS2_S5_KPS2_EEvlllT_PT11_llSA_llS8_PT12_llPT13_lli.uses_flat_scratch, 1
	.set _ZN12_GLOBAL__N_127rocblas_gemm_batched_kernelI19rocblas_complex_numIfELi16ELi16ELi32ELi32ELi8ELi32ELi8ELi8ELi32ELc78ELc78EKPKS2_S5_KPS2_EEvlllT_PT11_llSA_llS8_PT12_llPT13_lli.has_dyn_sized_stack, 0
	.set _ZN12_GLOBAL__N_127rocblas_gemm_batched_kernelI19rocblas_complex_numIfELi16ELi16ELi32ELi32ELi8ELi32ELi8ELi8ELi32ELc78ELc78EKPKS2_S5_KPS2_EEvlllT_PT11_llSA_llS8_PT12_llPT13_lli.has_recursion, 0
	.set _ZN12_GLOBAL__N_127rocblas_gemm_batched_kernelI19rocblas_complex_numIfELi16ELi16ELi32ELi32ELi8ELi32ELi8ELi8ELi32ELc78ELc78EKPKS2_S5_KPS2_EEvlllT_PT11_llSA_llS8_PT12_llPT13_lli.has_indirect_call, 0
	.section	.AMDGPU.csdata,"",@progbits
; Kernel info:
; codeLenInByte = 2896
; TotalNumSgprs: 46
; NumVgprs: 121
; ScratchSize: 0
; MemoryBound: 0
; FloatMode: 240
; IeeeMode: 1
; LDSByteSize: 4096 bytes/workgroup (compile time only)
; SGPRBlocks: 0
; VGPRBlocks: 7
; NumSGPRsForWavesPerEU: 46
; NumVGPRsForWavesPerEU: 121
; NamedBarCnt: 0
; Occupancy: 8
; WaveLimiterHint : 1
; COMPUTE_PGM_RSRC2:SCRATCH_EN: 0
; COMPUTE_PGM_RSRC2:USER_SGPR: 2
; COMPUTE_PGM_RSRC2:TRAP_HANDLER: 0
; COMPUTE_PGM_RSRC2:TGID_X_EN: 1
; COMPUTE_PGM_RSRC2:TGID_Y_EN: 1
; COMPUTE_PGM_RSRC2:TGID_Z_EN: 1
; COMPUTE_PGM_RSRC2:TIDIG_COMP_CNT: 1
	.section	.text._ZN12_GLOBAL__N_127rocblas_gemm_batched_kernelI19rocblas_complex_numIfELi16ELi16ELi32ELi32ELi8ELi32ELi8ELi8ELi32ELc84ELc78EKPKS2_S5_KPS2_EEvlllT_PT11_llSA_llS8_PT12_llPT13_lli,"axG",@progbits,_ZN12_GLOBAL__N_127rocblas_gemm_batched_kernelI19rocblas_complex_numIfELi16ELi16ELi32ELi32ELi8ELi32ELi8ELi8ELi32ELc84ELc78EKPKS2_S5_KPS2_EEvlllT_PT11_llSA_llS8_PT12_llPT13_lli,comdat
	.globl	_ZN12_GLOBAL__N_127rocblas_gemm_batched_kernelI19rocblas_complex_numIfELi16ELi16ELi32ELi32ELi8ELi32ELi8ELi8ELi32ELc84ELc78EKPKS2_S5_KPS2_EEvlllT_PT11_llSA_llS8_PT12_llPT13_lli ; -- Begin function _ZN12_GLOBAL__N_127rocblas_gemm_batched_kernelI19rocblas_complex_numIfELi16ELi16ELi32ELi32ELi8ELi32ELi8ELi8ELi32ELc84ELc78EKPKS2_S5_KPS2_EEvlllT_PT11_llSA_llS8_PT12_llPT13_lli
	.p2align	8
	.type	_ZN12_GLOBAL__N_127rocblas_gemm_batched_kernelI19rocblas_complex_numIfELi16ELi16ELi32ELi32ELi8ELi32ELi8ELi8ELi32ELc84ELc78EKPKS2_S5_KPS2_EEvlllT_PT11_llSA_llS8_PT12_llPT13_lli,@function
_ZN12_GLOBAL__N_127rocblas_gemm_batched_kernelI19rocblas_complex_numIfELi16ELi16ELi32ELi32ELi8ELi32ELi8ELi8ELi32ELc84ELc78EKPKS2_S5_KPS2_EEvlllT_PT11_llSA_llS8_PT12_llPT13_lli: ; @_ZN12_GLOBAL__N_127rocblas_gemm_batched_kernelI19rocblas_complex_numIfELi16ELi16ELi32ELi32ELi8ELi32ELi8ELi8ELi32ELc84ELc78EKPKS2_S5_KPS2_EEvlllT_PT11_llSA_llS8_PT12_llPT13_lli
; %bb.0:
	s_load_b32 s33, s[0:1], 0x88
	s_bfe_u32 s2, ttmp6, 0x40014
	s_lshr_b32 s3, ttmp7, 16
	s_add_co_i32 s2, s2, 1
	s_bfe_u32 s4, ttmp6, 0x40008
	s_mul_i32 s2, s3, s2
	s_getreg_b32 s20, hwreg(HW_REG_IB_STS2, 6, 4)
	s_add_co_i32 s4, s4, s2
	s_cmp_eq_u32 s20, 0
	s_cselect_b32 s2, s3, s4
	s_mov_b32 s3, 0
	s_wait_kmcnt 0x0
	s_cmp_ge_i32 s2, s33
	s_cbranch_scc1 .LBB233_10
; %bb.1:
	v_bfe_u32 v2, v0, 10, 10
	v_and_b32_e32 v6, 0x3ff, v0
	s_bfe_u32 s21, ttmp6, 0x4000c
	s_bfe_u32 s23, ttmp6, 0x40010
	s_clause 0x4
	s_load_b256 s[4:11], s[0:1], 0x20
	s_load_b128 s[24:27], s[0:1], 0x78
	s_load_b256 s[12:19], s[0:1], 0x58
	s_load_b128 s[28:31], s[0:1], 0x40
	s_load_b64 s[34:35], s[0:1], 0x50
	s_add_co_i32 s21, s21, 1
	s_and_b32 s36, ttmp7, 0xffff
	s_add_co_i32 s23, s23, 1
	v_lshl_add_u32 v1, v2, 4, v6
	v_mov_b32_e32 v3, 0
	s_and_b32 s22, ttmp6, 15
	s_mul_i32 s21, ttmp9, s21
	s_mul_i32 s23, s36, s23
	s_bfe_u32 s37, ttmp6, 0x40004
	s_add_co_i32 s22, s22, s21
	s_add_co_i32 s37, s37, s23
	s_cmp_eq_u32 s20, 0
	v_dual_lshrrev_b32 v4, 3, v1 :: v_dual_bitop2_b32 v7, 31, v1 bitop3:0x40
	v_mov_b32_e32 v5, v3
	s_cselect_b32 s20, ttmp9, s22
	s_cselect_b32 s22, s36, s37
	s_ashr_i32 s21, s20, 31
	s_lshl_b32 s38, s22, 5
	s_mov_b32 s39, s3
	s_lshl_b64 s[36:37], s[20:21], 5
	v_add_nc_u64_e32 v[10:11], s[38:39], v[4:5]
	v_dual_mov_b32 v9, s37 :: v_dual_bitop2_b32 v8, s36, v7 bitop3:0x54
	v_dual_lshlrev_b32 v0, 3, v0 :: v_dual_lshrrev_b32 v13, 5, v1
	s_load_b128 s[20:23], s[0:1], 0x10
	s_wait_kmcnt 0x0
	s_or_b32 s0, s34, s35
	v_mul_u64_e32 v[8:9], s[6:7], v[8:9]
	v_dual_lshlrev_b32 v0, 3, v7 :: v_dual_bitop2_b32 v12, 56, v0 bitop3:0x40
	v_mul_u64_e32 v[10:11], s[28:29], v[10:11]
	s_bitset0_b32 s0, 31
	v_dual_mov_b32 v7, v3 :: v_dual_lshlrev_b32 v21, 3, v6
	s_delay_alu instid0(VALU_DEP_3)
	v_lshl_or_b32 v1, v4, 6, v12
	v_add_nc_u64_e32 v[4:5], s[38:39], v[2:3]
	v_lshl_or_b32 v17, v13, 8, v0
	s_cmp_eq_u32 s0, 0
	v_lshl_add_u32 v23, v2, 6, 0x800
	v_add_nc_u32_e32 v19, 0x800, v1
	s_cselect_b32 s1, -1, 0
	s_lshl_b64 s[38:39], s[8:9], 3
	v_mul_u64_e32 v[0:1], s[24:25], v[4:5]
	v_mul_u64_e32 v[4:5], s[14:15], v[4:5]
	s_lshl_b64 s[30:31], s[30:31], 3
	v_cmp_gt_i64_e64 s0, s[20:21], 0
	v_dual_mov_b32 v13, v3 :: v_dual_lshlrev_b32 v2, 3, v13
	v_add_nc_u64_e32 v[6:7], s[36:37], v[6:7]
	s_mov_b32 s6, s23
	s_mov_b32 s7, s22
	s_lshl_b64 s[24:25], s[24:25], 4
	v_cndmask_b32_e64 v14, 0, 1, s0
	s_lshl_b64 s[14:15], s[14:15], 4
	s_mov_b32 s28, s23
	s_mov_b32 s29, s35
	;; [unrolled: 1-line block ×3, first 2 shown]
	v_cmp_ne_u32_e64 s0, 1, v14
	s_mov_b32 s37, s34
	v_lshl_add_u64 v[8:9], v[8:9], 3, s[38:39]
	s_mov_b32 s8, s34
	s_mov_b32 s9, s34
	v_lshl_add_u64 v[10:11], v[10:11], 3, s[30:31]
	s_mov_b32 s30, s35
	v_add_nc_u64_e32 v[8:9], v[8:9], v[2:3]
	s_mov_b32 s31, s35
	s_lshl_b64 s[26:27], s[26:27], 3
	v_add_nc_u64_e32 v[10:11], v[10:11], v[12:13]
	s_lshl_b64 s[16:17], s[16:17], 3
	s_branch .LBB233_3
.LBB233_2:                              ;   in Loop: Header=BB233_3 Depth=1
	s_add_co_i32 s2, s2, 0x10000
	flat_store_b32 v[28:29], v25 offset:4
	s_cmp_lt_i32 s2, s33
	s_cbranch_scc0 .LBB233_10
.LBB233_3:                              ; =>This Loop Header: Depth=1
                                        ;     Child Loop BB233_5 Depth 2
	s_wait_xcnt 0x1
	v_dual_mov_b32 v2, s2 :: v_dual_mov_b32 v13, 0
	v_dual_mov_b32 v12, 0 :: v_dual_mov_b32 v22, 0
	;; [unrolled: 1-line block ×3, first 2 shown]
	s_clause 0x1
	global_load_b64 v[14:15], v2, s[12:13] scale_offset
	global_load_b64 v[26:27], v2, s[18:19] scale_offset
	s_wait_xcnt 0x0
	v_dual_mov_b32 v20, 0 :: v_dual_mov_b32 v2, 0
	v_mov_b32_e32 v16, 0
	s_and_b32 vcc_lo, exec_lo, s0
	s_cbranch_vccnz .LBB233_6
; %bb.4:                                ;   in Loop: Header=BB233_3 Depth=1
	s_lshl_b64 s[38:39], s[2:3], 3
	v_dual_mov_b32 v16, 0 :: v_dual_mov_b32 v2, 0
	s_add_nc_u64 s[40:41], s[4:5], s[38:39]
	s_add_nc_u64 s[38:39], s[10:11], s[38:39]
	s_clause 0x1
	global_load_b64 v[12:13], v3, s[40:41]
	global_load_b64 v[30:31], v3, s[38:39]
	v_dual_mov_b32 v20, 0 :: v_dual_mov_b32 v18, 0
	v_dual_mov_b32 v24, 0 :: v_dual_mov_b32 v22, 0
	s_wait_xcnt 0x0
	s_mov_b64 s[38:39], 0
	s_wait_loadcnt 0x1
	v_add_nc_u64_e32 v[28:29], v[12:13], v[8:9]
	s_wait_loadcnt 0x0
	v_add_nc_u64_e32 v[30:31], v[30:31], v[10:11]
	v_dual_mov_b32 v12, 0 :: v_dual_mov_b32 v13, v16
.LBB233_5:                              ;   Parent Loop BB233_3 Depth=1
                                        ; =>  This Inner Loop Header: Depth=2
	flat_load_b64 v[32:33], v[28:29]
	s_add_nc_u64 s[38:39], s[38:39], 8
	s_wait_xcnt 0x0
	v_add_nc_u64_e32 v[28:29], 64, v[28:29]
	v_cmp_lt_i64_e64 s40, s[38:39], s[20:21]
	s_and_b32 vcc_lo, exec_lo, s40
	s_wait_loadcnt_dscnt 0x0
	ds_store_b64 v17, v[32:33]
	flat_load_b64 v[32:33], v[30:31]
	s_wait_xcnt 0x0
	v_add_nc_u64_e32 v[30:31], 64, v[30:31]
	s_wait_loadcnt_dscnt 0x0
	ds_store_b64 v19, v[32:33]
	s_wait_dscnt 0x0
	s_barrier_signal -1
	s_barrier_wait -1
	ds_load_b128 v[32:35], v23
	ds_load_2addr_b64 v[36:39], v21 offset1:16
	ds_load_2addr_b64 v[40:43], v21 offset0:32 offset1:48
	ds_load_b128 v[44:47], v23 offset:16
	ds_load_b128 v[48:51], v23 offset:1024
	ds_load_b128 v[52:55], v23 offset:1040
	ds_load_2addr_b64 v[56:59], v21 offset0:64 offset1:80
	ds_load_2addr_b64 v[60:63], v21 offset0:96 offset1:112
	;; [unrolled: 1-line block ×4, first 2 shown]
	ds_load_b128 v[72:75], v23 offset:32
	ds_load_b128 v[76:79], v23 offset:48
	ds_load_2addr_b64 v[80:83], v21 offset0:192 offset1:208
	ds_load_2addr_b64 v[84:87], v21 offset0:224 offset1:240
	ds_load_b128 v[88:91], v23 offset:1056
	ds_load_b128 v[92:95], v23 offset:1072
	s_wait_dscnt 0x0
	s_barrier_signal -1
	s_barrier_wait -1
	v_dual_mul_f32 v25, v33, v37 :: v_dual_mul_f32 v100, v32, v37
	v_dual_mul_f32 v101, v33, v39 :: v_dual_mul_f32 v102, v32, v39
	;; [unrolled: 1-line block ×3, first 2 shown]
	v_dual_mov_b32 v98, v51 :: v_dual_mov_b32 v99, v50
	v_dual_mul_f32 v103, v35, v41 :: v_dual_mul_f32 v104, v34, v41
	v_dual_mul_f32 v105, v35, v43 :: v_dual_mul_f32 v106, v34, v43
	v_pk_mul_f32 v[96:97], v[48:49], v[38:39] op_sel:[1,1] op_sel_hi:[0,1]
	v_dual_fma_f32 v25, v32, v36, -v25 :: v_dual_fmac_f32 v100, v33, v36
	v_dual_fma_f32 v107, v48, v36, -v107 :: v_dual_fmac_f32 v108, v49, v36
	v_pk_mul_f32 v[36:37], v[98:99], v[42:43] op_sel:[0,1]
	v_dual_mul_f32 v109, v51, v41 :: v_dual_mul_f32 v110, v50, v41
	v_dual_fma_f32 v101, v32, v38, -v101 :: v_dual_fmac_f32 v102, v33, v38
	v_dual_fma_f32 v103, v34, v40, -v103 :: v_dual_fmac_f32 v104, v35, v40
	;; [unrolled: 1-line block ×3, first 2 shown]
	v_pk_fma_f32 v[32:33], v[48:49], v[38:39], v[96:97] neg_lo:[0,0,1] neg_hi:[0,0,1]
	v_pk_fma_f32 v[34:35], v[48:49], v[38:39], v[96:97] op_sel_hi:[1,0,1]
	v_pk_fma_f32 v[38:39], v[50:51], v[42:43], v[36:37] neg_lo:[0,0,1] neg_hi:[0,0,1]
	v_pk_fma_f32 v[36:37], v[50:51], v[42:43], v[36:37] op_sel_hi:[1,0,1]
	v_dual_mov_b32 v42, v55 :: v_dual_mov_b32 v43, v54
	v_dual_mul_f32 v111, v45, v57 :: v_dual_mul_f32 v112, v44, v57
	v_dual_mul_f32 v113, v45, v59 :: v_dual_mul_f32 v114, v44, v59
	v_dual_mul_f32 v115, v47, v61 :: v_dual_mul_f32 v116, v46, v61
	v_dual_mul_f32 v117, v47, v63 :: v_dual_mul_f32 v118, v46, v63
	v_dual_mul_f32 v33, v53, v57 :: v_dual_mul_f32 v34, v52, v57
	v_dual_fma_f32 v96, v50, v40, -v109 :: v_dual_fmac_f32 v110, v51, v40
	v_pk_mul_f32 v[40:41], v[52:53], v[58:59] op_sel:[1,1] op_sel_hi:[0,1]
	v_pk_mul_f32 v[42:43], v[42:43], v[62:63] op_sel:[0,1]
	v_dual_mul_f32 v39, v73, v65 :: v_dual_mul_f32 v98, v72, v65
	v_dual_fma_f32 v99, v44, v56, -v111 :: v_dual_fmac_f32 v112, v45, v56
	v_dual_fma_f32 v109, v44, v58, -v113 :: v_dual_fmac_f32 v114, v45, v58
	;; [unrolled: 1-line block ×4, first 2 shown]
	v_dual_mul_f32 v57, v73, v67 :: v_dual_mul_f32 v115, v72, v67
	v_dual_fma_f32 v117, v52, v56, -v33 :: v_dual_fmac_f32 v34, v53, v56
	v_mul_f32_e32 v33, v75, v69
	v_pk_fma_f32 v[44:45], v[52:53], v[58:59], v[40:41] neg_lo:[0,0,1] neg_hi:[0,0,1]
	v_pk_fma_f32 v[40:41], v[52:53], v[58:59], v[40:41] op_sel_hi:[1,0,1]
	v_pk_fma_f32 v[46:47], v[54:55], v[62:63], v[42:43] neg_lo:[0,0,1] neg_hi:[0,0,1]
	v_pk_fma_f32 v[42:43], v[54:55], v[62:63], v[42:43] op_sel_hi:[1,0,1]
	v_dual_mov_b32 v50, v91 :: v_dual_mov_b32 v51, v90
	v_dual_mul_f32 v40, v74, v69 :: v_dual_mul_f32 v42, v75, v71
	v_dual_mul_f32 v119, v74, v71 :: v_dual_mul_f32 v45, v89, v65
	v_mul_f32_e32 v65, v88, v65
	v_dual_fma_f32 v120, v72, v64, -v39 :: v_dual_fmac_f32 v98, v73, v64
	v_dual_fma_f32 v72, v72, v66, -v57 :: v_dual_fmac_f32 v115, v73, v66
	;; [unrolled: 1-line block ×3, first 2 shown]
	v_dual_mul_f32 v33, v91, v69 :: v_dual_mul_f32 v69, v90, v69
	v_dual_mul_f32 v36, v55, v61 :: v_dual_mul_f32 v97, v54, v61
	v_pk_mul_f32 v[50:51], v[50:51], v[70:71] op_sel:[0,1]
	v_dual_fma_f32 v42, v74, v70, -v42 :: v_dual_fmac_f32 v119, v75, v70
	v_dual_fma_f32 v74, v88, v64, -v45 :: v_dual_mul_f32 v39, v77, v81
	v_fmac_f32_e32 v65, v89, v64
	v_dual_fma_f32 v64, v90, v68, -v33 :: v_dual_mul_f32 v33, v77, v83
	v_dual_fma_f32 v36, v54, v60, -v36 :: v_dual_fmac_f32 v97, v55, v60
	v_pk_mul_f32 v[48:49], v[88:89], v[66:67] op_sel:[1,1] op_sel_hi:[0,1]
	v_pk_fma_f32 v[54:55], v[90:91], v[70:71], v[50:51] neg_lo:[0,0,1] neg_hi:[0,0,1]
	v_pk_fma_f32 v[50:51], v[90:91], v[70:71], v[50:51] op_sel_hi:[1,0,1]
	v_pk_mul_f32 v[56:57], v[92:93], v[82:83] op_sel:[1,1] op_sel_hi:[0,1]
	v_dual_fmac_f32 v69, v91, v68 :: v_dual_mul_f32 v50, v76, v83
	v_dual_mul_f32 v45, v79, v85 :: v_dual_mul_f32 v47, v79, v87
	v_dual_fma_f32 v71, v76, v82, -v33 :: v_dual_mul_f32 v33, v95, v85
	v_pk_fma_f32 v[52:53], v[88:89], v[66:67], v[48:49] neg_lo:[0,0,1] neg_hi:[0,0,1]
	v_pk_fma_f32 v[48:49], v[88:89], v[66:67], v[48:49] op_sel_hi:[1,0,1]
	v_pk_fma_f32 v[58:59], v[92:93], v[82:83], v[56:57] neg_lo:[0,0,1] neg_hi:[0,0,1]
	v_pk_fma_f32 v[56:57], v[92:93], v[82:83], v[56:57] op_sel_hi:[1,0,1]
	v_mul_f32_e32 v48, v76, v81
	v_dual_mul_f32 v66, v78, v85 :: v_dual_mul_f32 v67, v78, v87
	v_dual_mul_f32 v53, v93, v81 :: v_dual_mul_f32 v68, v92, v81
	s_delay_alu instid0(VALU_DEP_3) | instskip(NEXT) | instid1(VALU_DEP_3)
	v_dual_fma_f32 v70, v76, v80, -v39 :: v_dual_fmac_f32 v48, v77, v80
	v_dual_fma_f32 v75, v78, v84, -v45 :: v_dual_fmac_f32 v66, v79, v84
	v_fma_f32 v76, v78, v86, -v47
	v_dual_mul_f32 v56, v94, v85 :: v_dual_fma_f32 v78, v94, v84, -v33
	v_dual_add_f32 v2, v2, v107 :: v_dual_mov_b32 v33, v35
	v_dual_add_f32 v22, v22, v25 :: v_dual_add_f32 v24, v24, v100
	v_dual_add_f32 v18, v18, v101 :: v_dual_add_f32 v20, v20, v102
	v_dual_add_f32 v16, v16, v108 :: v_dual_mov_b32 v45, v41
	s_delay_alu instid0(VALU_DEP_4) | instskip(SKIP_4) | instid1(VALU_DEP_4)
	v_pk_add_f32 v[12:13], v[12:13], v[32:33]
	v_dual_mov_b32 v39, v37 :: v_dual_mov_b32 v47, v43
	v_dual_add_f32 v22, v22, v103 :: v_dual_add_f32 v24, v24, v104
	v_dual_add_f32 v18, v18, v105 :: v_dual_add_f32 v20, v20, v106
	;; [unrolled: 1-line block ×3, first 2 shown]
	v_pk_add_f32 v[12:13], v[12:13], v[38:39]
	v_dual_mov_b32 v60, v95 :: v_dual_mov_b32 v61, v94
	v_dual_add_f32 v22, v22, v99 :: v_dual_add_f32 v24, v24, v112
	v_dual_add_f32 v18, v18, v109 :: v_dual_add_f32 v20, v20, v114
	v_dual_add_f32 v2, v2, v117 :: v_dual_add_f32 v16, v16, v34
	v_pk_add_f32 v[12:13], v[12:13], v[44:45]
	v_dual_fmac_f32 v50, v77, v82 :: v_dual_fma_f32 v77, v92, v80, -v53
	v_pk_mul_f32 v[60:61], v[60:61], v[86:87] op_sel:[0,1]
	v_dual_mov_b32 v53, v49 :: v_dual_mov_b32 v59, v57
	v_dual_add_f32 v22, v22, v111 :: v_dual_add_f32 v24, v24, v116
	v_dual_add_f32 v18, v18, v113 :: v_dual_add_f32 v20, v20, v118
	;; [unrolled: 1-line block ×3, first 2 shown]
	v_pk_add_f32 v[12:13], v[12:13], v[46:47]
	v_pk_fma_f32 v[62:63], v[94:95], v[86:87], v[60:61] neg_lo:[0,0,1] neg_hi:[0,0,1]
	v_pk_fma_f32 v[60:61], v[94:95], v[86:87], v[60:61] op_sel_hi:[1,0,1]
	v_dual_mov_b32 v55, v51 :: v_dual_add_f32 v22, v22, v120
	v_dual_add_f32 v24, v24, v98 :: v_dual_add_f32 v18, v18, v72
	v_dual_add_f32 v20, v20, v115 :: v_dual_add_f32 v2, v2, v74
	v_add_f32_e32 v16, v16, v65
	v_pk_add_f32 v[12:13], v[12:13], v[52:53]
	v_dual_fmac_f32 v67, v79, v86 :: v_dual_fmac_f32 v68, v93, v80
	v_dual_mov_b32 v63, v61 :: v_dual_add_f32 v22, v22, v73
	v_dual_add_f32 v24, v24, v40 :: v_dual_add_f32 v18, v18, v42
	v_dual_add_f32 v20, v20, v119 :: v_dual_add_f32 v2, v2, v64
	v_add_f32_e32 v16, v16, v69
	v_pk_add_f32 v[12:13], v[12:13], v[54:55]
	v_dual_fmac_f32 v56, v95, v84 :: v_dual_add_f32 v22, v22, v70
	v_dual_add_f32 v24, v24, v48 :: v_dual_add_f32 v18, v18, v71
	v_dual_add_f32 v20, v20, v50 :: v_dual_add_f32 v2, v2, v77
	v_add_f32_e32 v16, v16, v68
	v_pk_add_f32 v[12:13], v[12:13], v[58:59]
	s_delay_alu instid0(VALU_DEP_4) | instskip(NEXT) | instid1(VALU_DEP_4)
	v_dual_add_f32 v22, v22, v75 :: v_dual_add_f32 v24, v24, v66
	v_dual_add_f32 v18, v18, v76 :: v_dual_add_f32 v20, v20, v67
	s_delay_alu instid0(VALU_DEP_4) | instskip(NEXT) | instid1(VALU_DEP_4)
	v_dual_add_f32 v2, v2, v78 :: v_dual_add_f32 v16, v16, v56
	v_pk_add_f32 v[12:13], v[12:13], v[62:63]
	s_cbranch_vccnz .LBB233_5
.LBB233_6:                              ;   in Loop: Header=BB233_3 Depth=1
	s_wait_loadcnt 0x0
	v_add_nc_u64_e32 v[26:27], s[26:27], v[26:27]
	s_and_not1_b32 vcc_lo, exec_lo, s1
	s_mov_b32 s38, -1
                                        ; implicit-def: $vgpr25
                                        ; implicit-def: $vgpr28_vgpr29
	s_cbranch_vccz .LBB233_8
; %bb.7:                                ;   in Loop: Header=BB233_3 Depth=1
	s_and_not1_b32 vcc_lo, exec_lo, s38
	s_cbranch_vccnz .LBB233_2
	s_branch .LBB233_9
.LBB233_8:                              ;   in Loop: Header=BB233_3 Depth=1
	v_mov_b64_e32 v[28:29], s[6:7]
	s_delay_alu instid0(VALU_DEP_2) | instskip(SKIP_2) | instid1(VALU_DEP_3)
	v_lshl_add_u64 v[30:31], v[0:1], 3, v[26:27]
	v_mov_b64_e32 v[34:35], s[22:23]
	v_lshlrev_b64_e32 v[32:33], 3, v[6:7]
	v_lshl_add_u64 v[40:41], s[24:25], 3, v[30:31]
	v_pk_mul_f32 v[36:37], v[24:25], v[28:29] op_sel_hi:[0,1]
	v_pk_mul_f32 v[38:39], v[20:21], v[28:29] op_sel_hi:[0,1]
	;; [unrolled: 1-line block ×3, first 2 shown]
	v_add_nc_u64_e32 v[30:31], v[30:31], v[32:33]
	v_add_nc_u64_e32 v[32:33], v[40:41], v[32:33]
	v_pk_fma_f32 v[44:45], v[22:23], v[34:35], v[36:37] neg_lo:[0,0,1] neg_hi:[0,0,1]
	v_pk_fma_f32 v[36:37], v[22:23], v[34:35], v[36:37] op_sel_hi:[0,1,1]
	v_pk_fma_f32 v[46:47], v[18:19], v[34:35], v[38:39] neg_lo:[0,0,1] neg_hi:[0,0,1]
	v_pk_fma_f32 v[38:39], v[18:19], v[34:35], v[38:39] op_sel_hi:[0,1,1]
	v_pk_fma_f32 v[40:41], v[2:3], v[34:35], v[42:43] op_sel_hi:[0,1,1]
	s_delay_alu instid0(VALU_DEP_4)
	v_dual_mul_f32 v25, s22, v12 :: v_dual_mov_b32 v45, v37
	v_pk_mul_f32 v[36:37], v[12:13], v[28:29]
	v_add_nc_u64_e32 v[28:29], 0x80, v[32:33]
	v_pk_fma_f32 v[34:35], v[2:3], v[34:35], v[42:43] neg_lo:[0,0,1] neg_hi:[0,0,1]
	v_dual_mov_b32 v47, v39 :: v_dual_mov_b32 v35, v41
	v_fma_f32 v38, -v13, s6, v25
	v_add_f32_e32 v25, v36, v37
	s_clause 0x3
	flat_store_b64 v[30:31], v[44:45]
	flat_store_b64 v[30:31], v[46:47] offset:128
	flat_store_b64 v[32:33], v[34:35]
	flat_store_b32 v[32:33], v38 offset:128
	s_cbranch_execnz .LBB233_2
.LBB233_9:                              ;   in Loop: Header=BB233_3 Depth=1
	v_add_nc_u64_e32 v[14:15], s[16:17], v[14:15]
	v_lshlrev_b64_e32 v[28:29], 3, v[6:7]
	s_wait_xcnt 0x1
	v_mov_b64_e32 v[34:35], s[6:7]
	v_mov_b64_e32 v[36:37], s[30:31]
	s_wait_xcnt 0x0
	v_mov_b64_e32 v[38:39], s[22:23]
	v_mov_b64_e32 v[40:41], s[8:9]
	v_lshl_add_u64 v[26:27], v[0:1], 3, v[26:27]
	v_lshl_add_u64 v[14:15], v[4:5], 3, v[14:15]
	v_pk_mul_f32 v[24:25], v[24:25], v[34:35] op_sel_hi:[0,1]
	s_delay_alu instid0(VALU_DEP_2) | instskip(SKIP_1) | instid1(VALU_DEP_3)
	v_add_nc_u64_e32 v[30:31], v[14:15], v[28:29]
	v_lshl_add_u64 v[14:15], s[14:15], 3, v[14:15]
	v_pk_fma_f32 v[44:45], v[22:23], v[38:39], v[24:25] op_sel_hi:[0,1,1]
	v_pk_fma_f32 v[24:25], v[22:23], v[38:39], v[24:25] neg_lo:[0,0,1] neg_hi:[0,0,1]
	s_delay_alu instid0(VALU_DEP_3) | instskip(SKIP_3) | instid1(VALU_DEP_1)
	v_add_nc_u64_e32 v[14:15], v[14:15], v[28:29]
	flat_load_b64 v[32:33], v[30:31]
	s_wait_loadcnt_dscnt 0x0
	v_pk_mul_f32 v[42:43], v[32:33], v[36:37]
	v_pk_fma_f32 v[46:47], v[32:33], v[40:41], v[42:43] op_sel:[0,0,1] op_sel_hi:[1,1,0]
	v_pk_fma_f32 v[32:33], v[32:33], v[40:41], v[42:43] op_sel:[0,0,1] op_sel_hi:[1,1,0] neg_lo:[0,0,1] neg_hi:[0,0,1]
	v_mov_b32_e32 v25, v45
	v_add_nc_u64_e32 v[42:43], v[26:27], v[28:29]
	v_lshl_add_u64 v[26:27], s[24:25], 3, v[26:27]
	v_mov_b32_e32 v33, v47
	s_delay_alu instid0(VALU_DEP_2) | instskip(NEXT) | instid1(VALU_DEP_2)
	v_add_nc_u64_e32 v[26:27], v[26:27], v[28:29]
	v_pk_add_f32 v[24:25], v[24:25], v[32:33]
	v_mov_b32_e32 v28, v12
	flat_store_b64 v[42:43], v[24:25]
	flat_load_b64 v[24:25], v[30:31] offset:128
	s_wait_xcnt 0x0
	v_pk_mul_f32 v[30:31], v[20:21], v[34:35] op_sel_hi:[0,1]
	s_delay_alu instid0(VALU_DEP_1) | instskip(SKIP_3) | instid1(VALU_DEP_1)
	v_pk_fma_f32 v[44:45], v[18:19], v[38:39], v[30:31] op_sel_hi:[0,1,1]
	v_pk_fma_f32 v[30:31], v[18:19], v[38:39], v[30:31] neg_lo:[0,0,1] neg_hi:[0,0,1]
	s_wait_loadcnt_dscnt 0x0
	v_pk_mul_f32 v[32:33], v[24:25], v[36:37]
	v_pk_fma_f32 v[46:47], v[24:25], v[40:41], v[32:33] op_sel:[0,0,1] op_sel_hi:[1,1,0]
	v_pk_fma_f32 v[24:25], v[24:25], v[40:41], v[32:33] op_sel:[0,0,1] op_sel_hi:[1,1,0] neg_lo:[0,0,1] neg_hi:[0,0,1]
	s_delay_alu instid0(VALU_DEP_2) | instskip(NEXT) | instid1(VALU_DEP_1)
	v_dual_mov_b32 v31, v45 :: v_dual_mov_b32 v25, v47
	v_pk_add_f32 v[24:25], v[30:31], v[24:25]
	v_pk_mul_f32 v[30:31], v[16:17], v[34:35] op_sel_hi:[0,1]
	v_mul_f32_e32 v16, s22, v12
	flat_store_b64 v[42:43], v[24:25] offset:128
	flat_load_b64 v[24:25], v[14:15]
	v_pk_fma_f32 v[34:35], v[2:3], v[38:39], v[30:31] op_sel_hi:[0,1,1]
	v_pk_fma_f32 v[30:31], v[2:3], v[38:39], v[30:31] neg_lo:[0,0,1] neg_hi:[0,0,1]
	v_fma_f32 v16, -v13, s6, v16
	s_wait_loadcnt_dscnt 0x0
	v_pk_mul_f32 v[32:33], v[24:25], v[36:37]
	s_delay_alu instid0(VALU_DEP_1) | instskip(SKIP_1) | instid1(VALU_DEP_2)
	v_pk_fma_f32 v[36:37], v[24:25], v[40:41], v[32:33] op_sel:[0,0,1] op_sel_hi:[1,1,0]
	v_pk_fma_f32 v[24:25], v[24:25], v[40:41], v[32:33] op_sel:[0,0,1] op_sel_hi:[1,1,0] neg_lo:[0,0,1] neg_hi:[0,0,1]
	v_dual_mov_b32 v31, v35 :: v_dual_mov_b32 v25, v37
	s_delay_alu instid0(VALU_DEP_1)
	v_pk_add_f32 v[24:25], v[30:31], v[24:25]
	flat_store_b64 v[26:27], v[24:25]
	flat_load_b64 v[14:15], v[14:15] offset:128
	s_wait_xcnt 0x1
	v_mov_b64_e32 v[24:25], s[36:37]
	s_wait_loadcnt_dscnt 0x0
	v_dual_mul_f32 v2, s35, v15 :: v_dual_mov_b32 v29, v14
	s_delay_alu instid0(VALU_DEP_1) | instskip(SKIP_1) | instid1(VALU_DEP_1)
	v_fma_f32 v2, v14, s34, -v2
	s_wait_xcnt 0x0
	v_dual_mov_b32 v14, v13 :: v_dual_add_f32 v2, v16, v2
	s_delay_alu instid0(VALU_DEP_1) | instskip(SKIP_4) | instid1(VALU_DEP_2)
	v_pk_mul_f32 v[14:15], v[14:15], v[24:25]
	v_mov_b64_e32 v[24:25], s[28:29]
	flat_store_b32 v[26:27], v2 offset:128
	v_pk_fma_f32 v[12:13], v[28:29], v[24:25], v[14:15]
	v_add_nc_u64_e32 v[28:29], 0x80, v[26:27]
	v_add_f32_e32 v25, v12, v13
	s_branch .LBB233_2
.LBB233_10:
	s_sendmsg sendmsg(MSG_DEALLOC_VGPRS)
	s_endpgm
	.section	.rodata,"a",@progbits
	.p2align	6, 0x0
	.amdhsa_kernel _ZN12_GLOBAL__N_127rocblas_gemm_batched_kernelI19rocblas_complex_numIfELi16ELi16ELi32ELi32ELi8ELi32ELi8ELi8ELi32ELc84ELc78EKPKS2_S5_KPS2_EEvlllT_PT11_llSA_llS8_PT12_llPT13_lli
		.amdhsa_group_segment_fixed_size 4096
		.amdhsa_private_segment_fixed_size 0
		.amdhsa_kernarg_size 140
		.amdhsa_user_sgpr_count 2
		.amdhsa_user_sgpr_dispatch_ptr 0
		.amdhsa_user_sgpr_queue_ptr 0
		.amdhsa_user_sgpr_kernarg_segment_ptr 1
		.amdhsa_user_sgpr_dispatch_id 0
		.amdhsa_user_sgpr_kernarg_preload_length 0
		.amdhsa_user_sgpr_kernarg_preload_offset 0
		.amdhsa_user_sgpr_private_segment_size 0
		.amdhsa_wavefront_size32 1
		.amdhsa_uses_dynamic_stack 0
		.amdhsa_enable_private_segment 0
		.amdhsa_system_sgpr_workgroup_id_x 1
		.amdhsa_system_sgpr_workgroup_id_y 1
		.amdhsa_system_sgpr_workgroup_id_z 1
		.amdhsa_system_sgpr_workgroup_info 0
		.amdhsa_system_vgpr_workitem_id 1
		.amdhsa_next_free_vgpr 121
		.amdhsa_next_free_sgpr 42
		.amdhsa_named_barrier_count 0
		.amdhsa_reserve_vcc 1
		.amdhsa_float_round_mode_32 0
		.amdhsa_float_round_mode_16_64 0
		.amdhsa_float_denorm_mode_32 3
		.amdhsa_float_denorm_mode_16_64 3
		.amdhsa_fp16_overflow 0
		.amdhsa_memory_ordered 1
		.amdhsa_forward_progress 1
		.amdhsa_inst_pref_size 23
		.amdhsa_round_robin_scheduling 0
		.amdhsa_exception_fp_ieee_invalid_op 0
		.amdhsa_exception_fp_denorm_src 0
		.amdhsa_exception_fp_ieee_div_zero 0
		.amdhsa_exception_fp_ieee_overflow 0
		.amdhsa_exception_fp_ieee_underflow 0
		.amdhsa_exception_fp_ieee_inexact 0
		.amdhsa_exception_int_div_zero 0
	.end_amdhsa_kernel
	.section	.text._ZN12_GLOBAL__N_127rocblas_gemm_batched_kernelI19rocblas_complex_numIfELi16ELi16ELi32ELi32ELi8ELi32ELi8ELi8ELi32ELc84ELc78EKPKS2_S5_KPS2_EEvlllT_PT11_llSA_llS8_PT12_llPT13_lli,"axG",@progbits,_ZN12_GLOBAL__N_127rocblas_gemm_batched_kernelI19rocblas_complex_numIfELi16ELi16ELi32ELi32ELi8ELi32ELi8ELi8ELi32ELc84ELc78EKPKS2_S5_KPS2_EEvlllT_PT11_llSA_llS8_PT12_llPT13_lli,comdat
.Lfunc_end233:
	.size	_ZN12_GLOBAL__N_127rocblas_gemm_batched_kernelI19rocblas_complex_numIfELi16ELi16ELi32ELi32ELi8ELi32ELi8ELi8ELi32ELc84ELc78EKPKS2_S5_KPS2_EEvlllT_PT11_llSA_llS8_PT12_llPT13_lli, .Lfunc_end233-_ZN12_GLOBAL__N_127rocblas_gemm_batched_kernelI19rocblas_complex_numIfELi16ELi16ELi32ELi32ELi8ELi32ELi8ELi8ELi32ELc84ELc78EKPKS2_S5_KPS2_EEvlllT_PT11_llSA_llS8_PT12_llPT13_lli
                                        ; -- End function
	.set _ZN12_GLOBAL__N_127rocblas_gemm_batched_kernelI19rocblas_complex_numIfELi16ELi16ELi32ELi32ELi8ELi32ELi8ELi8ELi32ELc84ELc78EKPKS2_S5_KPS2_EEvlllT_PT11_llSA_llS8_PT12_llPT13_lli.num_vgpr, 121
	.set _ZN12_GLOBAL__N_127rocblas_gemm_batched_kernelI19rocblas_complex_numIfELi16ELi16ELi32ELi32ELi8ELi32ELi8ELi8ELi32ELc84ELc78EKPKS2_S5_KPS2_EEvlllT_PT11_llSA_llS8_PT12_llPT13_lli.num_agpr, 0
	.set _ZN12_GLOBAL__N_127rocblas_gemm_batched_kernelI19rocblas_complex_numIfELi16ELi16ELi32ELi32ELi8ELi32ELi8ELi8ELi32ELc84ELc78EKPKS2_S5_KPS2_EEvlllT_PT11_llSA_llS8_PT12_llPT13_lli.numbered_sgpr, 42
	.set _ZN12_GLOBAL__N_127rocblas_gemm_batched_kernelI19rocblas_complex_numIfELi16ELi16ELi32ELi32ELi8ELi32ELi8ELi8ELi32ELc84ELc78EKPKS2_S5_KPS2_EEvlllT_PT11_llSA_llS8_PT12_llPT13_lli.num_named_barrier, 0
	.set _ZN12_GLOBAL__N_127rocblas_gemm_batched_kernelI19rocblas_complex_numIfELi16ELi16ELi32ELi32ELi8ELi32ELi8ELi8ELi32ELc84ELc78EKPKS2_S5_KPS2_EEvlllT_PT11_llSA_llS8_PT12_llPT13_lli.private_seg_size, 0
	.set _ZN12_GLOBAL__N_127rocblas_gemm_batched_kernelI19rocblas_complex_numIfELi16ELi16ELi32ELi32ELi8ELi32ELi8ELi8ELi32ELc84ELc78EKPKS2_S5_KPS2_EEvlllT_PT11_llSA_llS8_PT12_llPT13_lli.uses_vcc, 1
	.set _ZN12_GLOBAL__N_127rocblas_gemm_batched_kernelI19rocblas_complex_numIfELi16ELi16ELi32ELi32ELi8ELi32ELi8ELi8ELi32ELc84ELc78EKPKS2_S5_KPS2_EEvlllT_PT11_llSA_llS8_PT12_llPT13_lli.uses_flat_scratch, 1
	.set _ZN12_GLOBAL__N_127rocblas_gemm_batched_kernelI19rocblas_complex_numIfELi16ELi16ELi32ELi32ELi8ELi32ELi8ELi8ELi32ELc84ELc78EKPKS2_S5_KPS2_EEvlllT_PT11_llSA_llS8_PT12_llPT13_lli.has_dyn_sized_stack, 0
	.set _ZN12_GLOBAL__N_127rocblas_gemm_batched_kernelI19rocblas_complex_numIfELi16ELi16ELi32ELi32ELi8ELi32ELi8ELi8ELi32ELc84ELc78EKPKS2_S5_KPS2_EEvlllT_PT11_llSA_llS8_PT12_llPT13_lli.has_recursion, 0
	.set _ZN12_GLOBAL__N_127rocblas_gemm_batched_kernelI19rocblas_complex_numIfELi16ELi16ELi32ELi32ELi8ELi32ELi8ELi8ELi32ELc84ELc78EKPKS2_S5_KPS2_EEvlllT_PT11_llSA_llS8_PT12_llPT13_lli.has_indirect_call, 0
	.section	.AMDGPU.csdata,"",@progbits
; Kernel info:
; codeLenInByte = 2884
; TotalNumSgprs: 44
; NumVgprs: 121
; ScratchSize: 0
; MemoryBound: 0
; FloatMode: 240
; IeeeMode: 1
; LDSByteSize: 4096 bytes/workgroup (compile time only)
; SGPRBlocks: 0
; VGPRBlocks: 7
; NumSGPRsForWavesPerEU: 44
; NumVGPRsForWavesPerEU: 121
; NamedBarCnt: 0
; Occupancy: 8
; WaveLimiterHint : 1
; COMPUTE_PGM_RSRC2:SCRATCH_EN: 0
; COMPUTE_PGM_RSRC2:USER_SGPR: 2
; COMPUTE_PGM_RSRC2:TRAP_HANDLER: 0
; COMPUTE_PGM_RSRC2:TGID_X_EN: 1
; COMPUTE_PGM_RSRC2:TGID_Y_EN: 1
; COMPUTE_PGM_RSRC2:TGID_Z_EN: 1
; COMPUTE_PGM_RSRC2:TIDIG_COMP_CNT: 1
	.section	.text._ZN12_GLOBAL__N_127rocblas_gemm_batched_kernelI19rocblas_complex_numIfELi16ELi16ELi32ELi32ELi8ELi32ELi8ELi8ELi32ELc78ELc84EKPKS2_S5_KPS2_EEvlllT_PT11_llSA_llS8_PT12_llPT13_lli,"axG",@progbits,_ZN12_GLOBAL__N_127rocblas_gemm_batched_kernelI19rocblas_complex_numIfELi16ELi16ELi32ELi32ELi8ELi32ELi8ELi8ELi32ELc78ELc84EKPKS2_S5_KPS2_EEvlllT_PT11_llSA_llS8_PT12_llPT13_lli,comdat
	.globl	_ZN12_GLOBAL__N_127rocblas_gemm_batched_kernelI19rocblas_complex_numIfELi16ELi16ELi32ELi32ELi8ELi32ELi8ELi8ELi32ELc78ELc84EKPKS2_S5_KPS2_EEvlllT_PT11_llSA_llS8_PT12_llPT13_lli ; -- Begin function _ZN12_GLOBAL__N_127rocblas_gemm_batched_kernelI19rocblas_complex_numIfELi16ELi16ELi32ELi32ELi8ELi32ELi8ELi8ELi32ELc78ELc84EKPKS2_S5_KPS2_EEvlllT_PT11_llSA_llS8_PT12_llPT13_lli
	.p2align	8
	.type	_ZN12_GLOBAL__N_127rocblas_gemm_batched_kernelI19rocblas_complex_numIfELi16ELi16ELi32ELi32ELi8ELi32ELi8ELi8ELi32ELc78ELc84EKPKS2_S5_KPS2_EEvlllT_PT11_llSA_llS8_PT12_llPT13_lli,@function
_ZN12_GLOBAL__N_127rocblas_gemm_batched_kernelI19rocblas_complex_numIfELi16ELi16ELi32ELi32ELi8ELi32ELi8ELi8ELi32ELc78ELc84EKPKS2_S5_KPS2_EEvlllT_PT11_llSA_llS8_PT12_llPT13_lli: ; @_ZN12_GLOBAL__N_127rocblas_gemm_batched_kernelI19rocblas_complex_numIfELi16ELi16ELi32ELi32ELi8ELi32ELi8ELi8ELi32ELc78ELc84EKPKS2_S5_KPS2_EEvlllT_PT11_llSA_llS8_PT12_llPT13_lli
; %bb.0:
	s_load_b32 s33, s[0:1], 0x88
	s_bfe_u32 s2, ttmp6, 0x40014
	s_lshr_b32 s3, ttmp7, 16
	s_add_co_i32 s2, s2, 1
	s_bfe_u32 s4, ttmp6, 0x40008
	s_mul_i32 s2, s3, s2
	s_getreg_b32 s12, hwreg(HW_REG_IB_STS2, 6, 4)
	s_add_co_i32 s4, s4, s2
	s_cmp_eq_u32 s12, 0
	s_cselect_b32 s2, s3, s4
	s_mov_b32 s3, 0
	s_wait_kmcnt 0x0
	s_cmp_ge_i32 s2, s33
	s_cbranch_scc1 .LBB234_10
; %bb.1:
	v_bfe_u32 v2, v0, 10, 10
	v_and_b32_e32 v6, 0x3ff, v0
	s_clause 0x1
	s_load_b256 s[4:11], s[0:1], 0x20
	s_load_b128 s[24:27], s[0:1], 0x40
	s_bfe_u32 s14, ttmp6, 0x4000c
	s_bfe_u32 s15, ttmp6, 0x40010
	s_add_co_i32 s14, s14, 1
	s_and_b32 s16, ttmp7, 0xffff
	s_add_co_i32 s15, s15, 1
	v_lshl_add_u32 v1, v2, 4, v6
	v_mov_b32_e32 v3, 0
	s_and_b32 s13, ttmp6, 15
	s_mul_i32 s14, ttmp9, s14
	s_mul_i32 s15, s16, s15
	s_bfe_u32 s17, ttmp6, 0x40004
	s_add_co_i32 s13, s13, s14
	s_add_co_i32 s17, s17, s15
	s_cmp_eq_u32 s12, 0
	v_dual_mov_b32 v5, v3 :: v_dual_lshrrev_b32 v4, 3, v1
	v_and_b32_e32 v0, 7, v0
	s_cselect_b32 s12, s16, s17
	s_cselect_b32 s20, ttmp9, s13
	s_lshl_b32 s36, s12, 5
	s_mov_b32 s37, s3
	s_clause 0x1
	s_load_b128 s[28:31], s[0:1], 0x78
	s_load_b256 s[12:19], s[0:1], 0x58
	v_add_nc_u64_e32 v[8:9], s[36:37], v[4:5]
	v_dual_lshrrev_b32 v14, 5, v1 :: v_dual_bitop2_b32 v10, 31, v1 bitop3:0x40
	s_ashr_i32 s21, s20, 31
	v_lshlrev_b32_e32 v1, 3, v0
	s_lshl_b64 s[38:39], s[20:21], 5
	s_clause 0x1
	s_load_b64 s[34:35], s[0:1], 0x50
	s_load_b128 s[20:23], s[0:1], 0x10
	s_wait_kmcnt 0x0
	v_mad_nc_u64_u32 v[8:9], s24, v0, v[8:9]
	v_mad_nc_u64_u32 v[12:13], s6, v14, s[38:39]
	v_lshlrev_b32_e32 v15, 3, v10
	v_lshl_or_b32 v1, v4, 6, v1
	v_add_nc_u64_e32 v[4:5], s[36:37], v[2:3]
	v_dual_mov_b32 v7, v3 :: v_dual_mov_b32 v11, v3
	v_lshl_add_u32 v23, v2, 6, 0x800
	s_delay_alu instid0(VALU_DEP_4) | instskip(SKIP_1) | instid1(VALU_DEP_4)
	v_add_nc_u32_e32 v19, 0x800, v1
	v_lshlrev_b32_e32 v21, 3, v6
	v_add_nc_u64_e32 v[6:7], s[38:39], v[6:7]
	v_mad_u32 v9, s25, v0, v9
	v_mul_u64_e32 v[0:1], s[28:29], v[4:5]
	v_mul_u64_e32 v[4:5], s[14:15], v[4:5]
	v_mad_u32 v13, s7, v14, v13
	v_lshl_or_b32 v17, v14, 8, v15
	s_or_b32 s0, s34, s35
	s_mov_b32 s36, s23
	s_bitset0_b32 s0, 31
	s_mov_b32 s37, s22
	s_cmp_eq_u32 s0, 0
	v_cmp_gt_i64_e64 s0, s[20:21], 0
	s_cselect_b32 s1, -1, 0
	v_add_nc_u64_e32 v[10:11], v[12:13], v[10:11]
	v_lshlrev_b64_e32 v[12:13], 3, v[8:9]
	s_lshl_b64 s[28:29], s[28:29], 4
	s_lshl_b64 s[14:15], s[14:15], 4
	s_mov_b32 s38, s23
	v_cndmask_b32_e64 v2, 0, 1, s0
	s_mov_b32 s39, s35
	v_lshlrev_b64_e32 v[10:11], 3, v[10:11]
	s_mov_b32 s40, s22
	s_mov_b32 s41, s34
	v_cmp_ne_u32_e64 s0, 1, v2
	s_mov_b32 s42, s34
	s_mov_b32 s43, s34
	;; [unrolled: 1-line block ×3, first 2 shown]
	v_lshl_add_u64 v[8:9], s[8:9], 3, v[10:11]
	v_lshl_add_u64 v[10:11], s[26:27], 3, v[12:13]
	s_mov_b32 s45, s35
	s_lshl_b64 s[6:7], s[6:7], 6
	s_lshl_b64 s[8:9], s[24:25], 6
	;; [unrolled: 1-line block ×4, first 2 shown]
	s_branch .LBB234_3
.LBB234_2:                              ;   in Loop: Header=BB234_3 Depth=1
	s_add_co_i32 s2, s2, 0x10000
	flat_store_b32 v[28:29], v25 offset:4
	s_cmp_lt_i32 s2, s33
	s_cbranch_scc0 .LBB234_10
.LBB234_3:                              ; =>This Loop Header: Depth=1
                                        ;     Child Loop BB234_5 Depth 2
	s_wait_xcnt 0x1
	v_dual_mov_b32 v2, s2 :: v_dual_mov_b32 v13, 0
	v_dual_mov_b32 v12, 0 :: v_dual_mov_b32 v22, 0
	;; [unrolled: 1-line block ×3, first 2 shown]
	s_clause 0x1
	global_load_b64 v[14:15], v2, s[12:13] scale_offset
	global_load_b64 v[26:27], v2, s[18:19] scale_offset
	s_wait_xcnt 0x0
	v_dual_mov_b32 v20, 0 :: v_dual_mov_b32 v2, 0
	v_mov_b32_e32 v16, 0
	s_and_b32 vcc_lo, exec_lo, s0
	s_cbranch_vccnz .LBB234_6
; %bb.4:                                ;   in Loop: Header=BB234_3 Depth=1
	s_lshl_b64 s[26:27], s[2:3], 3
	v_dual_mov_b32 v16, 0 :: v_dual_mov_b32 v2, 0
	s_add_nc_u64 s[30:31], s[4:5], s[26:27]
	s_add_nc_u64 s[26:27], s[10:11], s[26:27]
	s_clause 0x1
	global_load_b64 v[12:13], v3, s[30:31]
	global_load_b64 v[30:31], v3, s[26:27]
	v_dual_mov_b32 v20, 0 :: v_dual_mov_b32 v18, 0
	v_dual_mov_b32 v24, 0 :: v_dual_mov_b32 v22, 0
	s_wait_xcnt 0x0
	s_mov_b64 s[26:27], 0
	s_wait_loadcnt 0x1
	v_add_nc_u64_e32 v[28:29], v[12:13], v[8:9]
	s_wait_loadcnt 0x0
	v_add_nc_u64_e32 v[30:31], v[30:31], v[10:11]
	v_dual_mov_b32 v12, 0 :: v_dual_mov_b32 v13, v16
.LBB234_5:                              ;   Parent Loop BB234_3 Depth=1
                                        ; =>  This Inner Loop Header: Depth=2
	flat_load_b64 v[32:33], v[28:29]
	s_add_nc_u64 s[26:27], s[26:27], 8
	s_wait_xcnt 0x0
	v_add_nc_u64_e32 v[28:29], s[6:7], v[28:29]
	v_cmp_lt_i64_e64 s30, s[26:27], s[20:21]
	s_and_b32 vcc_lo, exec_lo, s30
	s_wait_loadcnt_dscnt 0x0
	ds_store_b64 v17, v[32:33]
	flat_load_b64 v[32:33], v[30:31]
	s_wait_xcnt 0x0
	v_add_nc_u64_e32 v[30:31], s[8:9], v[30:31]
	s_wait_loadcnt_dscnt 0x0
	ds_store_b64 v19, v[32:33]
	s_wait_dscnt 0x0
	s_barrier_signal -1
	s_barrier_wait -1
	ds_load_b128 v[32:35], v23
	ds_load_2addr_b64 v[36:39], v21 offset1:16
	ds_load_2addr_b64 v[40:43], v21 offset0:32 offset1:48
	ds_load_b128 v[44:47], v23 offset:16
	ds_load_b128 v[48:51], v23 offset:1024
	;; [unrolled: 1-line block ×3, first 2 shown]
	ds_load_2addr_b64 v[56:59], v21 offset0:64 offset1:80
	ds_load_2addr_b64 v[60:63], v21 offset0:96 offset1:112
	;; [unrolled: 1-line block ×4, first 2 shown]
	ds_load_b128 v[72:75], v23 offset:32
	ds_load_b128 v[76:79], v23 offset:48
	ds_load_2addr_b64 v[80:83], v21 offset0:192 offset1:208
	ds_load_2addr_b64 v[84:87], v21 offset0:224 offset1:240
	ds_load_b128 v[88:91], v23 offset:1056
	ds_load_b128 v[92:95], v23 offset:1072
	s_wait_dscnt 0x0
	s_barrier_signal -1
	s_barrier_wait -1
	v_dual_mul_f32 v25, v33, v37 :: v_dual_mul_f32 v100, v32, v37
	v_dual_mul_f32 v101, v33, v39 :: v_dual_mul_f32 v102, v32, v39
	;; [unrolled: 1-line block ×3, first 2 shown]
	v_dual_mov_b32 v98, v51 :: v_dual_mov_b32 v99, v50
	v_dual_mul_f32 v103, v35, v41 :: v_dual_mul_f32 v104, v34, v41
	v_dual_mul_f32 v105, v35, v43 :: v_dual_mul_f32 v106, v34, v43
	v_pk_mul_f32 v[96:97], v[48:49], v[38:39] op_sel:[1,1] op_sel_hi:[0,1]
	v_dual_fma_f32 v25, v32, v36, -v25 :: v_dual_fmac_f32 v100, v33, v36
	v_dual_fma_f32 v107, v48, v36, -v107 :: v_dual_fmac_f32 v108, v49, v36
	v_pk_mul_f32 v[36:37], v[98:99], v[42:43] op_sel:[0,1]
	v_dual_mul_f32 v109, v51, v41 :: v_dual_mul_f32 v110, v50, v41
	v_dual_fma_f32 v101, v32, v38, -v101 :: v_dual_fmac_f32 v102, v33, v38
	v_dual_fma_f32 v103, v34, v40, -v103 :: v_dual_fmac_f32 v104, v35, v40
	;; [unrolled: 1-line block ×3, first 2 shown]
	v_pk_fma_f32 v[32:33], v[48:49], v[38:39], v[96:97] neg_lo:[0,0,1] neg_hi:[0,0,1]
	v_pk_fma_f32 v[34:35], v[48:49], v[38:39], v[96:97] op_sel_hi:[1,0,1]
	v_pk_fma_f32 v[38:39], v[50:51], v[42:43], v[36:37] neg_lo:[0,0,1] neg_hi:[0,0,1]
	v_pk_fma_f32 v[36:37], v[50:51], v[42:43], v[36:37] op_sel_hi:[1,0,1]
	v_dual_mov_b32 v42, v55 :: v_dual_mov_b32 v43, v54
	v_dual_mul_f32 v111, v45, v57 :: v_dual_mul_f32 v112, v44, v57
	v_dual_mul_f32 v113, v45, v59 :: v_dual_mul_f32 v114, v44, v59
	;; [unrolled: 1-line block ×5, first 2 shown]
	v_dual_fma_f32 v96, v50, v40, -v109 :: v_dual_fmac_f32 v110, v51, v40
	v_pk_mul_f32 v[40:41], v[52:53], v[58:59] op_sel:[1,1] op_sel_hi:[0,1]
	v_pk_mul_f32 v[42:43], v[42:43], v[62:63] op_sel:[0,1]
	v_dual_mul_f32 v39, v73, v65 :: v_dual_mul_f32 v98, v72, v65
	v_dual_fma_f32 v99, v44, v56, -v111 :: v_dual_fmac_f32 v112, v45, v56
	v_dual_fma_f32 v109, v44, v58, -v113 :: v_dual_fmac_f32 v114, v45, v58
	;; [unrolled: 1-line block ×4, first 2 shown]
	v_dual_mul_f32 v57, v73, v67 :: v_dual_mul_f32 v115, v72, v67
	v_dual_fma_f32 v117, v52, v56, -v33 :: v_dual_fmac_f32 v34, v53, v56
	v_mul_f32_e32 v33, v75, v69
	v_pk_fma_f32 v[44:45], v[52:53], v[58:59], v[40:41] neg_lo:[0,0,1] neg_hi:[0,0,1]
	v_pk_fma_f32 v[40:41], v[52:53], v[58:59], v[40:41] op_sel_hi:[1,0,1]
	v_pk_fma_f32 v[46:47], v[54:55], v[62:63], v[42:43] neg_lo:[0,0,1] neg_hi:[0,0,1]
	v_pk_fma_f32 v[42:43], v[54:55], v[62:63], v[42:43] op_sel_hi:[1,0,1]
	v_dual_mov_b32 v50, v91 :: v_dual_mov_b32 v51, v90
	v_dual_mul_f32 v40, v74, v69 :: v_dual_mul_f32 v42, v75, v71
	v_dual_mul_f32 v119, v74, v71 :: v_dual_mul_f32 v45, v89, v65
	v_mul_f32_e32 v65, v88, v65
	v_dual_fma_f32 v120, v72, v64, -v39 :: v_dual_fmac_f32 v98, v73, v64
	v_dual_fma_f32 v72, v72, v66, -v57 :: v_dual_fmac_f32 v115, v73, v66
	;; [unrolled: 1-line block ×3, first 2 shown]
	v_dual_mul_f32 v33, v91, v69 :: v_dual_mul_f32 v69, v90, v69
	v_dual_mul_f32 v36, v55, v61 :: v_dual_mul_f32 v97, v54, v61
	v_pk_mul_f32 v[50:51], v[50:51], v[70:71] op_sel:[0,1]
	v_dual_fma_f32 v42, v74, v70, -v42 :: v_dual_fmac_f32 v119, v75, v70
	v_dual_fma_f32 v74, v88, v64, -v45 :: v_dual_mul_f32 v39, v77, v81
	v_fmac_f32_e32 v65, v89, v64
	v_dual_fma_f32 v64, v90, v68, -v33 :: v_dual_mul_f32 v33, v77, v83
	v_dual_fma_f32 v36, v54, v60, -v36 :: v_dual_fmac_f32 v97, v55, v60
	v_pk_mul_f32 v[48:49], v[88:89], v[66:67] op_sel:[1,1] op_sel_hi:[0,1]
	v_pk_fma_f32 v[54:55], v[90:91], v[70:71], v[50:51] neg_lo:[0,0,1] neg_hi:[0,0,1]
	v_pk_fma_f32 v[50:51], v[90:91], v[70:71], v[50:51] op_sel_hi:[1,0,1]
	v_pk_mul_f32 v[56:57], v[92:93], v[82:83] op_sel:[1,1] op_sel_hi:[0,1]
	v_dual_fmac_f32 v69, v91, v68 :: v_dual_mul_f32 v50, v76, v83
	v_dual_mul_f32 v45, v79, v85 :: v_dual_mul_f32 v47, v79, v87
	v_dual_fma_f32 v71, v76, v82, -v33 :: v_dual_mul_f32 v33, v95, v85
	v_pk_fma_f32 v[52:53], v[88:89], v[66:67], v[48:49] neg_lo:[0,0,1] neg_hi:[0,0,1]
	v_pk_fma_f32 v[48:49], v[88:89], v[66:67], v[48:49] op_sel_hi:[1,0,1]
	v_pk_fma_f32 v[58:59], v[92:93], v[82:83], v[56:57] neg_lo:[0,0,1] neg_hi:[0,0,1]
	v_pk_fma_f32 v[56:57], v[92:93], v[82:83], v[56:57] op_sel_hi:[1,0,1]
	v_mul_f32_e32 v48, v76, v81
	v_dual_mul_f32 v66, v78, v85 :: v_dual_mul_f32 v67, v78, v87
	v_dual_mul_f32 v53, v93, v81 :: v_dual_mul_f32 v68, v92, v81
	s_delay_alu instid0(VALU_DEP_3) | instskip(NEXT) | instid1(VALU_DEP_3)
	v_dual_fma_f32 v70, v76, v80, -v39 :: v_dual_fmac_f32 v48, v77, v80
	v_dual_fma_f32 v75, v78, v84, -v45 :: v_dual_fmac_f32 v66, v79, v84
	v_fma_f32 v76, v78, v86, -v47
	v_dual_mul_f32 v56, v94, v85 :: v_dual_fma_f32 v78, v94, v84, -v33
	v_dual_add_f32 v2, v2, v107 :: v_dual_mov_b32 v33, v35
	v_dual_add_f32 v22, v22, v25 :: v_dual_add_f32 v24, v24, v100
	v_dual_add_f32 v18, v18, v101 :: v_dual_add_f32 v20, v20, v102
	v_dual_add_f32 v16, v16, v108 :: v_dual_mov_b32 v45, v41
	s_delay_alu instid0(VALU_DEP_4) | instskip(SKIP_4) | instid1(VALU_DEP_4)
	v_pk_add_f32 v[12:13], v[12:13], v[32:33]
	v_dual_mov_b32 v39, v37 :: v_dual_mov_b32 v47, v43
	v_dual_add_f32 v22, v22, v103 :: v_dual_add_f32 v24, v24, v104
	v_dual_add_f32 v18, v18, v105 :: v_dual_add_f32 v20, v20, v106
	;; [unrolled: 1-line block ×3, first 2 shown]
	v_pk_add_f32 v[12:13], v[12:13], v[38:39]
	v_dual_mov_b32 v60, v95 :: v_dual_mov_b32 v61, v94
	v_dual_add_f32 v22, v22, v99 :: v_dual_add_f32 v24, v24, v112
	v_dual_add_f32 v18, v18, v109 :: v_dual_add_f32 v20, v20, v114
	;; [unrolled: 1-line block ×3, first 2 shown]
	v_pk_add_f32 v[12:13], v[12:13], v[44:45]
	v_dual_fmac_f32 v50, v77, v82 :: v_dual_fma_f32 v77, v92, v80, -v53
	v_pk_mul_f32 v[60:61], v[60:61], v[86:87] op_sel:[0,1]
	v_dual_mov_b32 v53, v49 :: v_dual_mov_b32 v59, v57
	v_dual_add_f32 v22, v22, v111 :: v_dual_add_f32 v24, v24, v116
	v_dual_add_f32 v18, v18, v113 :: v_dual_add_f32 v20, v20, v118
	;; [unrolled: 1-line block ×3, first 2 shown]
	v_pk_add_f32 v[12:13], v[12:13], v[46:47]
	v_pk_fma_f32 v[62:63], v[94:95], v[86:87], v[60:61] neg_lo:[0,0,1] neg_hi:[0,0,1]
	v_pk_fma_f32 v[60:61], v[94:95], v[86:87], v[60:61] op_sel_hi:[1,0,1]
	v_dual_mov_b32 v55, v51 :: v_dual_add_f32 v22, v22, v120
	v_dual_add_f32 v24, v24, v98 :: v_dual_add_f32 v18, v18, v72
	v_dual_add_f32 v20, v20, v115 :: v_dual_add_f32 v2, v2, v74
	v_add_f32_e32 v16, v16, v65
	v_pk_add_f32 v[12:13], v[12:13], v[52:53]
	v_dual_fmac_f32 v67, v79, v86 :: v_dual_fmac_f32 v68, v93, v80
	v_dual_mov_b32 v63, v61 :: v_dual_add_f32 v22, v22, v73
	v_dual_add_f32 v24, v24, v40 :: v_dual_add_f32 v18, v18, v42
	v_dual_add_f32 v20, v20, v119 :: v_dual_add_f32 v2, v2, v64
	v_add_f32_e32 v16, v16, v69
	v_pk_add_f32 v[12:13], v[12:13], v[54:55]
	v_dual_fmac_f32 v56, v95, v84 :: v_dual_add_f32 v22, v22, v70
	v_dual_add_f32 v24, v24, v48 :: v_dual_add_f32 v18, v18, v71
	v_dual_add_f32 v20, v20, v50 :: v_dual_add_f32 v2, v2, v77
	v_add_f32_e32 v16, v16, v68
	v_pk_add_f32 v[12:13], v[12:13], v[58:59]
	s_delay_alu instid0(VALU_DEP_4) | instskip(NEXT) | instid1(VALU_DEP_4)
	v_dual_add_f32 v22, v22, v75 :: v_dual_add_f32 v24, v24, v66
	v_dual_add_f32 v18, v18, v76 :: v_dual_add_f32 v20, v20, v67
	s_delay_alu instid0(VALU_DEP_4) | instskip(NEXT) | instid1(VALU_DEP_4)
	v_dual_add_f32 v2, v2, v78 :: v_dual_add_f32 v16, v16, v56
	v_pk_add_f32 v[12:13], v[12:13], v[62:63]
	s_cbranch_vccnz .LBB234_5
.LBB234_6:                              ;   in Loop: Header=BB234_3 Depth=1
	s_wait_loadcnt 0x0
	v_add_nc_u64_e32 v[26:27], s[24:25], v[26:27]
	s_and_not1_b32 vcc_lo, exec_lo, s1
	s_mov_b32 s26, -1
                                        ; implicit-def: $vgpr25
                                        ; implicit-def: $vgpr28_vgpr29
	s_cbranch_vccz .LBB234_8
; %bb.7:                                ;   in Loop: Header=BB234_3 Depth=1
	s_and_not1_b32 vcc_lo, exec_lo, s26
	s_cbranch_vccnz .LBB234_2
	s_branch .LBB234_9
.LBB234_8:                              ;   in Loop: Header=BB234_3 Depth=1
	v_mov_b64_e32 v[28:29], s[36:37]
	s_delay_alu instid0(VALU_DEP_2) | instskip(SKIP_2) | instid1(VALU_DEP_3)
	v_lshl_add_u64 v[30:31], v[0:1], 3, v[26:27]
	v_mov_b64_e32 v[34:35], s[22:23]
	v_lshlrev_b64_e32 v[32:33], 3, v[6:7]
	v_lshl_add_u64 v[40:41], s[28:29], 3, v[30:31]
	v_pk_mul_f32 v[36:37], v[24:25], v[28:29] op_sel_hi:[0,1]
	v_pk_mul_f32 v[38:39], v[20:21], v[28:29] op_sel_hi:[0,1]
	;; [unrolled: 1-line block ×3, first 2 shown]
	v_add_nc_u64_e32 v[30:31], v[30:31], v[32:33]
	v_add_nc_u64_e32 v[32:33], v[40:41], v[32:33]
	v_pk_fma_f32 v[44:45], v[22:23], v[34:35], v[36:37] neg_lo:[0,0,1] neg_hi:[0,0,1]
	v_pk_fma_f32 v[36:37], v[22:23], v[34:35], v[36:37] op_sel_hi:[0,1,1]
	v_pk_fma_f32 v[46:47], v[18:19], v[34:35], v[38:39] neg_lo:[0,0,1] neg_hi:[0,0,1]
	v_pk_fma_f32 v[38:39], v[18:19], v[34:35], v[38:39] op_sel_hi:[0,1,1]
	v_pk_fma_f32 v[40:41], v[2:3], v[34:35], v[42:43] op_sel_hi:[0,1,1]
	s_delay_alu instid0(VALU_DEP_4)
	v_dual_mul_f32 v25, s22, v12 :: v_dual_mov_b32 v45, v37
	v_pk_mul_f32 v[36:37], v[12:13], v[28:29]
	v_add_nc_u64_e32 v[28:29], 0x80, v[32:33]
	v_pk_fma_f32 v[34:35], v[2:3], v[34:35], v[42:43] neg_lo:[0,0,1] neg_hi:[0,0,1]
	v_dual_mov_b32 v47, v39 :: v_dual_mov_b32 v35, v41
	v_fma_f32 v38, -v13, s36, v25
	v_add_f32_e32 v25, v36, v37
	s_clause 0x3
	flat_store_b64 v[30:31], v[44:45]
	flat_store_b64 v[30:31], v[46:47] offset:128
	flat_store_b64 v[32:33], v[34:35]
	flat_store_b32 v[32:33], v38 offset:128
	s_cbranch_execnz .LBB234_2
.LBB234_9:                              ;   in Loop: Header=BB234_3 Depth=1
	v_add_nc_u64_e32 v[14:15], s[16:17], v[14:15]
	v_lshlrev_b64_e32 v[28:29], 3, v[6:7]
	s_wait_xcnt 0x1
	v_mov_b64_e32 v[34:35], s[36:37]
	v_mov_b64_e32 v[36:37], s[44:45]
	s_wait_xcnt 0x0
	v_mov_b64_e32 v[38:39], s[22:23]
	v_mov_b64_e32 v[40:41], s[42:43]
	v_lshl_add_u64 v[26:27], v[0:1], 3, v[26:27]
	v_lshl_add_u64 v[14:15], v[4:5], 3, v[14:15]
	v_pk_mul_f32 v[24:25], v[24:25], v[34:35] op_sel_hi:[0,1]
	s_delay_alu instid0(VALU_DEP_2) | instskip(SKIP_1) | instid1(VALU_DEP_3)
	v_add_nc_u64_e32 v[30:31], v[14:15], v[28:29]
	v_lshl_add_u64 v[14:15], s[14:15], 3, v[14:15]
	v_pk_fma_f32 v[44:45], v[22:23], v[38:39], v[24:25] op_sel_hi:[0,1,1]
	v_pk_fma_f32 v[24:25], v[22:23], v[38:39], v[24:25] neg_lo:[0,0,1] neg_hi:[0,0,1]
	s_delay_alu instid0(VALU_DEP_3) | instskip(SKIP_3) | instid1(VALU_DEP_1)
	v_add_nc_u64_e32 v[14:15], v[14:15], v[28:29]
	flat_load_b64 v[32:33], v[30:31]
	s_wait_loadcnt_dscnt 0x0
	v_pk_mul_f32 v[42:43], v[32:33], v[36:37]
	v_pk_fma_f32 v[46:47], v[32:33], v[40:41], v[42:43] op_sel:[0,0,1] op_sel_hi:[1,1,0]
	v_pk_fma_f32 v[32:33], v[32:33], v[40:41], v[42:43] op_sel:[0,0,1] op_sel_hi:[1,1,0] neg_lo:[0,0,1] neg_hi:[0,0,1]
	v_mov_b32_e32 v25, v45
	v_add_nc_u64_e32 v[42:43], v[26:27], v[28:29]
	v_lshl_add_u64 v[26:27], s[28:29], 3, v[26:27]
	v_mov_b32_e32 v33, v47
	s_delay_alu instid0(VALU_DEP_2) | instskip(NEXT) | instid1(VALU_DEP_2)
	v_add_nc_u64_e32 v[26:27], v[26:27], v[28:29]
	v_pk_add_f32 v[24:25], v[24:25], v[32:33]
	v_mov_b32_e32 v28, v12
	flat_store_b64 v[42:43], v[24:25]
	flat_load_b64 v[24:25], v[30:31] offset:128
	s_wait_xcnt 0x0
	v_pk_mul_f32 v[30:31], v[20:21], v[34:35] op_sel_hi:[0,1]
	s_delay_alu instid0(VALU_DEP_1) | instskip(SKIP_3) | instid1(VALU_DEP_1)
	v_pk_fma_f32 v[44:45], v[18:19], v[38:39], v[30:31] op_sel_hi:[0,1,1]
	v_pk_fma_f32 v[30:31], v[18:19], v[38:39], v[30:31] neg_lo:[0,0,1] neg_hi:[0,0,1]
	s_wait_loadcnt_dscnt 0x0
	v_pk_mul_f32 v[32:33], v[24:25], v[36:37]
	v_pk_fma_f32 v[46:47], v[24:25], v[40:41], v[32:33] op_sel:[0,0,1] op_sel_hi:[1,1,0]
	v_pk_fma_f32 v[24:25], v[24:25], v[40:41], v[32:33] op_sel:[0,0,1] op_sel_hi:[1,1,0] neg_lo:[0,0,1] neg_hi:[0,0,1]
	s_delay_alu instid0(VALU_DEP_2) | instskip(NEXT) | instid1(VALU_DEP_1)
	v_dual_mov_b32 v31, v45 :: v_dual_mov_b32 v25, v47
	v_pk_add_f32 v[24:25], v[30:31], v[24:25]
	v_pk_mul_f32 v[30:31], v[16:17], v[34:35] op_sel_hi:[0,1]
	v_mul_f32_e32 v16, s22, v12
	flat_store_b64 v[42:43], v[24:25] offset:128
	flat_load_b64 v[24:25], v[14:15]
	v_pk_fma_f32 v[34:35], v[2:3], v[38:39], v[30:31] op_sel_hi:[0,1,1]
	v_pk_fma_f32 v[30:31], v[2:3], v[38:39], v[30:31] neg_lo:[0,0,1] neg_hi:[0,0,1]
	v_fma_f32 v16, -v13, s36, v16
	s_wait_loadcnt_dscnt 0x0
	v_pk_mul_f32 v[32:33], v[24:25], v[36:37]
	s_delay_alu instid0(VALU_DEP_1) | instskip(SKIP_1) | instid1(VALU_DEP_2)
	v_pk_fma_f32 v[36:37], v[24:25], v[40:41], v[32:33] op_sel:[0,0,1] op_sel_hi:[1,1,0]
	v_pk_fma_f32 v[24:25], v[24:25], v[40:41], v[32:33] op_sel:[0,0,1] op_sel_hi:[1,1,0] neg_lo:[0,0,1] neg_hi:[0,0,1]
	v_dual_mov_b32 v31, v35 :: v_dual_mov_b32 v25, v37
	s_delay_alu instid0(VALU_DEP_1)
	v_pk_add_f32 v[24:25], v[30:31], v[24:25]
	flat_store_b64 v[26:27], v[24:25]
	flat_load_b64 v[14:15], v[14:15] offset:128
	s_wait_xcnt 0x1
	v_mov_b64_e32 v[24:25], s[40:41]
	s_wait_loadcnt_dscnt 0x0
	v_dual_mul_f32 v2, s35, v15 :: v_dual_mov_b32 v29, v14
	s_delay_alu instid0(VALU_DEP_1) | instskip(SKIP_1) | instid1(VALU_DEP_1)
	v_fma_f32 v2, v14, s34, -v2
	s_wait_xcnt 0x0
	v_dual_mov_b32 v14, v13 :: v_dual_add_f32 v2, v16, v2
	s_delay_alu instid0(VALU_DEP_1) | instskip(SKIP_4) | instid1(VALU_DEP_2)
	v_pk_mul_f32 v[14:15], v[14:15], v[24:25]
	v_mov_b64_e32 v[24:25], s[38:39]
	flat_store_b32 v[26:27], v2 offset:128
	v_pk_fma_f32 v[12:13], v[28:29], v[24:25], v[14:15]
	v_add_nc_u64_e32 v[28:29], 0x80, v[26:27]
	v_add_f32_e32 v25, v12, v13
	s_branch .LBB234_2
.LBB234_10:
	s_sendmsg sendmsg(MSG_DEALLOC_VGPRS)
	s_endpgm
	.section	.rodata,"a",@progbits
	.p2align	6, 0x0
	.amdhsa_kernel _ZN12_GLOBAL__N_127rocblas_gemm_batched_kernelI19rocblas_complex_numIfELi16ELi16ELi32ELi32ELi8ELi32ELi8ELi8ELi32ELc78ELc84EKPKS2_S5_KPS2_EEvlllT_PT11_llSA_llS8_PT12_llPT13_lli
		.amdhsa_group_segment_fixed_size 4096
		.amdhsa_private_segment_fixed_size 0
		.amdhsa_kernarg_size 140
		.amdhsa_user_sgpr_count 2
		.amdhsa_user_sgpr_dispatch_ptr 0
		.amdhsa_user_sgpr_queue_ptr 0
		.amdhsa_user_sgpr_kernarg_segment_ptr 1
		.amdhsa_user_sgpr_dispatch_id 0
		.amdhsa_user_sgpr_kernarg_preload_length 0
		.amdhsa_user_sgpr_kernarg_preload_offset 0
		.amdhsa_user_sgpr_private_segment_size 0
		.amdhsa_wavefront_size32 1
		.amdhsa_uses_dynamic_stack 0
		.amdhsa_enable_private_segment 0
		.amdhsa_system_sgpr_workgroup_id_x 1
		.amdhsa_system_sgpr_workgroup_id_y 1
		.amdhsa_system_sgpr_workgroup_id_z 1
		.amdhsa_system_sgpr_workgroup_info 0
		.amdhsa_system_vgpr_workitem_id 1
		.amdhsa_next_free_vgpr 121
		.amdhsa_next_free_sgpr 46
		.amdhsa_named_barrier_count 0
		.amdhsa_reserve_vcc 1
		.amdhsa_float_round_mode_32 0
		.amdhsa_float_round_mode_16_64 0
		.amdhsa_float_denorm_mode_32 3
		.amdhsa_float_denorm_mode_16_64 3
		.amdhsa_fp16_overflow 0
		.amdhsa_memory_ordered 1
		.amdhsa_forward_progress 1
		.amdhsa_inst_pref_size 23
		.amdhsa_round_robin_scheduling 0
		.amdhsa_exception_fp_ieee_invalid_op 0
		.amdhsa_exception_fp_denorm_src 0
		.amdhsa_exception_fp_ieee_div_zero 0
		.amdhsa_exception_fp_ieee_overflow 0
		.amdhsa_exception_fp_ieee_underflow 0
		.amdhsa_exception_fp_ieee_inexact 0
		.amdhsa_exception_int_div_zero 0
	.end_amdhsa_kernel
	.section	.text._ZN12_GLOBAL__N_127rocblas_gemm_batched_kernelI19rocblas_complex_numIfELi16ELi16ELi32ELi32ELi8ELi32ELi8ELi8ELi32ELc78ELc84EKPKS2_S5_KPS2_EEvlllT_PT11_llSA_llS8_PT12_llPT13_lli,"axG",@progbits,_ZN12_GLOBAL__N_127rocblas_gemm_batched_kernelI19rocblas_complex_numIfELi16ELi16ELi32ELi32ELi8ELi32ELi8ELi8ELi32ELc78ELc84EKPKS2_S5_KPS2_EEvlllT_PT11_llSA_llS8_PT12_llPT13_lli,comdat
.Lfunc_end234:
	.size	_ZN12_GLOBAL__N_127rocblas_gemm_batched_kernelI19rocblas_complex_numIfELi16ELi16ELi32ELi32ELi8ELi32ELi8ELi8ELi32ELc78ELc84EKPKS2_S5_KPS2_EEvlllT_PT11_llSA_llS8_PT12_llPT13_lli, .Lfunc_end234-_ZN12_GLOBAL__N_127rocblas_gemm_batched_kernelI19rocblas_complex_numIfELi16ELi16ELi32ELi32ELi8ELi32ELi8ELi8ELi32ELc78ELc84EKPKS2_S5_KPS2_EEvlllT_PT11_llSA_llS8_PT12_llPT13_lli
                                        ; -- End function
	.set _ZN12_GLOBAL__N_127rocblas_gemm_batched_kernelI19rocblas_complex_numIfELi16ELi16ELi32ELi32ELi8ELi32ELi8ELi8ELi32ELc78ELc84EKPKS2_S5_KPS2_EEvlllT_PT11_llSA_llS8_PT12_llPT13_lli.num_vgpr, 121
	.set _ZN12_GLOBAL__N_127rocblas_gemm_batched_kernelI19rocblas_complex_numIfELi16ELi16ELi32ELi32ELi8ELi32ELi8ELi8ELi32ELc78ELc84EKPKS2_S5_KPS2_EEvlllT_PT11_llSA_llS8_PT12_llPT13_lli.num_agpr, 0
	.set _ZN12_GLOBAL__N_127rocblas_gemm_batched_kernelI19rocblas_complex_numIfELi16ELi16ELi32ELi32ELi8ELi32ELi8ELi8ELi32ELc78ELc84EKPKS2_S5_KPS2_EEvlllT_PT11_llSA_llS8_PT12_llPT13_lli.numbered_sgpr, 46
	.set _ZN12_GLOBAL__N_127rocblas_gemm_batched_kernelI19rocblas_complex_numIfELi16ELi16ELi32ELi32ELi8ELi32ELi8ELi8ELi32ELc78ELc84EKPKS2_S5_KPS2_EEvlllT_PT11_llSA_llS8_PT12_llPT13_lli.num_named_barrier, 0
	.set _ZN12_GLOBAL__N_127rocblas_gemm_batched_kernelI19rocblas_complex_numIfELi16ELi16ELi32ELi32ELi8ELi32ELi8ELi8ELi32ELc78ELc84EKPKS2_S5_KPS2_EEvlllT_PT11_llSA_llS8_PT12_llPT13_lli.private_seg_size, 0
	.set _ZN12_GLOBAL__N_127rocblas_gemm_batched_kernelI19rocblas_complex_numIfELi16ELi16ELi32ELi32ELi8ELi32ELi8ELi8ELi32ELc78ELc84EKPKS2_S5_KPS2_EEvlllT_PT11_llSA_llS8_PT12_llPT13_lli.uses_vcc, 1
	.set _ZN12_GLOBAL__N_127rocblas_gemm_batched_kernelI19rocblas_complex_numIfELi16ELi16ELi32ELi32ELi8ELi32ELi8ELi8ELi32ELc78ELc84EKPKS2_S5_KPS2_EEvlllT_PT11_llSA_llS8_PT12_llPT13_lli.uses_flat_scratch, 1
	.set _ZN12_GLOBAL__N_127rocblas_gemm_batched_kernelI19rocblas_complex_numIfELi16ELi16ELi32ELi32ELi8ELi32ELi8ELi8ELi32ELc78ELc84EKPKS2_S5_KPS2_EEvlllT_PT11_llSA_llS8_PT12_llPT13_lli.has_dyn_sized_stack, 0
	.set _ZN12_GLOBAL__N_127rocblas_gemm_batched_kernelI19rocblas_complex_numIfELi16ELi16ELi32ELi32ELi8ELi32ELi8ELi8ELi32ELc78ELc84EKPKS2_S5_KPS2_EEvlllT_PT11_llSA_llS8_PT12_llPT13_lli.has_recursion, 0
	.set _ZN12_GLOBAL__N_127rocblas_gemm_batched_kernelI19rocblas_complex_numIfELi16ELi16ELi32ELi32ELi8ELi32ELi8ELi8ELi32ELc78ELc84EKPKS2_S5_KPS2_EEvlllT_PT11_llSA_llS8_PT12_llPT13_lli.has_indirect_call, 0
	.section	.AMDGPU.csdata,"",@progbits
; Kernel info:
; codeLenInByte = 2896
; TotalNumSgprs: 48
; NumVgprs: 121
; ScratchSize: 0
; MemoryBound: 0
; FloatMode: 240
; IeeeMode: 1
; LDSByteSize: 4096 bytes/workgroup (compile time only)
; SGPRBlocks: 0
; VGPRBlocks: 7
; NumSGPRsForWavesPerEU: 48
; NumVGPRsForWavesPerEU: 121
; NamedBarCnt: 0
; Occupancy: 8
; WaveLimiterHint : 1
; COMPUTE_PGM_RSRC2:SCRATCH_EN: 0
; COMPUTE_PGM_RSRC2:USER_SGPR: 2
; COMPUTE_PGM_RSRC2:TRAP_HANDLER: 0
; COMPUTE_PGM_RSRC2:TGID_X_EN: 1
; COMPUTE_PGM_RSRC2:TGID_Y_EN: 1
; COMPUTE_PGM_RSRC2:TGID_Z_EN: 1
; COMPUTE_PGM_RSRC2:TIDIG_COMP_CNT: 1
	.section	.text._ZN12_GLOBAL__N_127rocblas_gemm_batched_kernelI19rocblas_complex_numIfELi16ELi16ELi32ELi32ELi8ELi32ELi8ELi8ELi32ELc84ELc84EKPKS2_S5_KPS2_EEvlllT_PT11_llSA_llS8_PT12_llPT13_lli,"axG",@progbits,_ZN12_GLOBAL__N_127rocblas_gemm_batched_kernelI19rocblas_complex_numIfELi16ELi16ELi32ELi32ELi8ELi32ELi8ELi8ELi32ELc84ELc84EKPKS2_S5_KPS2_EEvlllT_PT11_llSA_llS8_PT12_llPT13_lli,comdat
	.globl	_ZN12_GLOBAL__N_127rocblas_gemm_batched_kernelI19rocblas_complex_numIfELi16ELi16ELi32ELi32ELi8ELi32ELi8ELi8ELi32ELc84ELc84EKPKS2_S5_KPS2_EEvlllT_PT11_llSA_llS8_PT12_llPT13_lli ; -- Begin function _ZN12_GLOBAL__N_127rocblas_gemm_batched_kernelI19rocblas_complex_numIfELi16ELi16ELi32ELi32ELi8ELi32ELi8ELi8ELi32ELc84ELc84EKPKS2_S5_KPS2_EEvlllT_PT11_llSA_llS8_PT12_llPT13_lli
	.p2align	8
	.type	_ZN12_GLOBAL__N_127rocblas_gemm_batched_kernelI19rocblas_complex_numIfELi16ELi16ELi32ELi32ELi8ELi32ELi8ELi8ELi32ELc84ELc84EKPKS2_S5_KPS2_EEvlllT_PT11_llSA_llS8_PT12_llPT13_lli,@function
_ZN12_GLOBAL__N_127rocblas_gemm_batched_kernelI19rocblas_complex_numIfELi16ELi16ELi32ELi32ELi8ELi32ELi8ELi8ELi32ELc84ELc84EKPKS2_S5_KPS2_EEvlllT_PT11_llSA_llS8_PT12_llPT13_lli: ; @_ZN12_GLOBAL__N_127rocblas_gemm_batched_kernelI19rocblas_complex_numIfELi16ELi16ELi32ELi32ELi8ELi32ELi8ELi8ELi32ELc84ELc84EKPKS2_S5_KPS2_EEvlllT_PT11_llSA_llS8_PT12_llPT13_lli
; %bb.0:
	s_load_b32 s33, s[0:1], 0x88
	s_bfe_u32 s2, ttmp6, 0x40014
	s_lshr_b32 s3, ttmp7, 16
	s_add_co_i32 s2, s2, 1
	s_bfe_u32 s4, ttmp6, 0x40008
	s_mul_i32 s2, s3, s2
	s_getreg_b32 s20, hwreg(HW_REG_IB_STS2, 6, 4)
	s_add_co_i32 s4, s4, s2
	s_cmp_eq_u32 s20, 0
	s_cselect_b32 s2, s3, s4
	s_mov_b32 s3, 0
	s_wait_kmcnt 0x0
	s_cmp_ge_i32 s2, s33
	s_cbranch_scc1 .LBB235_10
; %bb.1:
	v_bfe_u32 v2, v0, 10, 10
	v_and_b32_e32 v6, 0x3ff, v0
	s_bfe_u32 s21, ttmp6, 0x4000c
	s_bfe_u32 s23, ttmp6, 0x40010
	s_clause 0x1
	s_load_b256 s[4:11], s[0:1], 0x20
	s_load_b128 s[24:27], s[0:1], 0x78
	s_add_co_i32 s21, s21, 1
	s_and_b32 s36, ttmp7, 0xffff
	s_add_co_i32 s23, s23, 1
	s_and_b32 s22, ttmp6, 15
	s_mul_i32 s21, ttmp9, s21
	s_mul_i32 s23, s36, s23
	s_bfe_u32 s37, ttmp6, 0x40004
	v_lshl_add_u32 v7, v2, 4, v6
	s_add_co_i32 s22, s22, s21
	s_add_co_i32 s37, s37, s23
	s_cmp_eq_u32 s20, 0
	s_delay_alu instid0(VALU_DEP_1)
	v_dual_mov_b32 v3, 0 :: v_dual_bitop2_b32 v12, 31, v7 bitop3:0x40
	s_cselect_b32 s21, s36, s37
	s_cselect_b32 s20, ttmp9, s22
	s_clause 0x1
	s_load_b128 s[28:31], s[0:1], 0x40
	s_load_b64 s[34:35], s[0:1], 0x50
	s_lshl_b32 s36, s21, 5
	s_ashr_i32 s21, s20, 31
	s_load_b256 s[12:19], s[0:1], 0x58
	s_lshl_b64 s[38:39], s[20:21], 5
	v_dual_mov_b32 v5, v3 :: v_dual_lshrrev_b32 v4, 3, v7
	v_dual_mov_b32 v1, s39 :: v_dual_bitop2_b32 v13, 7, v0 bitop3:0x40
	v_or_b32_e32 v0, s38, v12
	s_mov_b32 s37, s3
	s_load_b128 s[20:23], s[0:1], 0x10
	v_add_nc_u64_e32 v[8:9], s[36:37], v[4:5]
	v_lshlrev_b32_e32 v5, 3, v13
	s_wait_kmcnt 0x0
	v_mul_u64_e32 v[10:11], s[6:7], v[0:1]
	v_dual_lshrrev_b32 v14, 5, v7 :: v_dual_lshlrev_b32 v0, 3, v12
	v_dual_mov_b32 v7, v3 :: v_dual_lshlrev_b32 v21, 3, v6
	v_lshl_or_b32 v1, v4, 6, v5
	v_add_nc_u64_e32 v[4:5], s[36:37], v[2:3]
	v_mad_nc_u64_u32 v[8:9], s28, v13, v[8:9]
	v_lshl_or_b32 v17, v14, 8, v0
	s_or_b32 s0, s34, s35
	v_add_nc_u32_e32 v19, 0x800, v1
	s_bitset0_b32 s0, 31
	v_lshl_add_u32 v23, v2, 6, 0x800
	v_mul_u64_e32 v[0:1], s[24:25], v[4:5]
	v_mul_u64_e32 v[4:5], s[14:15], v[4:5]
	s_cmp_eq_u32 s0, 0
	v_lshlrev_b32_e32 v2, 3, v14
	v_cmp_gt_i64_e64 s0, s[20:21], 0
	v_mad_u32 v9, s29, v13, v9
	s_cselect_b32 s1, -1, 0
	s_lshl_b64 s[8:9], s[8:9], 3
	v_add_nc_u64_e32 v[6:7], s[38:39], v[6:7]
	s_mov_b32 s6, s23
	s_mov_b32 s7, s22
	v_cndmask_b32_e64 v14, 0, 1, s0
	s_lshl_b64 s[24:25], s[24:25], 4
	s_lshl_b64 s[14:15], s[14:15], 4
	s_mov_b32 s36, s23
	s_mov_b32 s37, s35
	v_lshlrev_b64_e32 v[12:13], 3, v[8:9]
	v_cmp_ne_u32_e64 s0, 1, v14
	s_mov_b32 s38, s22
	v_lshl_add_u64 v[10:11], v[10:11], 3, s[8:9]
	s_mov_b32 s39, s34
	s_mov_b32 s40, s34
	;; [unrolled: 1-line block ×4, first 2 shown]
	v_add_nc_u64_e32 v[8:9], v[10:11], v[2:3]
	v_lshl_add_u64 v[10:11], s[30:31], 3, v[12:13]
	s_mov_b32 s9, s35
	s_lshl_b64 s[28:29], s[28:29], 6
	s_lshl_b64 s[26:27], s[26:27], 3
	;; [unrolled: 1-line block ×3, first 2 shown]
	s_branch .LBB235_3
.LBB235_2:                              ;   in Loop: Header=BB235_3 Depth=1
	s_add_co_i32 s2, s2, 0x10000
	flat_store_b32 v[28:29], v25 offset:4
	s_cmp_lt_i32 s2, s33
	s_cbranch_scc0 .LBB235_10
.LBB235_3:                              ; =>This Loop Header: Depth=1
                                        ;     Child Loop BB235_5 Depth 2
	s_wait_xcnt 0x1
	v_dual_mov_b32 v2, s2 :: v_dual_mov_b32 v13, 0
	v_dual_mov_b32 v12, 0 :: v_dual_mov_b32 v22, 0
	;; [unrolled: 1-line block ×3, first 2 shown]
	s_clause 0x1
	global_load_b64 v[14:15], v2, s[12:13] scale_offset
	global_load_b64 v[26:27], v2, s[18:19] scale_offset
	s_wait_xcnt 0x0
	v_dual_mov_b32 v20, 0 :: v_dual_mov_b32 v2, 0
	v_mov_b32_e32 v16, 0
	s_and_b32 vcc_lo, exec_lo, s0
	s_cbranch_vccnz .LBB235_6
; %bb.4:                                ;   in Loop: Header=BB235_3 Depth=1
	s_lshl_b64 s[30:31], s[2:3], 3
	v_dual_mov_b32 v16, 0 :: v_dual_mov_b32 v2, 0
	s_add_nc_u64 s[42:43], s[4:5], s[30:31]
	s_add_nc_u64 s[30:31], s[10:11], s[30:31]
	s_clause 0x1
	global_load_b64 v[12:13], v3, s[42:43]
	global_load_b64 v[30:31], v3, s[30:31]
	v_dual_mov_b32 v20, 0 :: v_dual_mov_b32 v18, 0
	v_dual_mov_b32 v24, 0 :: v_dual_mov_b32 v22, 0
	s_wait_xcnt 0x0
	s_mov_b64 s[30:31], 0
	s_wait_loadcnt 0x1
	v_add_nc_u64_e32 v[28:29], v[12:13], v[8:9]
	s_wait_loadcnt 0x0
	v_add_nc_u64_e32 v[30:31], v[30:31], v[10:11]
	v_dual_mov_b32 v12, 0 :: v_dual_mov_b32 v13, v16
.LBB235_5:                              ;   Parent Loop BB235_3 Depth=1
                                        ; =>  This Inner Loop Header: Depth=2
	flat_load_b64 v[32:33], v[28:29]
	s_add_nc_u64 s[30:31], s[30:31], 8
	s_wait_xcnt 0x0
	v_add_nc_u64_e32 v[28:29], 64, v[28:29]
	v_cmp_lt_i64_e64 s42, s[30:31], s[20:21]
	s_and_b32 vcc_lo, exec_lo, s42
	s_wait_loadcnt_dscnt 0x0
	ds_store_b64 v17, v[32:33]
	flat_load_b64 v[32:33], v[30:31]
	s_wait_xcnt 0x0
	v_add_nc_u64_e32 v[30:31], s[28:29], v[30:31]
	s_wait_loadcnt_dscnt 0x0
	ds_store_b64 v19, v[32:33]
	s_wait_dscnt 0x0
	s_barrier_signal -1
	s_barrier_wait -1
	ds_load_b128 v[32:35], v23
	ds_load_2addr_b64 v[36:39], v21 offset1:16
	ds_load_2addr_b64 v[40:43], v21 offset0:32 offset1:48
	ds_load_b128 v[44:47], v23 offset:16
	ds_load_b128 v[48:51], v23 offset:1024
	;; [unrolled: 1-line block ×3, first 2 shown]
	ds_load_2addr_b64 v[56:59], v21 offset0:64 offset1:80
	ds_load_2addr_b64 v[60:63], v21 offset0:96 offset1:112
	;; [unrolled: 1-line block ×4, first 2 shown]
	ds_load_b128 v[72:75], v23 offset:32
	ds_load_b128 v[76:79], v23 offset:48
	ds_load_2addr_b64 v[80:83], v21 offset0:192 offset1:208
	ds_load_2addr_b64 v[84:87], v21 offset0:224 offset1:240
	ds_load_b128 v[88:91], v23 offset:1056
	ds_load_b128 v[92:95], v23 offset:1072
	s_wait_dscnt 0x0
	s_barrier_signal -1
	s_barrier_wait -1
	v_dual_mul_f32 v25, v33, v37 :: v_dual_mul_f32 v100, v32, v37
	v_dual_mul_f32 v101, v33, v39 :: v_dual_mul_f32 v102, v32, v39
	;; [unrolled: 1-line block ×3, first 2 shown]
	v_dual_mov_b32 v98, v51 :: v_dual_mov_b32 v99, v50
	v_dual_mul_f32 v103, v35, v41 :: v_dual_mul_f32 v104, v34, v41
	v_dual_mul_f32 v105, v35, v43 :: v_dual_mul_f32 v106, v34, v43
	v_pk_mul_f32 v[96:97], v[48:49], v[38:39] op_sel:[1,1] op_sel_hi:[0,1]
	v_dual_fma_f32 v25, v32, v36, -v25 :: v_dual_fmac_f32 v100, v33, v36
	v_dual_fma_f32 v107, v48, v36, -v107 :: v_dual_fmac_f32 v108, v49, v36
	v_pk_mul_f32 v[36:37], v[98:99], v[42:43] op_sel:[0,1]
	v_dual_mul_f32 v109, v51, v41 :: v_dual_mul_f32 v110, v50, v41
	v_dual_fma_f32 v101, v32, v38, -v101 :: v_dual_fmac_f32 v102, v33, v38
	v_dual_fma_f32 v103, v34, v40, -v103 :: v_dual_fmac_f32 v104, v35, v40
	v_dual_fma_f32 v105, v34, v42, -v105 :: v_dual_fmac_f32 v106, v35, v42
	v_pk_fma_f32 v[32:33], v[48:49], v[38:39], v[96:97] neg_lo:[0,0,1] neg_hi:[0,0,1]
	v_pk_fma_f32 v[34:35], v[48:49], v[38:39], v[96:97] op_sel_hi:[1,0,1]
	v_pk_fma_f32 v[38:39], v[50:51], v[42:43], v[36:37] neg_lo:[0,0,1] neg_hi:[0,0,1]
	v_pk_fma_f32 v[36:37], v[50:51], v[42:43], v[36:37] op_sel_hi:[1,0,1]
	v_dual_mov_b32 v42, v55 :: v_dual_mov_b32 v43, v54
	v_dual_mul_f32 v111, v45, v57 :: v_dual_mul_f32 v112, v44, v57
	v_dual_mul_f32 v113, v45, v59 :: v_dual_mul_f32 v114, v44, v59
	;; [unrolled: 1-line block ×5, first 2 shown]
	v_dual_fma_f32 v96, v50, v40, -v109 :: v_dual_fmac_f32 v110, v51, v40
	v_pk_mul_f32 v[40:41], v[52:53], v[58:59] op_sel:[1,1] op_sel_hi:[0,1]
	v_pk_mul_f32 v[42:43], v[42:43], v[62:63] op_sel:[0,1]
	v_dual_mul_f32 v39, v73, v65 :: v_dual_mul_f32 v98, v72, v65
	v_dual_fma_f32 v99, v44, v56, -v111 :: v_dual_fmac_f32 v112, v45, v56
	v_dual_fma_f32 v109, v44, v58, -v113 :: v_dual_fmac_f32 v114, v45, v58
	;; [unrolled: 1-line block ×4, first 2 shown]
	v_dual_mul_f32 v57, v73, v67 :: v_dual_mul_f32 v115, v72, v67
	v_dual_fma_f32 v117, v52, v56, -v33 :: v_dual_fmac_f32 v34, v53, v56
	v_mul_f32_e32 v33, v75, v69
	v_pk_fma_f32 v[44:45], v[52:53], v[58:59], v[40:41] neg_lo:[0,0,1] neg_hi:[0,0,1]
	v_pk_fma_f32 v[40:41], v[52:53], v[58:59], v[40:41] op_sel_hi:[1,0,1]
	v_pk_fma_f32 v[46:47], v[54:55], v[62:63], v[42:43] neg_lo:[0,0,1] neg_hi:[0,0,1]
	v_pk_fma_f32 v[42:43], v[54:55], v[62:63], v[42:43] op_sel_hi:[1,0,1]
	v_dual_mov_b32 v50, v91 :: v_dual_mov_b32 v51, v90
	v_dual_mul_f32 v40, v74, v69 :: v_dual_mul_f32 v42, v75, v71
	v_dual_mul_f32 v119, v74, v71 :: v_dual_mul_f32 v45, v89, v65
	v_mul_f32_e32 v65, v88, v65
	v_dual_fma_f32 v120, v72, v64, -v39 :: v_dual_fmac_f32 v98, v73, v64
	v_dual_fma_f32 v72, v72, v66, -v57 :: v_dual_fmac_f32 v115, v73, v66
	;; [unrolled: 1-line block ×3, first 2 shown]
	v_dual_mul_f32 v33, v91, v69 :: v_dual_mul_f32 v69, v90, v69
	v_dual_mul_f32 v36, v55, v61 :: v_dual_mul_f32 v97, v54, v61
	v_pk_mul_f32 v[50:51], v[50:51], v[70:71] op_sel:[0,1]
	v_dual_fma_f32 v42, v74, v70, -v42 :: v_dual_fmac_f32 v119, v75, v70
	v_dual_fma_f32 v74, v88, v64, -v45 :: v_dual_mul_f32 v39, v77, v81
	v_fmac_f32_e32 v65, v89, v64
	v_dual_fma_f32 v64, v90, v68, -v33 :: v_dual_mul_f32 v33, v77, v83
	v_dual_fma_f32 v36, v54, v60, -v36 :: v_dual_fmac_f32 v97, v55, v60
	v_pk_mul_f32 v[48:49], v[88:89], v[66:67] op_sel:[1,1] op_sel_hi:[0,1]
	v_pk_fma_f32 v[54:55], v[90:91], v[70:71], v[50:51] neg_lo:[0,0,1] neg_hi:[0,0,1]
	v_pk_fma_f32 v[50:51], v[90:91], v[70:71], v[50:51] op_sel_hi:[1,0,1]
	v_pk_mul_f32 v[56:57], v[92:93], v[82:83] op_sel:[1,1] op_sel_hi:[0,1]
	v_dual_fmac_f32 v69, v91, v68 :: v_dual_mul_f32 v50, v76, v83
	v_dual_mul_f32 v45, v79, v85 :: v_dual_mul_f32 v47, v79, v87
	v_dual_fma_f32 v71, v76, v82, -v33 :: v_dual_mul_f32 v33, v95, v85
	v_pk_fma_f32 v[52:53], v[88:89], v[66:67], v[48:49] neg_lo:[0,0,1] neg_hi:[0,0,1]
	v_pk_fma_f32 v[48:49], v[88:89], v[66:67], v[48:49] op_sel_hi:[1,0,1]
	v_pk_fma_f32 v[58:59], v[92:93], v[82:83], v[56:57] neg_lo:[0,0,1] neg_hi:[0,0,1]
	v_pk_fma_f32 v[56:57], v[92:93], v[82:83], v[56:57] op_sel_hi:[1,0,1]
	v_mul_f32_e32 v48, v76, v81
	v_dual_mul_f32 v66, v78, v85 :: v_dual_mul_f32 v67, v78, v87
	v_dual_mul_f32 v53, v93, v81 :: v_dual_mul_f32 v68, v92, v81
	s_delay_alu instid0(VALU_DEP_3) | instskip(NEXT) | instid1(VALU_DEP_3)
	v_dual_fma_f32 v70, v76, v80, -v39 :: v_dual_fmac_f32 v48, v77, v80
	v_dual_fma_f32 v75, v78, v84, -v45 :: v_dual_fmac_f32 v66, v79, v84
	v_fma_f32 v76, v78, v86, -v47
	v_dual_mul_f32 v56, v94, v85 :: v_dual_fma_f32 v78, v94, v84, -v33
	v_dual_add_f32 v2, v2, v107 :: v_dual_mov_b32 v33, v35
	v_dual_add_f32 v22, v22, v25 :: v_dual_add_f32 v24, v24, v100
	v_dual_add_f32 v18, v18, v101 :: v_dual_add_f32 v20, v20, v102
	v_dual_add_f32 v16, v16, v108 :: v_dual_mov_b32 v45, v41
	s_delay_alu instid0(VALU_DEP_4) | instskip(SKIP_4) | instid1(VALU_DEP_4)
	v_pk_add_f32 v[12:13], v[12:13], v[32:33]
	v_dual_mov_b32 v39, v37 :: v_dual_mov_b32 v47, v43
	v_dual_add_f32 v22, v22, v103 :: v_dual_add_f32 v24, v24, v104
	v_dual_add_f32 v18, v18, v105 :: v_dual_add_f32 v20, v20, v106
	;; [unrolled: 1-line block ×3, first 2 shown]
	v_pk_add_f32 v[12:13], v[12:13], v[38:39]
	v_dual_mov_b32 v60, v95 :: v_dual_mov_b32 v61, v94
	v_dual_add_f32 v22, v22, v99 :: v_dual_add_f32 v24, v24, v112
	v_dual_add_f32 v18, v18, v109 :: v_dual_add_f32 v20, v20, v114
	;; [unrolled: 1-line block ×3, first 2 shown]
	v_pk_add_f32 v[12:13], v[12:13], v[44:45]
	v_dual_fmac_f32 v50, v77, v82 :: v_dual_fma_f32 v77, v92, v80, -v53
	v_pk_mul_f32 v[60:61], v[60:61], v[86:87] op_sel:[0,1]
	v_dual_mov_b32 v53, v49 :: v_dual_mov_b32 v59, v57
	v_dual_add_f32 v22, v22, v111 :: v_dual_add_f32 v24, v24, v116
	v_dual_add_f32 v18, v18, v113 :: v_dual_add_f32 v20, v20, v118
	;; [unrolled: 1-line block ×3, first 2 shown]
	v_pk_add_f32 v[12:13], v[12:13], v[46:47]
	v_pk_fma_f32 v[62:63], v[94:95], v[86:87], v[60:61] neg_lo:[0,0,1] neg_hi:[0,0,1]
	v_pk_fma_f32 v[60:61], v[94:95], v[86:87], v[60:61] op_sel_hi:[1,0,1]
	v_dual_mov_b32 v55, v51 :: v_dual_add_f32 v22, v22, v120
	v_dual_add_f32 v24, v24, v98 :: v_dual_add_f32 v18, v18, v72
	v_dual_add_f32 v20, v20, v115 :: v_dual_add_f32 v2, v2, v74
	v_add_f32_e32 v16, v16, v65
	v_pk_add_f32 v[12:13], v[12:13], v[52:53]
	v_dual_fmac_f32 v67, v79, v86 :: v_dual_fmac_f32 v68, v93, v80
	v_dual_mov_b32 v63, v61 :: v_dual_add_f32 v22, v22, v73
	v_dual_add_f32 v24, v24, v40 :: v_dual_add_f32 v18, v18, v42
	v_dual_add_f32 v20, v20, v119 :: v_dual_add_f32 v2, v2, v64
	v_add_f32_e32 v16, v16, v69
	v_pk_add_f32 v[12:13], v[12:13], v[54:55]
	v_dual_fmac_f32 v56, v95, v84 :: v_dual_add_f32 v22, v22, v70
	v_dual_add_f32 v24, v24, v48 :: v_dual_add_f32 v18, v18, v71
	v_dual_add_f32 v20, v20, v50 :: v_dual_add_f32 v2, v2, v77
	v_add_f32_e32 v16, v16, v68
	v_pk_add_f32 v[12:13], v[12:13], v[58:59]
	s_delay_alu instid0(VALU_DEP_4) | instskip(NEXT) | instid1(VALU_DEP_4)
	v_dual_add_f32 v22, v22, v75 :: v_dual_add_f32 v24, v24, v66
	v_dual_add_f32 v18, v18, v76 :: v_dual_add_f32 v20, v20, v67
	s_delay_alu instid0(VALU_DEP_4) | instskip(NEXT) | instid1(VALU_DEP_4)
	v_dual_add_f32 v2, v2, v78 :: v_dual_add_f32 v16, v16, v56
	v_pk_add_f32 v[12:13], v[12:13], v[62:63]
	s_cbranch_vccnz .LBB235_5
.LBB235_6:                              ;   in Loop: Header=BB235_3 Depth=1
	s_wait_loadcnt 0x0
	v_add_nc_u64_e32 v[26:27], s[26:27], v[26:27]
	s_and_not1_b32 vcc_lo, exec_lo, s1
	s_mov_b32 s30, -1
                                        ; implicit-def: $vgpr25
                                        ; implicit-def: $vgpr28_vgpr29
	s_cbranch_vccz .LBB235_8
; %bb.7:                                ;   in Loop: Header=BB235_3 Depth=1
	s_and_not1_b32 vcc_lo, exec_lo, s30
	s_cbranch_vccnz .LBB235_2
	s_branch .LBB235_9
.LBB235_8:                              ;   in Loop: Header=BB235_3 Depth=1
	v_mov_b64_e32 v[28:29], s[6:7]
	s_delay_alu instid0(VALU_DEP_2) | instskip(SKIP_2) | instid1(VALU_DEP_3)
	v_lshl_add_u64 v[30:31], v[0:1], 3, v[26:27]
	v_mov_b64_e32 v[34:35], s[22:23]
	v_lshlrev_b64_e32 v[32:33], 3, v[6:7]
	v_lshl_add_u64 v[40:41], s[24:25], 3, v[30:31]
	v_pk_mul_f32 v[36:37], v[24:25], v[28:29] op_sel_hi:[0,1]
	v_pk_mul_f32 v[38:39], v[20:21], v[28:29] op_sel_hi:[0,1]
	;; [unrolled: 1-line block ×3, first 2 shown]
	v_add_nc_u64_e32 v[30:31], v[30:31], v[32:33]
	v_add_nc_u64_e32 v[32:33], v[40:41], v[32:33]
	v_pk_fma_f32 v[44:45], v[22:23], v[34:35], v[36:37] neg_lo:[0,0,1] neg_hi:[0,0,1]
	v_pk_fma_f32 v[36:37], v[22:23], v[34:35], v[36:37] op_sel_hi:[0,1,1]
	v_pk_fma_f32 v[46:47], v[18:19], v[34:35], v[38:39] neg_lo:[0,0,1] neg_hi:[0,0,1]
	v_pk_fma_f32 v[38:39], v[18:19], v[34:35], v[38:39] op_sel_hi:[0,1,1]
	v_pk_fma_f32 v[40:41], v[2:3], v[34:35], v[42:43] op_sel_hi:[0,1,1]
	s_delay_alu instid0(VALU_DEP_4)
	v_dual_mul_f32 v25, s22, v12 :: v_dual_mov_b32 v45, v37
	v_pk_mul_f32 v[36:37], v[12:13], v[28:29]
	v_add_nc_u64_e32 v[28:29], 0x80, v[32:33]
	v_pk_fma_f32 v[34:35], v[2:3], v[34:35], v[42:43] neg_lo:[0,0,1] neg_hi:[0,0,1]
	v_dual_mov_b32 v47, v39 :: v_dual_mov_b32 v35, v41
	v_fma_f32 v38, -v13, s6, v25
	v_add_f32_e32 v25, v36, v37
	s_clause 0x3
	flat_store_b64 v[30:31], v[44:45]
	flat_store_b64 v[30:31], v[46:47] offset:128
	flat_store_b64 v[32:33], v[34:35]
	flat_store_b32 v[32:33], v38 offset:128
	s_cbranch_execnz .LBB235_2
.LBB235_9:                              ;   in Loop: Header=BB235_3 Depth=1
	v_add_nc_u64_e32 v[14:15], s[16:17], v[14:15]
	v_lshlrev_b64_e32 v[28:29], 3, v[6:7]
	s_wait_xcnt 0x1
	v_mov_b64_e32 v[34:35], s[6:7]
	v_mov_b64_e32 v[36:37], s[8:9]
	s_wait_xcnt 0x0
	v_mov_b64_e32 v[38:39], s[22:23]
	v_mov_b64_e32 v[40:41], s[40:41]
	v_lshl_add_u64 v[26:27], v[0:1], 3, v[26:27]
	v_lshl_add_u64 v[14:15], v[4:5], 3, v[14:15]
	v_pk_mul_f32 v[24:25], v[24:25], v[34:35] op_sel_hi:[0,1]
	s_delay_alu instid0(VALU_DEP_2) | instskip(SKIP_1) | instid1(VALU_DEP_3)
	v_add_nc_u64_e32 v[30:31], v[14:15], v[28:29]
	v_lshl_add_u64 v[14:15], s[14:15], 3, v[14:15]
	v_pk_fma_f32 v[44:45], v[22:23], v[38:39], v[24:25] op_sel_hi:[0,1,1]
	v_pk_fma_f32 v[24:25], v[22:23], v[38:39], v[24:25] neg_lo:[0,0,1] neg_hi:[0,0,1]
	s_delay_alu instid0(VALU_DEP_3) | instskip(SKIP_3) | instid1(VALU_DEP_1)
	v_add_nc_u64_e32 v[14:15], v[14:15], v[28:29]
	flat_load_b64 v[32:33], v[30:31]
	s_wait_loadcnt_dscnt 0x0
	v_pk_mul_f32 v[42:43], v[32:33], v[36:37]
	v_pk_fma_f32 v[46:47], v[32:33], v[40:41], v[42:43] op_sel:[0,0,1] op_sel_hi:[1,1,0]
	v_pk_fma_f32 v[32:33], v[32:33], v[40:41], v[42:43] op_sel:[0,0,1] op_sel_hi:[1,1,0] neg_lo:[0,0,1] neg_hi:[0,0,1]
	v_mov_b32_e32 v25, v45
	v_add_nc_u64_e32 v[42:43], v[26:27], v[28:29]
	v_lshl_add_u64 v[26:27], s[24:25], 3, v[26:27]
	v_mov_b32_e32 v33, v47
	s_delay_alu instid0(VALU_DEP_2) | instskip(NEXT) | instid1(VALU_DEP_2)
	v_add_nc_u64_e32 v[26:27], v[26:27], v[28:29]
	v_pk_add_f32 v[24:25], v[24:25], v[32:33]
	v_mov_b32_e32 v28, v12
	flat_store_b64 v[42:43], v[24:25]
	flat_load_b64 v[24:25], v[30:31] offset:128
	s_wait_xcnt 0x0
	v_pk_mul_f32 v[30:31], v[20:21], v[34:35] op_sel_hi:[0,1]
	s_delay_alu instid0(VALU_DEP_1) | instskip(SKIP_3) | instid1(VALU_DEP_1)
	v_pk_fma_f32 v[44:45], v[18:19], v[38:39], v[30:31] op_sel_hi:[0,1,1]
	v_pk_fma_f32 v[30:31], v[18:19], v[38:39], v[30:31] neg_lo:[0,0,1] neg_hi:[0,0,1]
	s_wait_loadcnt_dscnt 0x0
	v_pk_mul_f32 v[32:33], v[24:25], v[36:37]
	v_pk_fma_f32 v[46:47], v[24:25], v[40:41], v[32:33] op_sel:[0,0,1] op_sel_hi:[1,1,0]
	v_pk_fma_f32 v[24:25], v[24:25], v[40:41], v[32:33] op_sel:[0,0,1] op_sel_hi:[1,1,0] neg_lo:[0,0,1] neg_hi:[0,0,1]
	s_delay_alu instid0(VALU_DEP_2) | instskip(NEXT) | instid1(VALU_DEP_1)
	v_dual_mov_b32 v31, v45 :: v_dual_mov_b32 v25, v47
	v_pk_add_f32 v[24:25], v[30:31], v[24:25]
	v_pk_mul_f32 v[30:31], v[16:17], v[34:35] op_sel_hi:[0,1]
	v_mul_f32_e32 v16, s22, v12
	flat_store_b64 v[42:43], v[24:25] offset:128
	flat_load_b64 v[24:25], v[14:15]
	v_pk_fma_f32 v[34:35], v[2:3], v[38:39], v[30:31] op_sel_hi:[0,1,1]
	v_pk_fma_f32 v[30:31], v[2:3], v[38:39], v[30:31] neg_lo:[0,0,1] neg_hi:[0,0,1]
	v_fma_f32 v16, -v13, s6, v16
	s_wait_loadcnt_dscnt 0x0
	v_pk_mul_f32 v[32:33], v[24:25], v[36:37]
	s_delay_alu instid0(VALU_DEP_1) | instskip(SKIP_1) | instid1(VALU_DEP_2)
	v_pk_fma_f32 v[36:37], v[24:25], v[40:41], v[32:33] op_sel:[0,0,1] op_sel_hi:[1,1,0]
	v_pk_fma_f32 v[24:25], v[24:25], v[40:41], v[32:33] op_sel:[0,0,1] op_sel_hi:[1,1,0] neg_lo:[0,0,1] neg_hi:[0,0,1]
	v_dual_mov_b32 v31, v35 :: v_dual_mov_b32 v25, v37
	s_delay_alu instid0(VALU_DEP_1)
	v_pk_add_f32 v[24:25], v[30:31], v[24:25]
	flat_store_b64 v[26:27], v[24:25]
	flat_load_b64 v[14:15], v[14:15] offset:128
	s_wait_xcnt 0x1
	v_mov_b64_e32 v[24:25], s[38:39]
	s_wait_loadcnt_dscnt 0x0
	v_dual_mul_f32 v2, s35, v15 :: v_dual_mov_b32 v29, v14
	s_delay_alu instid0(VALU_DEP_1) | instskip(SKIP_1) | instid1(VALU_DEP_1)
	v_fma_f32 v2, v14, s34, -v2
	s_wait_xcnt 0x0
	v_dual_mov_b32 v14, v13 :: v_dual_add_f32 v2, v16, v2
	s_delay_alu instid0(VALU_DEP_1) | instskip(SKIP_4) | instid1(VALU_DEP_2)
	v_pk_mul_f32 v[14:15], v[14:15], v[24:25]
	v_mov_b64_e32 v[24:25], s[36:37]
	flat_store_b32 v[26:27], v2 offset:128
	v_pk_fma_f32 v[12:13], v[28:29], v[24:25], v[14:15]
	v_add_nc_u64_e32 v[28:29], 0x80, v[26:27]
	v_add_f32_e32 v25, v12, v13
	s_branch .LBB235_2
.LBB235_10:
	s_sendmsg sendmsg(MSG_DEALLOC_VGPRS)
	s_endpgm
	.section	.rodata,"a",@progbits
	.p2align	6, 0x0
	.amdhsa_kernel _ZN12_GLOBAL__N_127rocblas_gemm_batched_kernelI19rocblas_complex_numIfELi16ELi16ELi32ELi32ELi8ELi32ELi8ELi8ELi32ELc84ELc84EKPKS2_S5_KPS2_EEvlllT_PT11_llSA_llS8_PT12_llPT13_lli
		.amdhsa_group_segment_fixed_size 4096
		.amdhsa_private_segment_fixed_size 0
		.amdhsa_kernarg_size 140
		.amdhsa_user_sgpr_count 2
		.amdhsa_user_sgpr_dispatch_ptr 0
		.amdhsa_user_sgpr_queue_ptr 0
		.amdhsa_user_sgpr_kernarg_segment_ptr 1
		.amdhsa_user_sgpr_dispatch_id 0
		.amdhsa_user_sgpr_kernarg_preload_length 0
		.amdhsa_user_sgpr_kernarg_preload_offset 0
		.amdhsa_user_sgpr_private_segment_size 0
		.amdhsa_wavefront_size32 1
		.amdhsa_uses_dynamic_stack 0
		.amdhsa_enable_private_segment 0
		.amdhsa_system_sgpr_workgroup_id_x 1
		.amdhsa_system_sgpr_workgroup_id_y 1
		.amdhsa_system_sgpr_workgroup_id_z 1
		.amdhsa_system_sgpr_workgroup_info 0
		.amdhsa_system_vgpr_workitem_id 1
		.amdhsa_next_free_vgpr 121
		.amdhsa_next_free_sgpr 44
		.amdhsa_named_barrier_count 0
		.amdhsa_reserve_vcc 1
		.amdhsa_float_round_mode_32 0
		.amdhsa_float_round_mode_16_64 0
		.amdhsa_float_denorm_mode_32 3
		.amdhsa_float_denorm_mode_16_64 3
		.amdhsa_fp16_overflow 0
		.amdhsa_memory_ordered 1
		.amdhsa_forward_progress 1
		.amdhsa_inst_pref_size 23
		.amdhsa_round_robin_scheduling 0
		.amdhsa_exception_fp_ieee_invalid_op 0
		.amdhsa_exception_fp_denorm_src 0
		.amdhsa_exception_fp_ieee_div_zero 0
		.amdhsa_exception_fp_ieee_overflow 0
		.amdhsa_exception_fp_ieee_underflow 0
		.amdhsa_exception_fp_ieee_inexact 0
		.amdhsa_exception_int_div_zero 0
	.end_amdhsa_kernel
	.section	.text._ZN12_GLOBAL__N_127rocblas_gemm_batched_kernelI19rocblas_complex_numIfELi16ELi16ELi32ELi32ELi8ELi32ELi8ELi8ELi32ELc84ELc84EKPKS2_S5_KPS2_EEvlllT_PT11_llSA_llS8_PT12_llPT13_lli,"axG",@progbits,_ZN12_GLOBAL__N_127rocblas_gemm_batched_kernelI19rocblas_complex_numIfELi16ELi16ELi32ELi32ELi8ELi32ELi8ELi8ELi32ELc84ELc84EKPKS2_S5_KPS2_EEvlllT_PT11_llSA_llS8_PT12_llPT13_lli,comdat
.Lfunc_end235:
	.size	_ZN12_GLOBAL__N_127rocblas_gemm_batched_kernelI19rocblas_complex_numIfELi16ELi16ELi32ELi32ELi8ELi32ELi8ELi8ELi32ELc84ELc84EKPKS2_S5_KPS2_EEvlllT_PT11_llSA_llS8_PT12_llPT13_lli, .Lfunc_end235-_ZN12_GLOBAL__N_127rocblas_gemm_batched_kernelI19rocblas_complex_numIfELi16ELi16ELi32ELi32ELi8ELi32ELi8ELi8ELi32ELc84ELc84EKPKS2_S5_KPS2_EEvlllT_PT11_llSA_llS8_PT12_llPT13_lli
                                        ; -- End function
	.set _ZN12_GLOBAL__N_127rocblas_gemm_batched_kernelI19rocblas_complex_numIfELi16ELi16ELi32ELi32ELi8ELi32ELi8ELi8ELi32ELc84ELc84EKPKS2_S5_KPS2_EEvlllT_PT11_llSA_llS8_PT12_llPT13_lli.num_vgpr, 121
	.set _ZN12_GLOBAL__N_127rocblas_gemm_batched_kernelI19rocblas_complex_numIfELi16ELi16ELi32ELi32ELi8ELi32ELi8ELi8ELi32ELc84ELc84EKPKS2_S5_KPS2_EEvlllT_PT11_llSA_llS8_PT12_llPT13_lli.num_agpr, 0
	.set _ZN12_GLOBAL__N_127rocblas_gemm_batched_kernelI19rocblas_complex_numIfELi16ELi16ELi32ELi32ELi8ELi32ELi8ELi8ELi32ELc84ELc84EKPKS2_S5_KPS2_EEvlllT_PT11_llSA_llS8_PT12_llPT13_lli.numbered_sgpr, 44
	.set _ZN12_GLOBAL__N_127rocblas_gemm_batched_kernelI19rocblas_complex_numIfELi16ELi16ELi32ELi32ELi8ELi32ELi8ELi8ELi32ELc84ELc84EKPKS2_S5_KPS2_EEvlllT_PT11_llSA_llS8_PT12_llPT13_lli.num_named_barrier, 0
	.set _ZN12_GLOBAL__N_127rocblas_gemm_batched_kernelI19rocblas_complex_numIfELi16ELi16ELi32ELi32ELi8ELi32ELi8ELi8ELi32ELc84ELc84EKPKS2_S5_KPS2_EEvlllT_PT11_llSA_llS8_PT12_llPT13_lli.private_seg_size, 0
	.set _ZN12_GLOBAL__N_127rocblas_gemm_batched_kernelI19rocblas_complex_numIfELi16ELi16ELi32ELi32ELi8ELi32ELi8ELi8ELi32ELc84ELc84EKPKS2_S5_KPS2_EEvlllT_PT11_llSA_llS8_PT12_llPT13_lli.uses_vcc, 1
	.set _ZN12_GLOBAL__N_127rocblas_gemm_batched_kernelI19rocblas_complex_numIfELi16ELi16ELi32ELi32ELi8ELi32ELi8ELi8ELi32ELc84ELc84EKPKS2_S5_KPS2_EEvlllT_PT11_llSA_llS8_PT12_llPT13_lli.uses_flat_scratch, 1
	.set _ZN12_GLOBAL__N_127rocblas_gemm_batched_kernelI19rocblas_complex_numIfELi16ELi16ELi32ELi32ELi8ELi32ELi8ELi8ELi32ELc84ELc84EKPKS2_S5_KPS2_EEvlllT_PT11_llSA_llS8_PT12_llPT13_lli.has_dyn_sized_stack, 0
	.set _ZN12_GLOBAL__N_127rocblas_gemm_batched_kernelI19rocblas_complex_numIfELi16ELi16ELi32ELi32ELi8ELi32ELi8ELi8ELi32ELc84ELc84EKPKS2_S5_KPS2_EEvlllT_PT11_llSA_llS8_PT12_llPT13_lli.has_recursion, 0
	.set _ZN12_GLOBAL__N_127rocblas_gemm_batched_kernelI19rocblas_complex_numIfELi16ELi16ELi32ELi32ELi8ELi32ELi8ELi8ELi32ELc84ELc84EKPKS2_S5_KPS2_EEvlllT_PT11_llSA_llS8_PT12_llPT13_lli.has_indirect_call, 0
	.section	.AMDGPU.csdata,"",@progbits
; Kernel info:
; codeLenInByte = 2892
; TotalNumSgprs: 46
; NumVgprs: 121
; ScratchSize: 0
; MemoryBound: 0
; FloatMode: 240
; IeeeMode: 1
; LDSByteSize: 4096 bytes/workgroup (compile time only)
; SGPRBlocks: 0
; VGPRBlocks: 7
; NumSGPRsForWavesPerEU: 46
; NumVGPRsForWavesPerEU: 121
; NamedBarCnt: 0
; Occupancy: 8
; WaveLimiterHint : 1
; COMPUTE_PGM_RSRC2:SCRATCH_EN: 0
; COMPUTE_PGM_RSRC2:USER_SGPR: 2
; COMPUTE_PGM_RSRC2:TRAP_HANDLER: 0
; COMPUTE_PGM_RSRC2:TGID_X_EN: 1
; COMPUTE_PGM_RSRC2:TGID_Y_EN: 1
; COMPUTE_PGM_RSRC2:TGID_Z_EN: 1
; COMPUTE_PGM_RSRC2:TIDIG_COMP_CNT: 1
	.section	.text._ZN12_GLOBAL__N_127rocblas_gemm_batched_kernelI19rocblas_complex_numIfELi16ELi16ELi32ELi32ELi8ELi32ELi8ELi8ELi32ELc67ELc67EKPKS2_S5_KPS2_EEvlllT_PT11_llSA_llS8_PT12_llPT13_lli,"axG",@progbits,_ZN12_GLOBAL__N_127rocblas_gemm_batched_kernelI19rocblas_complex_numIfELi16ELi16ELi32ELi32ELi8ELi32ELi8ELi8ELi32ELc67ELc67EKPKS2_S5_KPS2_EEvlllT_PT11_llSA_llS8_PT12_llPT13_lli,comdat
	.globl	_ZN12_GLOBAL__N_127rocblas_gemm_batched_kernelI19rocblas_complex_numIfELi16ELi16ELi32ELi32ELi8ELi32ELi8ELi8ELi32ELc67ELc67EKPKS2_S5_KPS2_EEvlllT_PT11_llSA_llS8_PT12_llPT13_lli ; -- Begin function _ZN12_GLOBAL__N_127rocblas_gemm_batched_kernelI19rocblas_complex_numIfELi16ELi16ELi32ELi32ELi8ELi32ELi8ELi8ELi32ELc67ELc67EKPKS2_S5_KPS2_EEvlllT_PT11_llSA_llS8_PT12_llPT13_lli
	.p2align	8
	.type	_ZN12_GLOBAL__N_127rocblas_gemm_batched_kernelI19rocblas_complex_numIfELi16ELi16ELi32ELi32ELi8ELi32ELi8ELi8ELi32ELc67ELc67EKPKS2_S5_KPS2_EEvlllT_PT11_llSA_llS8_PT12_llPT13_lli,@function
_ZN12_GLOBAL__N_127rocblas_gemm_batched_kernelI19rocblas_complex_numIfELi16ELi16ELi32ELi32ELi8ELi32ELi8ELi8ELi32ELc67ELc67EKPKS2_S5_KPS2_EEvlllT_PT11_llSA_llS8_PT12_llPT13_lli: ; @_ZN12_GLOBAL__N_127rocblas_gemm_batched_kernelI19rocblas_complex_numIfELi16ELi16ELi32ELi32ELi8ELi32ELi8ELi8ELi32ELc67ELc67EKPKS2_S5_KPS2_EEvlllT_PT11_llSA_llS8_PT12_llPT13_lli
; %bb.0:
	s_load_b32 s33, s[0:1], 0x88
	s_bfe_u32 s2, ttmp6, 0x40014
	s_lshr_b32 s3, ttmp7, 16
	s_add_co_i32 s2, s2, 1
	s_bfe_u32 s4, ttmp6, 0x40008
	s_mul_i32 s2, s3, s2
	s_getreg_b32 s12, hwreg(HW_REG_IB_STS2, 6, 4)
	s_add_co_i32 s4, s4, s2
	s_cmp_eq_u32 s12, 0
	s_cselect_b32 s2, s3, s4
	s_mov_b32 s3, 0
	s_wait_kmcnt 0x0
	s_cmp_ge_i32 s2, s33
	s_cbranch_scc1 .LBB236_10
; %bb.1:
	s_bfe_u32 s13, ttmp6, 0x4000c
	s_bfe_u32 s15, ttmp6, 0x40010
	v_bfe_u32 v2, v0, 10, 10
	v_and_b32_e32 v6, 0x3ff, v0
	s_clause 0x1
	s_load_b256 s[4:11], s[0:1], 0x20
	s_load_b128 s[24:27], s[0:1], 0x78
	s_add_co_i32 s13, s13, 1
	s_and_b32 s16, ttmp7, 0xffff
	s_add_co_i32 s15, s15, 1
	s_and_b32 s14, ttmp6, 15
	s_mul_i32 s13, ttmp9, s13
	s_mul_i32 s15, s16, s15
	s_bfe_u32 s17, ttmp6, 0x40004
	s_clause 0x1
	s_load_b128 s[28:31], s[0:1], 0x40
	s_load_b64 s[34:35], s[0:1], 0x50
	v_lshl_add_u32 v7, v2, 4, v6
	s_add_co_i32 s14, s14, s13
	s_add_co_i32 s17, s17, s15
	v_mov_b32_e32 v3, 0
	s_cmp_eq_u32 s12, 0
	v_and_b32_e32 v12, 31, v7
	s_cselect_b32 s13, s16, s17
	s_cselect_b32 s12, ttmp9, s14
	s_lshl_b32 s36, s13, 5
	s_ashr_i32 s13, s12, 31
	v_dual_mov_b32 v5, v3 :: v_dual_lshrrev_b32 v4, 3, v7
	s_lshl_b64 s[38:39], s[12:13], 5
	s_load_b256 s[12:19], s[0:1], 0x58
	s_mov_b32 s37, s3
	v_dual_mov_b32 v1, s39 :: v_dual_bitop2_b32 v13, 7, v0 bitop3:0x40
	v_or_b32_e32 v0, s38, v12
	v_add_nc_u64_e32 v[8:9], s[36:37], v[4:5]
	s_load_b128 s[20:23], s[0:1], 0x10
	s_delay_alu instid0(VALU_DEP_3)
	v_dual_lshlrev_b32 v5, 3, v13 :: v_dual_lshrrev_b32 v14, 5, v7
	s_wait_kmcnt 0x0
	v_mul_u64_e32 v[10:11], s[6:7], v[0:1]
	v_lshlrev_b32_e32 v0, 3, v12
	s_or_b32 s0, s34, s35
	v_mad_nc_u64_u32 v[8:9], s28, v13, v[8:9]
	v_lshl_or_b32 v1, v4, 6, v5
	v_add_nc_u64_e32 v[4:5], s[36:37], v[2:3]
	v_lshl_or_b32 v17, v14, 8, v0
	s_bitset0_b32 s0, 31
	v_dual_mov_b32 v7, v3 :: v_dual_lshlrev_b32 v21, 3, v6
	v_add_nc_u32_e32 v19, 0x800, v1
	s_cmp_eq_u32 s0, 0
	s_delay_alu instid0(VALU_DEP_4)
	v_mul_u64_e32 v[0:1], s[24:25], v[4:5]
	v_mul_u64_e32 v[4:5], s[14:15], v[4:5]
	v_mad_u32 v9, s29, v13, v9
	s_cselect_b32 s1, -1, 0
	s_lshl_b64 s[8:9], s[8:9], 3
	v_cmp_gt_i64_e64 s0, s[20:21], 0
	v_lshl_add_u32 v23, v2, 6, 0x800
	v_add_nc_u64_e32 v[6:7], s[38:39], v[6:7]
	s_mov_b32 s6, s23
	s_mov_b32 s7, s22
	s_lshl_b64 s[24:25], s[24:25], 4
	s_lshl_b64 s[14:15], s[14:15], 4
	v_cndmask_b32_e64 v12, 0, 1, s0
	v_lshlrev_b64_e32 v[8:9], 3, v[8:9]
	s_mov_b32 s36, s23
	s_mov_b32 s37, s35
	;; [unrolled: 1-line block ×3, first 2 shown]
	v_cmp_ne_u32_e64 s0, 1, v12
	s_mov_b32 s39, s34
	s_mov_b32 s40, s34
	v_lshl_add_u64 v[10:11], v[10:11], 3, s[8:9]
	v_lshl_add_u64 v[8:9], s[30:31], 3, v[8:9]
	v_lshlrev_b32_e32 v2, 3, v14
	s_mov_b32 s41, s34
	s_mov_b32 s8, s35
	;; [unrolled: 1-line block ×3, first 2 shown]
	v_or_b32_e32 v8, 4, v8
	v_add_nc_u64_e32 v[10:11], v[10:11], v[2:3]
	s_lshl_b64 s[28:29], s[28:29], 6
	s_lshl_b64 s[26:27], s[26:27], 3
	;; [unrolled: 1-line block ×3, first 2 shown]
	s_branch .LBB236_3
.LBB236_2:                              ;   in Loop: Header=BB236_3 Depth=1
	s_add_co_i32 s2, s2, 0x10000
	flat_store_b32 v[28:29], v25 offset:4
	s_cmp_lt_i32 s2, s33
	s_cbranch_scc0 .LBB236_10
.LBB236_3:                              ; =>This Loop Header: Depth=1
                                        ;     Child Loop BB236_5 Depth 2
	s_wait_xcnt 0x1
	v_dual_mov_b32 v2, s2 :: v_dual_mov_b32 v13, 0
	v_dual_mov_b32 v12, 0 :: v_dual_mov_b32 v22, 0
	;; [unrolled: 1-line block ×3, first 2 shown]
	s_clause 0x1
	global_load_b64 v[14:15], v2, s[12:13] scale_offset
	global_load_b64 v[26:27], v2, s[18:19] scale_offset
	s_wait_xcnt 0x0
	v_dual_mov_b32 v20, 0 :: v_dual_mov_b32 v2, 0
	v_mov_b32_e32 v16, 0
	s_and_b32 vcc_lo, exec_lo, s0
	s_cbranch_vccnz .LBB236_6
; %bb.4:                                ;   in Loop: Header=BB236_3 Depth=1
	s_lshl_b64 s[30:31], s[2:3], 3
	v_dual_mov_b32 v16, 0 :: v_dual_mov_b32 v2, 0
	s_add_nc_u64 s[42:43], s[4:5], s[30:31]
	s_add_nc_u64 s[30:31], s[10:11], s[30:31]
	s_clause 0x1
	global_load_b64 v[12:13], v3, s[42:43]
	global_load_b64 v[30:31], v3, s[30:31]
	v_dual_mov_b32 v20, 0 :: v_dual_mov_b32 v18, 0
	v_dual_mov_b32 v24, 0 :: v_dual_mov_b32 v22, 0
	s_wait_xcnt 0x0
	s_mov_b64 s[30:31], 0
	s_wait_loadcnt 0x1
	v_add_nc_u64_e32 v[28:29], v[12:13], v[10:11]
	s_wait_loadcnt 0x0
	v_add_nc_u64_e32 v[30:31], v[30:31], v[8:9]
	v_dual_mov_b32 v12, 0 :: v_dual_mov_b32 v13, v16
.LBB236_5:                              ;   Parent Loop BB236_3 Depth=1
                                        ; =>  This Inner Loop Header: Depth=2
	flat_load_b64 v[32:33], v[28:29]
	s_add_nc_u64 s[30:31], s[30:31], 8
	s_wait_xcnt 0x0
	v_add_nc_u64_e32 v[28:29], 64, v[28:29]
	v_cmp_lt_i64_e64 s42, s[30:31], s[20:21]
	s_and_b32 vcc_lo, exec_lo, s42
	s_wait_loadcnt_dscnt 0x0
	v_xor_b32_e32 v33, 0x80000000, v33
	ds_store_b64 v17, v[32:33]
	flat_load_b64 v[32:33], v[30:31] offset:-4
	s_wait_xcnt 0x0
	v_add_nc_u64_e32 v[30:31], s[28:29], v[30:31]
	s_wait_loadcnt_dscnt 0x0
	v_xor_b32_e32 v33, 0x80000000, v33
	ds_store_b64 v19, v[32:33]
	s_wait_dscnt 0x0
	s_barrier_signal -1
	s_barrier_wait -1
	ds_load_b128 v[32:35], v23
	ds_load_2addr_b64 v[36:39], v21 offset1:16
	ds_load_2addr_b64 v[40:43], v21 offset0:32 offset1:48
	ds_load_b128 v[44:47], v23 offset:16
	ds_load_b128 v[48:51], v23 offset:1024
	;; [unrolled: 1-line block ×3, first 2 shown]
	ds_load_2addr_b64 v[56:59], v21 offset0:64 offset1:80
	ds_load_2addr_b64 v[60:63], v21 offset0:96 offset1:112
	;; [unrolled: 1-line block ×4, first 2 shown]
	ds_load_b128 v[72:75], v23 offset:32
	ds_load_b128 v[76:79], v23 offset:48
	ds_load_2addr_b64 v[80:83], v21 offset0:192 offset1:208
	ds_load_2addr_b64 v[84:87], v21 offset0:224 offset1:240
	ds_load_b128 v[88:91], v23 offset:1056
	ds_load_b128 v[92:95], v23 offset:1072
	s_wait_dscnt 0x0
	s_barrier_signal -1
	s_barrier_wait -1
	v_dual_mul_f32 v25, v33, v37 :: v_dual_mul_f32 v100, v32, v37
	v_dual_mul_f32 v101, v33, v39 :: v_dual_mul_f32 v102, v32, v39
	v_dual_mul_f32 v107, v49, v37 :: v_dual_mul_f32 v108, v48, v37
	v_dual_mov_b32 v98, v51 :: v_dual_mov_b32 v99, v50
	v_dual_mul_f32 v103, v35, v41 :: v_dual_mul_f32 v104, v34, v41
	v_dual_mul_f32 v105, v35, v43 :: v_dual_mul_f32 v106, v34, v43
	v_pk_mul_f32 v[96:97], v[48:49], v[38:39] op_sel:[1,1] op_sel_hi:[0,1]
	v_dual_fma_f32 v25, v32, v36, -v25 :: v_dual_fmac_f32 v100, v33, v36
	v_dual_fma_f32 v107, v48, v36, -v107 :: v_dual_fmac_f32 v108, v49, v36
	v_pk_mul_f32 v[36:37], v[98:99], v[42:43] op_sel:[0,1]
	v_dual_mul_f32 v109, v51, v41 :: v_dual_mul_f32 v110, v50, v41
	v_dual_fma_f32 v101, v32, v38, -v101 :: v_dual_fmac_f32 v102, v33, v38
	v_dual_fma_f32 v103, v34, v40, -v103 :: v_dual_fmac_f32 v104, v35, v40
	;; [unrolled: 1-line block ×3, first 2 shown]
	v_pk_fma_f32 v[32:33], v[48:49], v[38:39], v[96:97] neg_lo:[0,0,1] neg_hi:[0,0,1]
	v_pk_fma_f32 v[34:35], v[48:49], v[38:39], v[96:97] op_sel_hi:[1,0,1]
	v_pk_fma_f32 v[38:39], v[50:51], v[42:43], v[36:37] neg_lo:[0,0,1] neg_hi:[0,0,1]
	v_pk_fma_f32 v[36:37], v[50:51], v[42:43], v[36:37] op_sel_hi:[1,0,1]
	v_dual_mov_b32 v42, v55 :: v_dual_mov_b32 v43, v54
	v_dual_mul_f32 v111, v45, v57 :: v_dual_mul_f32 v112, v44, v57
	v_dual_mul_f32 v113, v45, v59 :: v_dual_mul_f32 v114, v44, v59
	;; [unrolled: 1-line block ×5, first 2 shown]
	v_dual_fma_f32 v96, v50, v40, -v109 :: v_dual_fmac_f32 v110, v51, v40
	v_pk_mul_f32 v[40:41], v[52:53], v[58:59] op_sel:[1,1] op_sel_hi:[0,1]
	v_pk_mul_f32 v[42:43], v[42:43], v[62:63] op_sel:[0,1]
	v_dual_mul_f32 v39, v73, v65 :: v_dual_mul_f32 v98, v72, v65
	v_dual_fma_f32 v99, v44, v56, -v111 :: v_dual_fmac_f32 v112, v45, v56
	v_dual_fma_f32 v109, v44, v58, -v113 :: v_dual_fmac_f32 v114, v45, v58
	;; [unrolled: 1-line block ×4, first 2 shown]
	v_dual_mul_f32 v57, v73, v67 :: v_dual_mul_f32 v115, v72, v67
	v_dual_fma_f32 v117, v52, v56, -v33 :: v_dual_fmac_f32 v34, v53, v56
	v_mul_f32_e32 v33, v75, v69
	v_pk_fma_f32 v[44:45], v[52:53], v[58:59], v[40:41] neg_lo:[0,0,1] neg_hi:[0,0,1]
	v_pk_fma_f32 v[40:41], v[52:53], v[58:59], v[40:41] op_sel_hi:[1,0,1]
	v_pk_fma_f32 v[46:47], v[54:55], v[62:63], v[42:43] neg_lo:[0,0,1] neg_hi:[0,0,1]
	v_pk_fma_f32 v[42:43], v[54:55], v[62:63], v[42:43] op_sel_hi:[1,0,1]
	v_dual_mov_b32 v50, v91 :: v_dual_mov_b32 v51, v90
	v_dual_mul_f32 v40, v74, v69 :: v_dual_mul_f32 v42, v75, v71
	v_dual_mul_f32 v119, v74, v71 :: v_dual_mul_f32 v45, v89, v65
	v_mul_f32_e32 v65, v88, v65
	v_dual_fma_f32 v120, v72, v64, -v39 :: v_dual_fmac_f32 v98, v73, v64
	v_dual_fma_f32 v72, v72, v66, -v57 :: v_dual_fmac_f32 v115, v73, v66
	;; [unrolled: 1-line block ×3, first 2 shown]
	v_dual_mul_f32 v33, v91, v69 :: v_dual_mul_f32 v69, v90, v69
	v_dual_mul_f32 v36, v55, v61 :: v_dual_mul_f32 v97, v54, v61
	v_pk_mul_f32 v[50:51], v[50:51], v[70:71] op_sel:[0,1]
	v_dual_fma_f32 v42, v74, v70, -v42 :: v_dual_fmac_f32 v119, v75, v70
	v_dual_fma_f32 v74, v88, v64, -v45 :: v_dual_mul_f32 v39, v77, v81
	v_fmac_f32_e32 v65, v89, v64
	v_dual_fma_f32 v64, v90, v68, -v33 :: v_dual_mul_f32 v33, v77, v83
	v_dual_fma_f32 v36, v54, v60, -v36 :: v_dual_fmac_f32 v97, v55, v60
	v_pk_mul_f32 v[48:49], v[88:89], v[66:67] op_sel:[1,1] op_sel_hi:[0,1]
	v_pk_fma_f32 v[54:55], v[90:91], v[70:71], v[50:51] neg_lo:[0,0,1] neg_hi:[0,0,1]
	v_pk_fma_f32 v[50:51], v[90:91], v[70:71], v[50:51] op_sel_hi:[1,0,1]
	v_pk_mul_f32 v[56:57], v[92:93], v[82:83] op_sel:[1,1] op_sel_hi:[0,1]
	v_dual_fmac_f32 v69, v91, v68 :: v_dual_mul_f32 v50, v76, v83
	v_dual_mul_f32 v45, v79, v85 :: v_dual_mul_f32 v47, v79, v87
	v_dual_fma_f32 v71, v76, v82, -v33 :: v_dual_mul_f32 v33, v95, v85
	v_pk_fma_f32 v[52:53], v[88:89], v[66:67], v[48:49] neg_lo:[0,0,1] neg_hi:[0,0,1]
	v_pk_fma_f32 v[48:49], v[88:89], v[66:67], v[48:49] op_sel_hi:[1,0,1]
	v_pk_fma_f32 v[58:59], v[92:93], v[82:83], v[56:57] neg_lo:[0,0,1] neg_hi:[0,0,1]
	v_pk_fma_f32 v[56:57], v[92:93], v[82:83], v[56:57] op_sel_hi:[1,0,1]
	v_mul_f32_e32 v48, v76, v81
	v_dual_mul_f32 v66, v78, v85 :: v_dual_mul_f32 v67, v78, v87
	v_dual_mul_f32 v53, v93, v81 :: v_dual_mul_f32 v68, v92, v81
	s_delay_alu instid0(VALU_DEP_3) | instskip(NEXT) | instid1(VALU_DEP_3)
	v_dual_fma_f32 v70, v76, v80, -v39 :: v_dual_fmac_f32 v48, v77, v80
	v_dual_fma_f32 v75, v78, v84, -v45 :: v_dual_fmac_f32 v66, v79, v84
	v_fma_f32 v76, v78, v86, -v47
	v_dual_mul_f32 v56, v94, v85 :: v_dual_fma_f32 v78, v94, v84, -v33
	v_dual_add_f32 v2, v2, v107 :: v_dual_mov_b32 v33, v35
	v_dual_add_f32 v22, v22, v25 :: v_dual_add_f32 v24, v24, v100
	v_dual_add_f32 v18, v18, v101 :: v_dual_add_f32 v20, v20, v102
	v_dual_add_f32 v16, v16, v108 :: v_dual_mov_b32 v45, v41
	s_delay_alu instid0(VALU_DEP_4) | instskip(SKIP_4) | instid1(VALU_DEP_4)
	v_pk_add_f32 v[12:13], v[12:13], v[32:33]
	v_dual_mov_b32 v39, v37 :: v_dual_mov_b32 v47, v43
	v_dual_add_f32 v22, v22, v103 :: v_dual_add_f32 v24, v24, v104
	v_dual_add_f32 v18, v18, v105 :: v_dual_add_f32 v20, v20, v106
	;; [unrolled: 1-line block ×3, first 2 shown]
	v_pk_add_f32 v[12:13], v[12:13], v[38:39]
	v_dual_mov_b32 v60, v95 :: v_dual_mov_b32 v61, v94
	v_dual_add_f32 v22, v22, v99 :: v_dual_add_f32 v24, v24, v112
	v_dual_add_f32 v18, v18, v109 :: v_dual_add_f32 v20, v20, v114
	;; [unrolled: 1-line block ×3, first 2 shown]
	v_pk_add_f32 v[12:13], v[12:13], v[44:45]
	v_dual_fmac_f32 v50, v77, v82 :: v_dual_fma_f32 v77, v92, v80, -v53
	v_pk_mul_f32 v[60:61], v[60:61], v[86:87] op_sel:[0,1]
	v_dual_mov_b32 v53, v49 :: v_dual_mov_b32 v59, v57
	v_dual_add_f32 v22, v22, v111 :: v_dual_add_f32 v24, v24, v116
	v_dual_add_f32 v18, v18, v113 :: v_dual_add_f32 v20, v20, v118
	;; [unrolled: 1-line block ×3, first 2 shown]
	v_pk_add_f32 v[12:13], v[12:13], v[46:47]
	v_pk_fma_f32 v[62:63], v[94:95], v[86:87], v[60:61] neg_lo:[0,0,1] neg_hi:[0,0,1]
	v_pk_fma_f32 v[60:61], v[94:95], v[86:87], v[60:61] op_sel_hi:[1,0,1]
	v_dual_mov_b32 v55, v51 :: v_dual_add_f32 v22, v22, v120
	v_dual_add_f32 v24, v24, v98 :: v_dual_add_f32 v18, v18, v72
	v_dual_add_f32 v20, v20, v115 :: v_dual_add_f32 v2, v2, v74
	v_add_f32_e32 v16, v16, v65
	v_pk_add_f32 v[12:13], v[12:13], v[52:53]
	v_dual_fmac_f32 v67, v79, v86 :: v_dual_fmac_f32 v68, v93, v80
	v_dual_mov_b32 v63, v61 :: v_dual_add_f32 v22, v22, v73
	v_dual_add_f32 v24, v24, v40 :: v_dual_add_f32 v18, v18, v42
	v_dual_add_f32 v20, v20, v119 :: v_dual_add_f32 v2, v2, v64
	v_add_f32_e32 v16, v16, v69
	v_pk_add_f32 v[12:13], v[12:13], v[54:55]
	v_dual_fmac_f32 v56, v95, v84 :: v_dual_add_f32 v22, v22, v70
	v_dual_add_f32 v24, v24, v48 :: v_dual_add_f32 v18, v18, v71
	v_dual_add_f32 v20, v20, v50 :: v_dual_add_f32 v2, v2, v77
	v_add_f32_e32 v16, v16, v68
	v_pk_add_f32 v[12:13], v[12:13], v[58:59]
	s_delay_alu instid0(VALU_DEP_4) | instskip(NEXT) | instid1(VALU_DEP_4)
	v_dual_add_f32 v22, v22, v75 :: v_dual_add_f32 v24, v24, v66
	v_dual_add_f32 v18, v18, v76 :: v_dual_add_f32 v20, v20, v67
	s_delay_alu instid0(VALU_DEP_4) | instskip(NEXT) | instid1(VALU_DEP_4)
	v_dual_add_f32 v2, v2, v78 :: v_dual_add_f32 v16, v16, v56
	v_pk_add_f32 v[12:13], v[12:13], v[62:63]
	s_cbranch_vccnz .LBB236_5
.LBB236_6:                              ;   in Loop: Header=BB236_3 Depth=1
	s_wait_loadcnt 0x0
	v_add_nc_u64_e32 v[26:27], s[26:27], v[26:27]
	s_and_not1_b32 vcc_lo, exec_lo, s1
	s_mov_b32 s30, -1
                                        ; implicit-def: $vgpr25
                                        ; implicit-def: $vgpr28_vgpr29
	s_cbranch_vccz .LBB236_8
; %bb.7:                                ;   in Loop: Header=BB236_3 Depth=1
	s_and_not1_b32 vcc_lo, exec_lo, s30
	s_cbranch_vccnz .LBB236_2
	s_branch .LBB236_9
.LBB236_8:                              ;   in Loop: Header=BB236_3 Depth=1
	v_mov_b64_e32 v[28:29], s[6:7]
	s_delay_alu instid0(VALU_DEP_2) | instskip(SKIP_2) | instid1(VALU_DEP_3)
	v_lshl_add_u64 v[30:31], v[0:1], 3, v[26:27]
	v_mov_b64_e32 v[34:35], s[22:23]
	v_lshlrev_b64_e32 v[32:33], 3, v[6:7]
	v_lshl_add_u64 v[40:41], s[24:25], 3, v[30:31]
	v_pk_mul_f32 v[36:37], v[24:25], v[28:29] op_sel_hi:[0,1]
	v_pk_mul_f32 v[38:39], v[20:21], v[28:29] op_sel_hi:[0,1]
	;; [unrolled: 1-line block ×3, first 2 shown]
	v_add_nc_u64_e32 v[30:31], v[30:31], v[32:33]
	v_add_nc_u64_e32 v[32:33], v[40:41], v[32:33]
	v_pk_fma_f32 v[44:45], v[22:23], v[34:35], v[36:37] neg_lo:[0,0,1] neg_hi:[0,0,1]
	v_pk_fma_f32 v[36:37], v[22:23], v[34:35], v[36:37] op_sel_hi:[0,1,1]
	v_pk_fma_f32 v[46:47], v[18:19], v[34:35], v[38:39] neg_lo:[0,0,1] neg_hi:[0,0,1]
	v_pk_fma_f32 v[38:39], v[18:19], v[34:35], v[38:39] op_sel_hi:[0,1,1]
	v_pk_fma_f32 v[40:41], v[2:3], v[34:35], v[42:43] op_sel_hi:[0,1,1]
	s_delay_alu instid0(VALU_DEP_4)
	v_dual_mul_f32 v25, s22, v12 :: v_dual_mov_b32 v45, v37
	v_pk_mul_f32 v[36:37], v[12:13], v[28:29]
	v_add_nc_u64_e32 v[28:29], 0x80, v[32:33]
	v_pk_fma_f32 v[34:35], v[2:3], v[34:35], v[42:43] neg_lo:[0,0,1] neg_hi:[0,0,1]
	v_dual_mov_b32 v47, v39 :: v_dual_mov_b32 v35, v41
	v_fma_f32 v38, -v13, s6, v25
	v_add_f32_e32 v25, v36, v37
	s_clause 0x3
	flat_store_b64 v[30:31], v[44:45]
	flat_store_b64 v[30:31], v[46:47] offset:128
	flat_store_b64 v[32:33], v[34:35]
	flat_store_b32 v[32:33], v38 offset:128
	s_cbranch_execnz .LBB236_2
.LBB236_9:                              ;   in Loop: Header=BB236_3 Depth=1
	v_add_nc_u64_e32 v[14:15], s[16:17], v[14:15]
	v_lshlrev_b64_e32 v[28:29], 3, v[6:7]
	s_wait_xcnt 0x1
	v_mov_b64_e32 v[34:35], s[6:7]
	v_mov_b64_e32 v[36:37], s[8:9]
	s_wait_xcnt 0x0
	v_mov_b64_e32 v[38:39], s[22:23]
	v_mov_b64_e32 v[40:41], s[40:41]
	v_lshl_add_u64 v[26:27], v[0:1], 3, v[26:27]
	v_lshl_add_u64 v[14:15], v[4:5], 3, v[14:15]
	v_pk_mul_f32 v[24:25], v[24:25], v[34:35] op_sel_hi:[0,1]
	s_delay_alu instid0(VALU_DEP_2) | instskip(SKIP_1) | instid1(VALU_DEP_3)
	v_add_nc_u64_e32 v[30:31], v[14:15], v[28:29]
	v_lshl_add_u64 v[14:15], s[14:15], 3, v[14:15]
	v_pk_fma_f32 v[44:45], v[22:23], v[38:39], v[24:25] op_sel_hi:[0,1,1]
	v_pk_fma_f32 v[24:25], v[22:23], v[38:39], v[24:25] neg_lo:[0,0,1] neg_hi:[0,0,1]
	s_delay_alu instid0(VALU_DEP_3) | instskip(SKIP_3) | instid1(VALU_DEP_1)
	v_add_nc_u64_e32 v[14:15], v[14:15], v[28:29]
	flat_load_b64 v[32:33], v[30:31]
	s_wait_loadcnt_dscnt 0x0
	v_pk_mul_f32 v[42:43], v[32:33], v[36:37]
	v_pk_fma_f32 v[46:47], v[32:33], v[40:41], v[42:43] op_sel:[0,0,1] op_sel_hi:[1,1,0]
	v_pk_fma_f32 v[32:33], v[32:33], v[40:41], v[42:43] op_sel:[0,0,1] op_sel_hi:[1,1,0] neg_lo:[0,0,1] neg_hi:[0,0,1]
	v_mov_b32_e32 v25, v45
	v_add_nc_u64_e32 v[42:43], v[26:27], v[28:29]
	v_lshl_add_u64 v[26:27], s[24:25], 3, v[26:27]
	v_mov_b32_e32 v33, v47
	s_delay_alu instid0(VALU_DEP_2) | instskip(NEXT) | instid1(VALU_DEP_2)
	v_add_nc_u64_e32 v[26:27], v[26:27], v[28:29]
	v_pk_add_f32 v[24:25], v[24:25], v[32:33]
	v_mov_b32_e32 v28, v12
	flat_store_b64 v[42:43], v[24:25]
	flat_load_b64 v[24:25], v[30:31] offset:128
	s_wait_xcnt 0x0
	v_pk_mul_f32 v[30:31], v[20:21], v[34:35] op_sel_hi:[0,1]
	s_delay_alu instid0(VALU_DEP_1) | instskip(SKIP_3) | instid1(VALU_DEP_1)
	v_pk_fma_f32 v[44:45], v[18:19], v[38:39], v[30:31] op_sel_hi:[0,1,1]
	v_pk_fma_f32 v[30:31], v[18:19], v[38:39], v[30:31] neg_lo:[0,0,1] neg_hi:[0,0,1]
	s_wait_loadcnt_dscnt 0x0
	v_pk_mul_f32 v[32:33], v[24:25], v[36:37]
	v_pk_fma_f32 v[46:47], v[24:25], v[40:41], v[32:33] op_sel:[0,0,1] op_sel_hi:[1,1,0]
	v_pk_fma_f32 v[24:25], v[24:25], v[40:41], v[32:33] op_sel:[0,0,1] op_sel_hi:[1,1,0] neg_lo:[0,0,1] neg_hi:[0,0,1]
	s_delay_alu instid0(VALU_DEP_2) | instskip(NEXT) | instid1(VALU_DEP_1)
	v_dual_mov_b32 v31, v45 :: v_dual_mov_b32 v25, v47
	v_pk_add_f32 v[24:25], v[30:31], v[24:25]
	v_pk_mul_f32 v[30:31], v[16:17], v[34:35] op_sel_hi:[0,1]
	v_mul_f32_e32 v16, s22, v12
	flat_store_b64 v[42:43], v[24:25] offset:128
	flat_load_b64 v[24:25], v[14:15]
	v_pk_fma_f32 v[34:35], v[2:3], v[38:39], v[30:31] op_sel_hi:[0,1,1]
	v_pk_fma_f32 v[30:31], v[2:3], v[38:39], v[30:31] neg_lo:[0,0,1] neg_hi:[0,0,1]
	v_fma_f32 v16, -v13, s6, v16
	s_wait_loadcnt_dscnt 0x0
	v_pk_mul_f32 v[32:33], v[24:25], v[36:37]
	s_delay_alu instid0(VALU_DEP_1) | instskip(SKIP_1) | instid1(VALU_DEP_2)
	v_pk_fma_f32 v[36:37], v[24:25], v[40:41], v[32:33] op_sel:[0,0,1] op_sel_hi:[1,1,0]
	v_pk_fma_f32 v[24:25], v[24:25], v[40:41], v[32:33] op_sel:[0,0,1] op_sel_hi:[1,1,0] neg_lo:[0,0,1] neg_hi:[0,0,1]
	v_dual_mov_b32 v31, v35 :: v_dual_mov_b32 v25, v37
	s_delay_alu instid0(VALU_DEP_1)
	v_pk_add_f32 v[24:25], v[30:31], v[24:25]
	flat_store_b64 v[26:27], v[24:25]
	flat_load_b64 v[14:15], v[14:15] offset:128
	s_wait_xcnt 0x1
	v_mov_b64_e32 v[24:25], s[38:39]
	s_wait_loadcnt_dscnt 0x0
	v_dual_mul_f32 v2, s35, v15 :: v_dual_mov_b32 v29, v14
	s_delay_alu instid0(VALU_DEP_1) | instskip(SKIP_1) | instid1(VALU_DEP_1)
	v_fma_f32 v2, v14, s34, -v2
	s_wait_xcnt 0x0
	v_dual_mov_b32 v14, v13 :: v_dual_add_f32 v2, v16, v2
	s_delay_alu instid0(VALU_DEP_1) | instskip(SKIP_4) | instid1(VALU_DEP_2)
	v_pk_mul_f32 v[14:15], v[14:15], v[24:25]
	v_mov_b64_e32 v[24:25], s[36:37]
	flat_store_b32 v[26:27], v2 offset:128
	v_pk_fma_f32 v[12:13], v[28:29], v[24:25], v[14:15]
	v_add_nc_u64_e32 v[28:29], 0x80, v[26:27]
	v_add_f32_e32 v25, v12, v13
	s_branch .LBB236_2
.LBB236_10:
	s_sendmsg sendmsg(MSG_DEALLOC_VGPRS)
	s_endpgm
	.section	.rodata,"a",@progbits
	.p2align	6, 0x0
	.amdhsa_kernel _ZN12_GLOBAL__N_127rocblas_gemm_batched_kernelI19rocblas_complex_numIfELi16ELi16ELi32ELi32ELi8ELi32ELi8ELi8ELi32ELc67ELc67EKPKS2_S5_KPS2_EEvlllT_PT11_llSA_llS8_PT12_llPT13_lli
		.amdhsa_group_segment_fixed_size 4096
		.amdhsa_private_segment_fixed_size 0
		.amdhsa_kernarg_size 140
		.amdhsa_user_sgpr_count 2
		.amdhsa_user_sgpr_dispatch_ptr 0
		.amdhsa_user_sgpr_queue_ptr 0
		.amdhsa_user_sgpr_kernarg_segment_ptr 1
		.amdhsa_user_sgpr_dispatch_id 0
		.amdhsa_user_sgpr_kernarg_preload_length 0
		.amdhsa_user_sgpr_kernarg_preload_offset 0
		.amdhsa_user_sgpr_private_segment_size 0
		.amdhsa_wavefront_size32 1
		.amdhsa_uses_dynamic_stack 0
		.amdhsa_enable_private_segment 0
		.amdhsa_system_sgpr_workgroup_id_x 1
		.amdhsa_system_sgpr_workgroup_id_y 1
		.amdhsa_system_sgpr_workgroup_id_z 1
		.amdhsa_system_sgpr_workgroup_info 0
		.amdhsa_system_vgpr_workitem_id 1
		.amdhsa_next_free_vgpr 121
		.amdhsa_next_free_sgpr 44
		.amdhsa_named_barrier_count 0
		.amdhsa_reserve_vcc 1
		.amdhsa_float_round_mode_32 0
		.amdhsa_float_round_mode_16_64 0
		.amdhsa_float_denorm_mode_32 3
		.amdhsa_float_denorm_mode_16_64 3
		.amdhsa_fp16_overflow 0
		.amdhsa_memory_ordered 1
		.amdhsa_forward_progress 1
		.amdhsa_inst_pref_size 23
		.amdhsa_round_robin_scheduling 0
		.amdhsa_exception_fp_ieee_invalid_op 0
		.amdhsa_exception_fp_denorm_src 0
		.amdhsa_exception_fp_ieee_div_zero 0
		.amdhsa_exception_fp_ieee_overflow 0
		.amdhsa_exception_fp_ieee_underflow 0
		.amdhsa_exception_fp_ieee_inexact 0
		.amdhsa_exception_int_div_zero 0
	.end_amdhsa_kernel
	.section	.text._ZN12_GLOBAL__N_127rocblas_gemm_batched_kernelI19rocblas_complex_numIfELi16ELi16ELi32ELi32ELi8ELi32ELi8ELi8ELi32ELc67ELc67EKPKS2_S5_KPS2_EEvlllT_PT11_llSA_llS8_PT12_llPT13_lli,"axG",@progbits,_ZN12_GLOBAL__N_127rocblas_gemm_batched_kernelI19rocblas_complex_numIfELi16ELi16ELi32ELi32ELi8ELi32ELi8ELi8ELi32ELc67ELc67EKPKS2_S5_KPS2_EEvlllT_PT11_llSA_llS8_PT12_llPT13_lli,comdat
.Lfunc_end236:
	.size	_ZN12_GLOBAL__N_127rocblas_gemm_batched_kernelI19rocblas_complex_numIfELi16ELi16ELi32ELi32ELi8ELi32ELi8ELi8ELi32ELc67ELc67EKPKS2_S5_KPS2_EEvlllT_PT11_llSA_llS8_PT12_llPT13_lli, .Lfunc_end236-_ZN12_GLOBAL__N_127rocblas_gemm_batched_kernelI19rocblas_complex_numIfELi16ELi16ELi32ELi32ELi8ELi32ELi8ELi8ELi32ELc67ELc67EKPKS2_S5_KPS2_EEvlllT_PT11_llSA_llS8_PT12_llPT13_lli
                                        ; -- End function
	.set _ZN12_GLOBAL__N_127rocblas_gemm_batched_kernelI19rocblas_complex_numIfELi16ELi16ELi32ELi32ELi8ELi32ELi8ELi8ELi32ELc67ELc67EKPKS2_S5_KPS2_EEvlllT_PT11_llSA_llS8_PT12_llPT13_lli.num_vgpr, 121
	.set _ZN12_GLOBAL__N_127rocblas_gemm_batched_kernelI19rocblas_complex_numIfELi16ELi16ELi32ELi32ELi8ELi32ELi8ELi8ELi32ELc67ELc67EKPKS2_S5_KPS2_EEvlllT_PT11_llSA_llS8_PT12_llPT13_lli.num_agpr, 0
	.set _ZN12_GLOBAL__N_127rocblas_gemm_batched_kernelI19rocblas_complex_numIfELi16ELi16ELi32ELi32ELi8ELi32ELi8ELi8ELi32ELc67ELc67EKPKS2_S5_KPS2_EEvlllT_PT11_llSA_llS8_PT12_llPT13_lli.numbered_sgpr, 44
	.set _ZN12_GLOBAL__N_127rocblas_gemm_batched_kernelI19rocblas_complex_numIfELi16ELi16ELi32ELi32ELi8ELi32ELi8ELi8ELi32ELc67ELc67EKPKS2_S5_KPS2_EEvlllT_PT11_llSA_llS8_PT12_llPT13_lli.num_named_barrier, 0
	.set _ZN12_GLOBAL__N_127rocblas_gemm_batched_kernelI19rocblas_complex_numIfELi16ELi16ELi32ELi32ELi8ELi32ELi8ELi8ELi32ELc67ELc67EKPKS2_S5_KPS2_EEvlllT_PT11_llSA_llS8_PT12_llPT13_lli.private_seg_size, 0
	.set _ZN12_GLOBAL__N_127rocblas_gemm_batched_kernelI19rocblas_complex_numIfELi16ELi16ELi32ELi32ELi8ELi32ELi8ELi8ELi32ELc67ELc67EKPKS2_S5_KPS2_EEvlllT_PT11_llSA_llS8_PT12_llPT13_lli.uses_vcc, 1
	.set _ZN12_GLOBAL__N_127rocblas_gemm_batched_kernelI19rocblas_complex_numIfELi16ELi16ELi32ELi32ELi8ELi32ELi8ELi8ELi32ELc67ELc67EKPKS2_S5_KPS2_EEvlllT_PT11_llSA_llS8_PT12_llPT13_lli.uses_flat_scratch, 1
	.set _ZN12_GLOBAL__N_127rocblas_gemm_batched_kernelI19rocblas_complex_numIfELi16ELi16ELi32ELi32ELi8ELi32ELi8ELi8ELi32ELc67ELc67EKPKS2_S5_KPS2_EEvlllT_PT11_llSA_llS8_PT12_llPT13_lli.has_dyn_sized_stack, 0
	.set _ZN12_GLOBAL__N_127rocblas_gemm_batched_kernelI19rocblas_complex_numIfELi16ELi16ELi32ELi32ELi8ELi32ELi8ELi8ELi32ELc67ELc67EKPKS2_S5_KPS2_EEvlllT_PT11_llSA_llS8_PT12_llPT13_lli.has_recursion, 0
	.set _ZN12_GLOBAL__N_127rocblas_gemm_batched_kernelI19rocblas_complex_numIfELi16ELi16ELi32ELi32ELi8ELi32ELi8ELi8ELi32ELc67ELc67EKPKS2_S5_KPS2_EEvlllT_PT11_llSA_llS8_PT12_llPT13_lli.has_indirect_call, 0
	.section	.AMDGPU.csdata,"",@progbits
; Kernel info:
; codeLenInByte = 2912
; TotalNumSgprs: 46
; NumVgprs: 121
; ScratchSize: 0
; MemoryBound: 0
; FloatMode: 240
; IeeeMode: 1
; LDSByteSize: 4096 bytes/workgroup (compile time only)
; SGPRBlocks: 0
; VGPRBlocks: 7
; NumSGPRsForWavesPerEU: 46
; NumVGPRsForWavesPerEU: 121
; NamedBarCnt: 0
; Occupancy: 8
; WaveLimiterHint : 1
; COMPUTE_PGM_RSRC2:SCRATCH_EN: 0
; COMPUTE_PGM_RSRC2:USER_SGPR: 2
; COMPUTE_PGM_RSRC2:TRAP_HANDLER: 0
; COMPUTE_PGM_RSRC2:TGID_X_EN: 1
; COMPUTE_PGM_RSRC2:TGID_Y_EN: 1
; COMPUTE_PGM_RSRC2:TGID_Z_EN: 1
; COMPUTE_PGM_RSRC2:TIDIG_COMP_CNT: 1
	.section	.text._ZN12_GLOBAL__N_127rocblas_gemm_batched_kernelI19rocblas_complex_numIfELi16ELi16ELi32ELi32ELi8ELi32ELi8ELi8ELi32ELc67ELc78EKPKS2_S5_KPS2_EEvlllT_PT11_llSA_llS8_PT12_llPT13_lli,"axG",@progbits,_ZN12_GLOBAL__N_127rocblas_gemm_batched_kernelI19rocblas_complex_numIfELi16ELi16ELi32ELi32ELi8ELi32ELi8ELi8ELi32ELc67ELc78EKPKS2_S5_KPS2_EEvlllT_PT11_llSA_llS8_PT12_llPT13_lli,comdat
	.globl	_ZN12_GLOBAL__N_127rocblas_gemm_batched_kernelI19rocblas_complex_numIfELi16ELi16ELi32ELi32ELi8ELi32ELi8ELi8ELi32ELc67ELc78EKPKS2_S5_KPS2_EEvlllT_PT11_llSA_llS8_PT12_llPT13_lli ; -- Begin function _ZN12_GLOBAL__N_127rocblas_gemm_batched_kernelI19rocblas_complex_numIfELi16ELi16ELi32ELi32ELi8ELi32ELi8ELi8ELi32ELc67ELc78EKPKS2_S5_KPS2_EEvlllT_PT11_llSA_llS8_PT12_llPT13_lli
	.p2align	8
	.type	_ZN12_GLOBAL__N_127rocblas_gemm_batched_kernelI19rocblas_complex_numIfELi16ELi16ELi32ELi32ELi8ELi32ELi8ELi8ELi32ELc67ELc78EKPKS2_S5_KPS2_EEvlllT_PT11_llSA_llS8_PT12_llPT13_lli,@function
_ZN12_GLOBAL__N_127rocblas_gemm_batched_kernelI19rocblas_complex_numIfELi16ELi16ELi32ELi32ELi8ELi32ELi8ELi8ELi32ELc67ELc78EKPKS2_S5_KPS2_EEvlllT_PT11_llSA_llS8_PT12_llPT13_lli: ; @_ZN12_GLOBAL__N_127rocblas_gemm_batched_kernelI19rocblas_complex_numIfELi16ELi16ELi32ELi32ELi8ELi32ELi8ELi8ELi32ELc67ELc78EKPKS2_S5_KPS2_EEvlllT_PT11_llSA_llS8_PT12_llPT13_lli
; %bb.0:
	s_load_b32 s33, s[0:1], 0x88
	s_bfe_u32 s2, ttmp6, 0x40014
	s_lshr_b32 s3, ttmp7, 16
	s_add_co_i32 s2, s2, 1
	s_bfe_u32 s4, ttmp6, 0x40008
	s_mul_i32 s2, s3, s2
	s_getreg_b32 s12, hwreg(HW_REG_IB_STS2, 6, 4)
	s_add_co_i32 s4, s4, s2
	s_cmp_eq_u32 s12, 0
	s_cselect_b32 s2, s3, s4
	s_mov_b32 s3, 0
	s_wait_kmcnt 0x0
	s_cmp_ge_i32 s2, s33
	s_cbranch_scc1 .LBB237_10
; %bb.1:
	v_bfe_u32 v2, v0, 10, 10
	v_and_b32_e32 v6, 0x3ff, v0
	s_bfe_u32 s14, ttmp6, 0x4000c
	s_bfe_u32 s15, ttmp6, 0x40010
	s_clause 0x1
	s_load_b256 s[4:11], s[0:1], 0x20
	s_load_b128 s[24:27], s[0:1], 0x78
	s_add_co_i32 s14, s14, 1
	s_and_b32 s16, ttmp7, 0xffff
	s_add_co_i32 s15, s15, 1
	s_and_b32 s13, ttmp6, 15
	s_mul_i32 s14, ttmp9, s14
	s_mul_i32 s15, s16, s15
	s_bfe_u32 s17, ttmp6, 0x40004
	v_lshl_add_u32 v1, v2, 4, v6
	s_clause 0x1
	s_load_b128 s[28:31], s[0:1], 0x40
	s_load_b64 s[34:35], s[0:1], 0x50
	s_add_co_i32 s13, s13, s14
	s_add_co_i32 s17, s17, s15
	s_cmp_eq_u32 s12, 0
	v_dual_mov_b32 v3, 0 :: v_dual_bitop2_b32 v7, 31, v1 bitop3:0x40
	s_cselect_b32 s12, ttmp9, s13
	s_cselect_b32 s14, s16, s17
	s_ashr_i32 s13, s12, 31
	s_delay_alu instid0(VALU_DEP_1)
	v_dual_mov_b32 v5, v3 :: v_dual_lshrrev_b32 v4, 3, v1
	s_lshl_b64 s[36:37], s[12:13], 5
	s_lshl_b32 s38, s14, 5
	v_dual_mov_b32 v9, s37 :: v_dual_bitop2_b32 v8, s36, v7 bitop3:0x54
	s_mov_b32 s39, s3
	s_load_b256 s[12:19], s[0:1], 0x58
	v_add_nc_u64_e32 v[10:11], s[38:39], v[4:5]
	v_dual_lshlrev_b32 v0, 3, v0 :: v_dual_lshrrev_b32 v13, 5, v1
	s_wait_kmcnt 0x0
	v_mul_u64_e32 v[8:9], s[6:7], v[8:9]
	s_load_b128 s[20:23], s[0:1], 0x10
	s_wait_xcnt 0x0
	s_or_b32 s0, s34, s35
	v_dual_lshlrev_b32 v0, 3, v7 :: v_dual_bitop2_b32 v12, 56, v0 bitop3:0x40
	v_mul_u64_e32 v[10:11], s[28:29], v[10:11]
	s_bitset0_b32 s0, 31
	v_lshl_add_u32 v23, v2, 6, 0x800
	s_delay_alu instid0(VALU_DEP_3)
	v_lshl_or_b32 v1, v4, 6, v12
	v_add_nc_u64_e32 v[4:5], s[38:39], v[2:3]
	v_lshl_or_b32 v17, v13, 8, v0
	s_cmp_eq_u32 s0, 0
	v_dual_mov_b32 v13, v3 :: v_dual_lshlrev_b32 v2, 3, v13
	v_add_nc_u32_e32 v19, 0x800, v1
	s_cselect_b32 s1, -1, 0
	s_delay_alu instid0(VALU_DEP_4)
	v_mul_u64_e32 v[0:1], s[24:25], v[4:5]
	v_mul_u64_e32 v[4:5], s[14:15], v[4:5]
	s_lshl_b64 s[8:9], s[8:9], 3
	s_lshl_b64 s[30:31], s[30:31], 3
	v_dual_mov_b32 v7, v3 :: v_dual_lshlrev_b32 v21, 3, v6
	s_wait_kmcnt 0x0
	v_cmp_gt_i64_e64 s0, s[20:21], 0
	s_mov_b32 s6, s23
	s_mov_b32 s7, s22
	v_add_nc_u64_e32 v[6:7], s[36:37], v[6:7]
	s_lshl_b64 s[24:25], s[24:25], 4
	s_lshl_b64 s[14:15], s[14:15], 4
	s_mov_b32 s28, s23
	s_mov_b32 s29, s35
	s_mov_b32 s36, s34
	s_mov_b32 s37, s34
	v_lshl_add_u64 v[8:9], v[8:9], 3, s[8:9]
	s_mov_b32 s8, s22
	s_mov_b32 s9, s34
	s_lshl_b64 s[26:27], s[26:27], 3
	s_lshl_b64 s[16:17], s[16:17], 3
	v_add_nc_u64_e32 v[8:9], v[8:9], v[2:3]
	v_lshl_add_u64 v[10:11], v[10:11], 3, s[30:31]
	v_cndmask_b32_e64 v2, 0, 1, s0
	s_mov_b32 s30, s35
	s_mov_b32 s31, s35
	s_delay_alu instid0(VALU_DEP_2) | instskip(NEXT) | instid1(VALU_DEP_4)
	v_add_nc_u64_e32 v[10:11], v[10:11], v[12:13]
	v_or_b32_e32 v8, 4, v8
	v_cmp_ne_u32_e64 s0, 1, v2
	s_branch .LBB237_3
.LBB237_2:                              ;   in Loop: Header=BB237_3 Depth=1
	s_add_co_i32 s2, s2, 0x10000
	flat_store_b32 v[28:29], v25 offset:4
	s_cmp_lt_i32 s2, s33
	s_cbranch_scc0 .LBB237_10
.LBB237_3:                              ; =>This Loop Header: Depth=1
                                        ;     Child Loop BB237_5 Depth 2
	s_wait_xcnt 0x1
	v_dual_mov_b32 v2, s2 :: v_dual_mov_b32 v13, 0
	v_dual_mov_b32 v12, 0 :: v_dual_mov_b32 v22, 0
	;; [unrolled: 1-line block ×3, first 2 shown]
	s_clause 0x1
	global_load_b64 v[14:15], v2, s[12:13] scale_offset
	global_load_b64 v[26:27], v2, s[18:19] scale_offset
	s_wait_xcnt 0x0
	v_dual_mov_b32 v20, 0 :: v_dual_mov_b32 v2, 0
	v_mov_b32_e32 v16, 0
	s_and_b32 vcc_lo, exec_lo, s0
	s_cbranch_vccnz .LBB237_6
; %bb.4:                                ;   in Loop: Header=BB237_3 Depth=1
	s_lshl_b64 s[38:39], s[2:3], 3
	v_dual_mov_b32 v16, 0 :: v_dual_mov_b32 v2, 0
	s_add_nc_u64 s[40:41], s[4:5], s[38:39]
	s_add_nc_u64 s[38:39], s[10:11], s[38:39]
	s_clause 0x1
	global_load_b64 v[12:13], v3, s[40:41]
	global_load_b64 v[30:31], v3, s[38:39]
	v_dual_mov_b32 v20, 0 :: v_dual_mov_b32 v18, 0
	v_dual_mov_b32 v24, 0 :: v_dual_mov_b32 v22, 0
	s_wait_xcnt 0x0
	s_mov_b64 s[38:39], 0
	s_wait_loadcnt 0x1
	v_add_nc_u64_e32 v[28:29], v[12:13], v[8:9]
	s_wait_loadcnt 0x0
	v_add_nc_u64_e32 v[30:31], v[30:31], v[10:11]
	v_dual_mov_b32 v12, 0 :: v_dual_mov_b32 v13, v16
.LBB237_5:                              ;   Parent Loop BB237_3 Depth=1
                                        ; =>  This Inner Loop Header: Depth=2
	flat_load_b64 v[32:33], v[28:29] offset:-4
	s_add_nc_u64 s[38:39], s[38:39], 8
	s_wait_xcnt 0x0
	v_add_nc_u64_e32 v[28:29], 64, v[28:29]
	v_cmp_lt_i64_e64 s40, s[38:39], s[20:21]
	s_and_b32 vcc_lo, exec_lo, s40
	s_wait_loadcnt_dscnt 0x0
	v_xor_b32_e32 v33, 0x80000000, v33
	ds_store_b64 v17, v[32:33]
	flat_load_b64 v[32:33], v[30:31]
	s_wait_xcnt 0x0
	v_add_nc_u64_e32 v[30:31], 64, v[30:31]
	s_wait_loadcnt_dscnt 0x0
	ds_store_b64 v19, v[32:33]
	s_wait_dscnt 0x0
	s_barrier_signal -1
	s_barrier_wait -1
	ds_load_b128 v[32:35], v23
	ds_load_2addr_b64 v[36:39], v21 offset1:16
	ds_load_2addr_b64 v[40:43], v21 offset0:32 offset1:48
	ds_load_b128 v[44:47], v23 offset:16
	ds_load_b128 v[48:51], v23 offset:1024
	;; [unrolled: 1-line block ×3, first 2 shown]
	ds_load_2addr_b64 v[56:59], v21 offset0:64 offset1:80
	ds_load_2addr_b64 v[60:63], v21 offset0:96 offset1:112
	;; [unrolled: 1-line block ×4, first 2 shown]
	ds_load_b128 v[72:75], v23 offset:32
	ds_load_b128 v[76:79], v23 offset:48
	ds_load_2addr_b64 v[80:83], v21 offset0:192 offset1:208
	ds_load_2addr_b64 v[84:87], v21 offset0:224 offset1:240
	ds_load_b128 v[88:91], v23 offset:1056
	ds_load_b128 v[92:95], v23 offset:1072
	s_wait_dscnt 0x0
	s_barrier_signal -1
	s_barrier_wait -1
	v_dual_mul_f32 v25, v33, v37 :: v_dual_mul_f32 v100, v32, v37
	v_dual_mul_f32 v101, v33, v39 :: v_dual_mul_f32 v102, v32, v39
	;; [unrolled: 1-line block ×3, first 2 shown]
	v_dual_mov_b32 v98, v51 :: v_dual_mov_b32 v99, v50
	v_dual_mul_f32 v103, v35, v41 :: v_dual_mul_f32 v104, v34, v41
	v_dual_mul_f32 v105, v35, v43 :: v_dual_mul_f32 v106, v34, v43
	v_pk_mul_f32 v[96:97], v[48:49], v[38:39] op_sel:[1,1] op_sel_hi:[0,1]
	v_dual_fma_f32 v25, v32, v36, -v25 :: v_dual_fmac_f32 v100, v33, v36
	v_dual_fma_f32 v107, v48, v36, -v107 :: v_dual_fmac_f32 v108, v49, v36
	v_pk_mul_f32 v[36:37], v[98:99], v[42:43] op_sel:[0,1]
	v_dual_mul_f32 v109, v51, v41 :: v_dual_mul_f32 v110, v50, v41
	v_dual_fma_f32 v101, v32, v38, -v101 :: v_dual_fmac_f32 v102, v33, v38
	v_dual_fma_f32 v103, v34, v40, -v103 :: v_dual_fmac_f32 v104, v35, v40
	;; [unrolled: 1-line block ×3, first 2 shown]
	v_pk_fma_f32 v[32:33], v[48:49], v[38:39], v[96:97] neg_lo:[0,0,1] neg_hi:[0,0,1]
	v_pk_fma_f32 v[34:35], v[48:49], v[38:39], v[96:97] op_sel_hi:[1,0,1]
	v_pk_fma_f32 v[38:39], v[50:51], v[42:43], v[36:37] neg_lo:[0,0,1] neg_hi:[0,0,1]
	v_pk_fma_f32 v[36:37], v[50:51], v[42:43], v[36:37] op_sel_hi:[1,0,1]
	v_dual_mov_b32 v42, v55 :: v_dual_mov_b32 v43, v54
	v_dual_mul_f32 v111, v45, v57 :: v_dual_mul_f32 v112, v44, v57
	v_dual_mul_f32 v113, v45, v59 :: v_dual_mul_f32 v114, v44, v59
	;; [unrolled: 1-line block ×5, first 2 shown]
	v_dual_fma_f32 v96, v50, v40, -v109 :: v_dual_fmac_f32 v110, v51, v40
	v_pk_mul_f32 v[40:41], v[52:53], v[58:59] op_sel:[1,1] op_sel_hi:[0,1]
	v_pk_mul_f32 v[42:43], v[42:43], v[62:63] op_sel:[0,1]
	v_dual_mul_f32 v39, v73, v65 :: v_dual_mul_f32 v98, v72, v65
	v_dual_fma_f32 v99, v44, v56, -v111 :: v_dual_fmac_f32 v112, v45, v56
	v_dual_fma_f32 v109, v44, v58, -v113 :: v_dual_fmac_f32 v114, v45, v58
	v_dual_fma_f32 v111, v46, v60, -v115 :: v_dual_fmac_f32 v116, v47, v60
	v_dual_fma_f32 v113, v46, v62, -v117 :: v_dual_fmac_f32 v118, v47, v62
	v_dual_mul_f32 v57, v73, v67 :: v_dual_mul_f32 v115, v72, v67
	v_dual_fma_f32 v117, v52, v56, -v33 :: v_dual_fmac_f32 v34, v53, v56
	v_mul_f32_e32 v33, v75, v69
	v_pk_fma_f32 v[44:45], v[52:53], v[58:59], v[40:41] neg_lo:[0,0,1] neg_hi:[0,0,1]
	v_pk_fma_f32 v[40:41], v[52:53], v[58:59], v[40:41] op_sel_hi:[1,0,1]
	v_pk_fma_f32 v[46:47], v[54:55], v[62:63], v[42:43] neg_lo:[0,0,1] neg_hi:[0,0,1]
	v_pk_fma_f32 v[42:43], v[54:55], v[62:63], v[42:43] op_sel_hi:[1,0,1]
	v_dual_mov_b32 v50, v91 :: v_dual_mov_b32 v51, v90
	v_dual_mul_f32 v40, v74, v69 :: v_dual_mul_f32 v42, v75, v71
	v_dual_mul_f32 v119, v74, v71 :: v_dual_mul_f32 v45, v89, v65
	v_mul_f32_e32 v65, v88, v65
	v_dual_fma_f32 v120, v72, v64, -v39 :: v_dual_fmac_f32 v98, v73, v64
	v_dual_fma_f32 v72, v72, v66, -v57 :: v_dual_fmac_f32 v115, v73, v66
	;; [unrolled: 1-line block ×3, first 2 shown]
	v_dual_mul_f32 v33, v91, v69 :: v_dual_mul_f32 v69, v90, v69
	v_dual_mul_f32 v36, v55, v61 :: v_dual_mul_f32 v97, v54, v61
	v_pk_mul_f32 v[50:51], v[50:51], v[70:71] op_sel:[0,1]
	v_dual_fma_f32 v42, v74, v70, -v42 :: v_dual_fmac_f32 v119, v75, v70
	v_dual_fma_f32 v74, v88, v64, -v45 :: v_dual_mul_f32 v39, v77, v81
	v_fmac_f32_e32 v65, v89, v64
	v_dual_fma_f32 v64, v90, v68, -v33 :: v_dual_mul_f32 v33, v77, v83
	v_dual_fma_f32 v36, v54, v60, -v36 :: v_dual_fmac_f32 v97, v55, v60
	v_pk_mul_f32 v[48:49], v[88:89], v[66:67] op_sel:[1,1] op_sel_hi:[0,1]
	v_pk_fma_f32 v[54:55], v[90:91], v[70:71], v[50:51] neg_lo:[0,0,1] neg_hi:[0,0,1]
	v_pk_fma_f32 v[50:51], v[90:91], v[70:71], v[50:51] op_sel_hi:[1,0,1]
	v_pk_mul_f32 v[56:57], v[92:93], v[82:83] op_sel:[1,1] op_sel_hi:[0,1]
	v_dual_fmac_f32 v69, v91, v68 :: v_dual_mul_f32 v50, v76, v83
	v_dual_mul_f32 v45, v79, v85 :: v_dual_mul_f32 v47, v79, v87
	v_dual_fma_f32 v71, v76, v82, -v33 :: v_dual_mul_f32 v33, v95, v85
	v_pk_fma_f32 v[52:53], v[88:89], v[66:67], v[48:49] neg_lo:[0,0,1] neg_hi:[0,0,1]
	v_pk_fma_f32 v[48:49], v[88:89], v[66:67], v[48:49] op_sel_hi:[1,0,1]
	v_pk_fma_f32 v[58:59], v[92:93], v[82:83], v[56:57] neg_lo:[0,0,1] neg_hi:[0,0,1]
	v_pk_fma_f32 v[56:57], v[92:93], v[82:83], v[56:57] op_sel_hi:[1,0,1]
	v_mul_f32_e32 v48, v76, v81
	v_dual_mul_f32 v66, v78, v85 :: v_dual_mul_f32 v67, v78, v87
	v_dual_mul_f32 v53, v93, v81 :: v_dual_mul_f32 v68, v92, v81
	s_delay_alu instid0(VALU_DEP_3) | instskip(NEXT) | instid1(VALU_DEP_3)
	v_dual_fma_f32 v70, v76, v80, -v39 :: v_dual_fmac_f32 v48, v77, v80
	v_dual_fma_f32 v75, v78, v84, -v45 :: v_dual_fmac_f32 v66, v79, v84
	v_fma_f32 v76, v78, v86, -v47
	v_dual_mul_f32 v56, v94, v85 :: v_dual_fma_f32 v78, v94, v84, -v33
	v_dual_add_f32 v2, v2, v107 :: v_dual_mov_b32 v33, v35
	v_dual_add_f32 v22, v22, v25 :: v_dual_add_f32 v24, v24, v100
	v_dual_add_f32 v18, v18, v101 :: v_dual_add_f32 v20, v20, v102
	v_dual_add_f32 v16, v16, v108 :: v_dual_mov_b32 v45, v41
	s_delay_alu instid0(VALU_DEP_4) | instskip(SKIP_4) | instid1(VALU_DEP_4)
	v_pk_add_f32 v[12:13], v[12:13], v[32:33]
	v_dual_mov_b32 v39, v37 :: v_dual_mov_b32 v47, v43
	v_dual_add_f32 v22, v22, v103 :: v_dual_add_f32 v24, v24, v104
	v_dual_add_f32 v18, v18, v105 :: v_dual_add_f32 v20, v20, v106
	;; [unrolled: 1-line block ×3, first 2 shown]
	v_pk_add_f32 v[12:13], v[12:13], v[38:39]
	v_dual_mov_b32 v60, v95 :: v_dual_mov_b32 v61, v94
	v_dual_add_f32 v22, v22, v99 :: v_dual_add_f32 v24, v24, v112
	v_dual_add_f32 v18, v18, v109 :: v_dual_add_f32 v20, v20, v114
	;; [unrolled: 1-line block ×3, first 2 shown]
	v_pk_add_f32 v[12:13], v[12:13], v[44:45]
	v_dual_fmac_f32 v50, v77, v82 :: v_dual_fma_f32 v77, v92, v80, -v53
	v_pk_mul_f32 v[60:61], v[60:61], v[86:87] op_sel:[0,1]
	v_dual_mov_b32 v53, v49 :: v_dual_mov_b32 v59, v57
	v_dual_add_f32 v22, v22, v111 :: v_dual_add_f32 v24, v24, v116
	v_dual_add_f32 v18, v18, v113 :: v_dual_add_f32 v20, v20, v118
	v_dual_add_f32 v2, v2, v36 :: v_dual_add_f32 v16, v16, v97
	v_pk_add_f32 v[12:13], v[12:13], v[46:47]
	v_pk_fma_f32 v[62:63], v[94:95], v[86:87], v[60:61] neg_lo:[0,0,1] neg_hi:[0,0,1]
	v_pk_fma_f32 v[60:61], v[94:95], v[86:87], v[60:61] op_sel_hi:[1,0,1]
	v_dual_mov_b32 v55, v51 :: v_dual_add_f32 v22, v22, v120
	v_dual_add_f32 v24, v24, v98 :: v_dual_add_f32 v18, v18, v72
	v_dual_add_f32 v20, v20, v115 :: v_dual_add_f32 v2, v2, v74
	v_add_f32_e32 v16, v16, v65
	v_pk_add_f32 v[12:13], v[12:13], v[52:53]
	v_dual_fmac_f32 v67, v79, v86 :: v_dual_fmac_f32 v68, v93, v80
	v_dual_mov_b32 v63, v61 :: v_dual_add_f32 v22, v22, v73
	v_dual_add_f32 v24, v24, v40 :: v_dual_add_f32 v18, v18, v42
	v_dual_add_f32 v20, v20, v119 :: v_dual_add_f32 v2, v2, v64
	v_add_f32_e32 v16, v16, v69
	v_pk_add_f32 v[12:13], v[12:13], v[54:55]
	v_dual_fmac_f32 v56, v95, v84 :: v_dual_add_f32 v22, v22, v70
	v_dual_add_f32 v24, v24, v48 :: v_dual_add_f32 v18, v18, v71
	v_dual_add_f32 v20, v20, v50 :: v_dual_add_f32 v2, v2, v77
	v_add_f32_e32 v16, v16, v68
	v_pk_add_f32 v[12:13], v[12:13], v[58:59]
	s_delay_alu instid0(VALU_DEP_4) | instskip(NEXT) | instid1(VALU_DEP_4)
	v_dual_add_f32 v22, v22, v75 :: v_dual_add_f32 v24, v24, v66
	v_dual_add_f32 v18, v18, v76 :: v_dual_add_f32 v20, v20, v67
	s_delay_alu instid0(VALU_DEP_4) | instskip(NEXT) | instid1(VALU_DEP_4)
	v_dual_add_f32 v2, v2, v78 :: v_dual_add_f32 v16, v16, v56
	v_pk_add_f32 v[12:13], v[12:13], v[62:63]
	s_cbranch_vccnz .LBB237_5
.LBB237_6:                              ;   in Loop: Header=BB237_3 Depth=1
	s_wait_loadcnt 0x0
	v_add_nc_u64_e32 v[26:27], s[26:27], v[26:27]
	s_and_not1_b32 vcc_lo, exec_lo, s1
	s_mov_b32 s38, -1
                                        ; implicit-def: $vgpr25
                                        ; implicit-def: $vgpr28_vgpr29
	s_cbranch_vccz .LBB237_8
; %bb.7:                                ;   in Loop: Header=BB237_3 Depth=1
	s_and_not1_b32 vcc_lo, exec_lo, s38
	s_cbranch_vccnz .LBB237_2
	s_branch .LBB237_9
.LBB237_8:                              ;   in Loop: Header=BB237_3 Depth=1
	v_mov_b64_e32 v[28:29], s[6:7]
	s_delay_alu instid0(VALU_DEP_2) | instskip(SKIP_2) | instid1(VALU_DEP_3)
	v_lshl_add_u64 v[30:31], v[0:1], 3, v[26:27]
	v_mov_b64_e32 v[34:35], s[22:23]
	v_lshlrev_b64_e32 v[32:33], 3, v[6:7]
	v_lshl_add_u64 v[40:41], s[24:25], 3, v[30:31]
	v_pk_mul_f32 v[36:37], v[24:25], v[28:29] op_sel_hi:[0,1]
	v_pk_mul_f32 v[38:39], v[20:21], v[28:29] op_sel_hi:[0,1]
	;; [unrolled: 1-line block ×3, first 2 shown]
	v_add_nc_u64_e32 v[30:31], v[30:31], v[32:33]
	v_add_nc_u64_e32 v[32:33], v[40:41], v[32:33]
	v_pk_fma_f32 v[44:45], v[22:23], v[34:35], v[36:37] neg_lo:[0,0,1] neg_hi:[0,0,1]
	v_pk_fma_f32 v[36:37], v[22:23], v[34:35], v[36:37] op_sel_hi:[0,1,1]
	v_pk_fma_f32 v[46:47], v[18:19], v[34:35], v[38:39] neg_lo:[0,0,1] neg_hi:[0,0,1]
	v_pk_fma_f32 v[38:39], v[18:19], v[34:35], v[38:39] op_sel_hi:[0,1,1]
	v_pk_fma_f32 v[40:41], v[2:3], v[34:35], v[42:43] op_sel_hi:[0,1,1]
	s_delay_alu instid0(VALU_DEP_4)
	v_dual_mul_f32 v25, s22, v12 :: v_dual_mov_b32 v45, v37
	v_pk_mul_f32 v[36:37], v[12:13], v[28:29]
	v_add_nc_u64_e32 v[28:29], 0x80, v[32:33]
	v_pk_fma_f32 v[34:35], v[2:3], v[34:35], v[42:43] neg_lo:[0,0,1] neg_hi:[0,0,1]
	v_dual_mov_b32 v47, v39 :: v_dual_mov_b32 v35, v41
	v_fma_f32 v38, -v13, s6, v25
	v_add_f32_e32 v25, v36, v37
	s_clause 0x3
	flat_store_b64 v[30:31], v[44:45]
	flat_store_b64 v[30:31], v[46:47] offset:128
	flat_store_b64 v[32:33], v[34:35]
	flat_store_b32 v[32:33], v38 offset:128
	s_cbranch_execnz .LBB237_2
.LBB237_9:                              ;   in Loop: Header=BB237_3 Depth=1
	v_add_nc_u64_e32 v[14:15], s[16:17], v[14:15]
	v_lshlrev_b64_e32 v[28:29], 3, v[6:7]
	s_wait_xcnt 0x1
	v_mov_b64_e32 v[34:35], s[6:7]
	v_mov_b64_e32 v[36:37], s[30:31]
	s_wait_xcnt 0x0
	v_mov_b64_e32 v[38:39], s[22:23]
	v_mov_b64_e32 v[40:41], s[36:37]
	v_lshl_add_u64 v[26:27], v[0:1], 3, v[26:27]
	v_lshl_add_u64 v[14:15], v[4:5], 3, v[14:15]
	v_pk_mul_f32 v[24:25], v[24:25], v[34:35] op_sel_hi:[0,1]
	s_delay_alu instid0(VALU_DEP_2) | instskip(SKIP_1) | instid1(VALU_DEP_3)
	v_add_nc_u64_e32 v[30:31], v[14:15], v[28:29]
	v_lshl_add_u64 v[14:15], s[14:15], 3, v[14:15]
	v_pk_fma_f32 v[44:45], v[22:23], v[38:39], v[24:25] op_sel_hi:[0,1,1]
	v_pk_fma_f32 v[24:25], v[22:23], v[38:39], v[24:25] neg_lo:[0,0,1] neg_hi:[0,0,1]
	s_delay_alu instid0(VALU_DEP_3) | instskip(SKIP_3) | instid1(VALU_DEP_1)
	v_add_nc_u64_e32 v[14:15], v[14:15], v[28:29]
	flat_load_b64 v[32:33], v[30:31]
	s_wait_loadcnt_dscnt 0x0
	v_pk_mul_f32 v[42:43], v[32:33], v[36:37]
	v_pk_fma_f32 v[46:47], v[32:33], v[40:41], v[42:43] op_sel:[0,0,1] op_sel_hi:[1,1,0]
	v_pk_fma_f32 v[32:33], v[32:33], v[40:41], v[42:43] op_sel:[0,0,1] op_sel_hi:[1,1,0] neg_lo:[0,0,1] neg_hi:[0,0,1]
	v_mov_b32_e32 v25, v45
	v_add_nc_u64_e32 v[42:43], v[26:27], v[28:29]
	v_lshl_add_u64 v[26:27], s[24:25], 3, v[26:27]
	v_mov_b32_e32 v33, v47
	s_delay_alu instid0(VALU_DEP_2) | instskip(NEXT) | instid1(VALU_DEP_2)
	v_add_nc_u64_e32 v[26:27], v[26:27], v[28:29]
	v_pk_add_f32 v[24:25], v[24:25], v[32:33]
	v_mov_b32_e32 v28, v12
	flat_store_b64 v[42:43], v[24:25]
	flat_load_b64 v[24:25], v[30:31] offset:128
	s_wait_xcnt 0x0
	v_pk_mul_f32 v[30:31], v[20:21], v[34:35] op_sel_hi:[0,1]
	s_delay_alu instid0(VALU_DEP_1) | instskip(SKIP_3) | instid1(VALU_DEP_1)
	v_pk_fma_f32 v[44:45], v[18:19], v[38:39], v[30:31] op_sel_hi:[0,1,1]
	v_pk_fma_f32 v[30:31], v[18:19], v[38:39], v[30:31] neg_lo:[0,0,1] neg_hi:[0,0,1]
	s_wait_loadcnt_dscnt 0x0
	v_pk_mul_f32 v[32:33], v[24:25], v[36:37]
	v_pk_fma_f32 v[46:47], v[24:25], v[40:41], v[32:33] op_sel:[0,0,1] op_sel_hi:[1,1,0]
	v_pk_fma_f32 v[24:25], v[24:25], v[40:41], v[32:33] op_sel:[0,0,1] op_sel_hi:[1,1,0] neg_lo:[0,0,1] neg_hi:[0,0,1]
	s_delay_alu instid0(VALU_DEP_2) | instskip(NEXT) | instid1(VALU_DEP_1)
	v_dual_mov_b32 v31, v45 :: v_dual_mov_b32 v25, v47
	v_pk_add_f32 v[24:25], v[30:31], v[24:25]
	v_pk_mul_f32 v[30:31], v[16:17], v[34:35] op_sel_hi:[0,1]
	v_mul_f32_e32 v16, s22, v12
	flat_store_b64 v[42:43], v[24:25] offset:128
	flat_load_b64 v[24:25], v[14:15]
	v_pk_fma_f32 v[34:35], v[2:3], v[38:39], v[30:31] op_sel_hi:[0,1,1]
	v_pk_fma_f32 v[30:31], v[2:3], v[38:39], v[30:31] neg_lo:[0,0,1] neg_hi:[0,0,1]
	v_fma_f32 v16, -v13, s6, v16
	s_wait_loadcnt_dscnt 0x0
	v_pk_mul_f32 v[32:33], v[24:25], v[36:37]
	s_delay_alu instid0(VALU_DEP_1) | instskip(SKIP_1) | instid1(VALU_DEP_2)
	v_pk_fma_f32 v[36:37], v[24:25], v[40:41], v[32:33] op_sel:[0,0,1] op_sel_hi:[1,1,0]
	v_pk_fma_f32 v[24:25], v[24:25], v[40:41], v[32:33] op_sel:[0,0,1] op_sel_hi:[1,1,0] neg_lo:[0,0,1] neg_hi:[0,0,1]
	v_dual_mov_b32 v31, v35 :: v_dual_mov_b32 v25, v37
	s_delay_alu instid0(VALU_DEP_1)
	v_pk_add_f32 v[24:25], v[30:31], v[24:25]
	flat_store_b64 v[26:27], v[24:25]
	flat_load_b64 v[14:15], v[14:15] offset:128
	s_wait_xcnt 0x1
	v_mov_b64_e32 v[24:25], s[8:9]
	s_wait_loadcnt_dscnt 0x0
	v_dual_mul_f32 v2, s35, v15 :: v_dual_mov_b32 v29, v14
	s_delay_alu instid0(VALU_DEP_1) | instskip(SKIP_1) | instid1(VALU_DEP_1)
	v_fma_f32 v2, v14, s34, -v2
	s_wait_xcnt 0x0
	v_dual_mov_b32 v14, v13 :: v_dual_add_f32 v2, v16, v2
	s_delay_alu instid0(VALU_DEP_1) | instskip(SKIP_4) | instid1(VALU_DEP_2)
	v_pk_mul_f32 v[14:15], v[14:15], v[24:25]
	v_mov_b64_e32 v[24:25], s[28:29]
	flat_store_b32 v[26:27], v2 offset:128
	v_pk_fma_f32 v[12:13], v[28:29], v[24:25], v[14:15]
	v_add_nc_u64_e32 v[28:29], 0x80, v[26:27]
	v_add_f32_e32 v25, v12, v13
	s_branch .LBB237_2
.LBB237_10:
	s_sendmsg sendmsg(MSG_DEALLOC_VGPRS)
	s_endpgm
	.section	.rodata,"a",@progbits
	.p2align	6, 0x0
	.amdhsa_kernel _ZN12_GLOBAL__N_127rocblas_gemm_batched_kernelI19rocblas_complex_numIfELi16ELi16ELi32ELi32ELi8ELi32ELi8ELi8ELi32ELc67ELc78EKPKS2_S5_KPS2_EEvlllT_PT11_llSA_llS8_PT12_llPT13_lli
		.amdhsa_group_segment_fixed_size 4096
		.amdhsa_private_segment_fixed_size 0
		.amdhsa_kernarg_size 140
		.amdhsa_user_sgpr_count 2
		.amdhsa_user_sgpr_dispatch_ptr 0
		.amdhsa_user_sgpr_queue_ptr 0
		.amdhsa_user_sgpr_kernarg_segment_ptr 1
		.amdhsa_user_sgpr_dispatch_id 0
		.amdhsa_user_sgpr_kernarg_preload_length 0
		.amdhsa_user_sgpr_kernarg_preload_offset 0
		.amdhsa_user_sgpr_private_segment_size 0
		.amdhsa_wavefront_size32 1
		.amdhsa_uses_dynamic_stack 0
		.amdhsa_enable_private_segment 0
		.amdhsa_system_sgpr_workgroup_id_x 1
		.amdhsa_system_sgpr_workgroup_id_y 1
		.amdhsa_system_sgpr_workgroup_id_z 1
		.amdhsa_system_sgpr_workgroup_info 0
		.amdhsa_system_vgpr_workitem_id 1
		.amdhsa_next_free_vgpr 121
		.amdhsa_next_free_sgpr 42
		.amdhsa_named_barrier_count 0
		.amdhsa_reserve_vcc 1
		.amdhsa_float_round_mode_32 0
		.amdhsa_float_round_mode_16_64 0
		.amdhsa_float_denorm_mode_32 3
		.amdhsa_float_denorm_mode_16_64 3
		.amdhsa_fp16_overflow 0
		.amdhsa_memory_ordered 1
		.amdhsa_forward_progress 1
		.amdhsa_inst_pref_size 23
		.amdhsa_round_robin_scheduling 0
		.amdhsa_exception_fp_ieee_invalid_op 0
		.amdhsa_exception_fp_denorm_src 0
		.amdhsa_exception_fp_ieee_div_zero 0
		.amdhsa_exception_fp_ieee_overflow 0
		.amdhsa_exception_fp_ieee_underflow 0
		.amdhsa_exception_fp_ieee_inexact 0
		.amdhsa_exception_int_div_zero 0
	.end_amdhsa_kernel
	.section	.text._ZN12_GLOBAL__N_127rocblas_gemm_batched_kernelI19rocblas_complex_numIfELi16ELi16ELi32ELi32ELi8ELi32ELi8ELi8ELi32ELc67ELc78EKPKS2_S5_KPS2_EEvlllT_PT11_llSA_llS8_PT12_llPT13_lli,"axG",@progbits,_ZN12_GLOBAL__N_127rocblas_gemm_batched_kernelI19rocblas_complex_numIfELi16ELi16ELi32ELi32ELi8ELi32ELi8ELi8ELi32ELc67ELc78EKPKS2_S5_KPS2_EEvlllT_PT11_llSA_llS8_PT12_llPT13_lli,comdat
.Lfunc_end237:
	.size	_ZN12_GLOBAL__N_127rocblas_gemm_batched_kernelI19rocblas_complex_numIfELi16ELi16ELi32ELi32ELi8ELi32ELi8ELi8ELi32ELc67ELc78EKPKS2_S5_KPS2_EEvlllT_PT11_llSA_llS8_PT12_llPT13_lli, .Lfunc_end237-_ZN12_GLOBAL__N_127rocblas_gemm_batched_kernelI19rocblas_complex_numIfELi16ELi16ELi32ELi32ELi8ELi32ELi8ELi8ELi32ELc67ELc78EKPKS2_S5_KPS2_EEvlllT_PT11_llSA_llS8_PT12_llPT13_lli
                                        ; -- End function
	.set _ZN12_GLOBAL__N_127rocblas_gemm_batched_kernelI19rocblas_complex_numIfELi16ELi16ELi32ELi32ELi8ELi32ELi8ELi8ELi32ELc67ELc78EKPKS2_S5_KPS2_EEvlllT_PT11_llSA_llS8_PT12_llPT13_lli.num_vgpr, 121
	.set _ZN12_GLOBAL__N_127rocblas_gemm_batched_kernelI19rocblas_complex_numIfELi16ELi16ELi32ELi32ELi8ELi32ELi8ELi8ELi32ELc67ELc78EKPKS2_S5_KPS2_EEvlllT_PT11_llSA_llS8_PT12_llPT13_lli.num_agpr, 0
	.set _ZN12_GLOBAL__N_127rocblas_gemm_batched_kernelI19rocblas_complex_numIfELi16ELi16ELi32ELi32ELi8ELi32ELi8ELi8ELi32ELc67ELc78EKPKS2_S5_KPS2_EEvlllT_PT11_llSA_llS8_PT12_llPT13_lli.numbered_sgpr, 42
	.set _ZN12_GLOBAL__N_127rocblas_gemm_batched_kernelI19rocblas_complex_numIfELi16ELi16ELi32ELi32ELi8ELi32ELi8ELi8ELi32ELc67ELc78EKPKS2_S5_KPS2_EEvlllT_PT11_llSA_llS8_PT12_llPT13_lli.num_named_barrier, 0
	.set _ZN12_GLOBAL__N_127rocblas_gemm_batched_kernelI19rocblas_complex_numIfELi16ELi16ELi32ELi32ELi8ELi32ELi8ELi8ELi32ELc67ELc78EKPKS2_S5_KPS2_EEvlllT_PT11_llSA_llS8_PT12_llPT13_lli.private_seg_size, 0
	.set _ZN12_GLOBAL__N_127rocblas_gemm_batched_kernelI19rocblas_complex_numIfELi16ELi16ELi32ELi32ELi8ELi32ELi8ELi8ELi32ELc67ELc78EKPKS2_S5_KPS2_EEvlllT_PT11_llSA_llS8_PT12_llPT13_lli.uses_vcc, 1
	.set _ZN12_GLOBAL__N_127rocblas_gemm_batched_kernelI19rocblas_complex_numIfELi16ELi16ELi32ELi32ELi8ELi32ELi8ELi8ELi32ELc67ELc78EKPKS2_S5_KPS2_EEvlllT_PT11_llSA_llS8_PT12_llPT13_lli.uses_flat_scratch, 1
	.set _ZN12_GLOBAL__N_127rocblas_gemm_batched_kernelI19rocblas_complex_numIfELi16ELi16ELi32ELi32ELi8ELi32ELi8ELi8ELi32ELc67ELc78EKPKS2_S5_KPS2_EEvlllT_PT11_llSA_llS8_PT12_llPT13_lli.has_dyn_sized_stack, 0
	.set _ZN12_GLOBAL__N_127rocblas_gemm_batched_kernelI19rocblas_complex_numIfELi16ELi16ELi32ELi32ELi8ELi32ELi8ELi8ELi32ELc67ELc78EKPKS2_S5_KPS2_EEvlllT_PT11_llSA_llS8_PT12_llPT13_lli.has_recursion, 0
	.set _ZN12_GLOBAL__N_127rocblas_gemm_batched_kernelI19rocblas_complex_numIfELi16ELi16ELi32ELi32ELi8ELi32ELi8ELi8ELi32ELc67ELc78EKPKS2_S5_KPS2_EEvlllT_PT11_llSA_llS8_PT12_llPT13_lli.has_indirect_call, 0
	.section	.AMDGPU.csdata,"",@progbits
; Kernel info:
; codeLenInByte = 2920
; TotalNumSgprs: 44
; NumVgprs: 121
; ScratchSize: 0
; MemoryBound: 0
; FloatMode: 240
; IeeeMode: 1
; LDSByteSize: 4096 bytes/workgroup (compile time only)
; SGPRBlocks: 0
; VGPRBlocks: 7
; NumSGPRsForWavesPerEU: 44
; NumVGPRsForWavesPerEU: 121
; NamedBarCnt: 0
; Occupancy: 8
; WaveLimiterHint : 1
; COMPUTE_PGM_RSRC2:SCRATCH_EN: 0
; COMPUTE_PGM_RSRC2:USER_SGPR: 2
; COMPUTE_PGM_RSRC2:TRAP_HANDLER: 0
; COMPUTE_PGM_RSRC2:TGID_X_EN: 1
; COMPUTE_PGM_RSRC2:TGID_Y_EN: 1
; COMPUTE_PGM_RSRC2:TGID_Z_EN: 1
; COMPUTE_PGM_RSRC2:TIDIG_COMP_CNT: 1
	.section	.text._ZN12_GLOBAL__N_127rocblas_gemm_batched_kernelI19rocblas_complex_numIfELi16ELi16ELi32ELi32ELi8ELi32ELi8ELi8ELi32ELc67ELc84EKPKS2_S5_KPS2_EEvlllT_PT11_llSA_llS8_PT12_llPT13_lli,"axG",@progbits,_ZN12_GLOBAL__N_127rocblas_gemm_batched_kernelI19rocblas_complex_numIfELi16ELi16ELi32ELi32ELi8ELi32ELi8ELi8ELi32ELc67ELc84EKPKS2_S5_KPS2_EEvlllT_PT11_llSA_llS8_PT12_llPT13_lli,comdat
	.globl	_ZN12_GLOBAL__N_127rocblas_gemm_batched_kernelI19rocblas_complex_numIfELi16ELi16ELi32ELi32ELi8ELi32ELi8ELi8ELi32ELc67ELc84EKPKS2_S5_KPS2_EEvlllT_PT11_llSA_llS8_PT12_llPT13_lli ; -- Begin function _ZN12_GLOBAL__N_127rocblas_gemm_batched_kernelI19rocblas_complex_numIfELi16ELi16ELi32ELi32ELi8ELi32ELi8ELi8ELi32ELc67ELc84EKPKS2_S5_KPS2_EEvlllT_PT11_llSA_llS8_PT12_llPT13_lli
	.p2align	8
	.type	_ZN12_GLOBAL__N_127rocblas_gemm_batched_kernelI19rocblas_complex_numIfELi16ELi16ELi32ELi32ELi8ELi32ELi8ELi8ELi32ELc67ELc84EKPKS2_S5_KPS2_EEvlllT_PT11_llSA_llS8_PT12_llPT13_lli,@function
_ZN12_GLOBAL__N_127rocblas_gemm_batched_kernelI19rocblas_complex_numIfELi16ELi16ELi32ELi32ELi8ELi32ELi8ELi8ELi32ELc67ELc84EKPKS2_S5_KPS2_EEvlllT_PT11_llSA_llS8_PT12_llPT13_lli: ; @_ZN12_GLOBAL__N_127rocblas_gemm_batched_kernelI19rocblas_complex_numIfELi16ELi16ELi32ELi32ELi8ELi32ELi8ELi8ELi32ELc67ELc84EKPKS2_S5_KPS2_EEvlllT_PT11_llSA_llS8_PT12_llPT13_lli
; %bb.0:
	s_load_b32 s33, s[0:1], 0x88
	s_bfe_u32 s2, ttmp6, 0x40014
	s_lshr_b32 s3, ttmp7, 16
	s_add_co_i32 s2, s2, 1
	s_bfe_u32 s4, ttmp6, 0x40008
	s_mul_i32 s2, s3, s2
	s_getreg_b32 s12, hwreg(HW_REG_IB_STS2, 6, 4)
	s_add_co_i32 s4, s4, s2
	s_cmp_eq_u32 s12, 0
	s_cselect_b32 s2, s3, s4
	s_mov_b32 s3, 0
	s_wait_kmcnt 0x0
	s_cmp_ge_i32 s2, s33
	s_cbranch_scc1 .LBB238_10
; %bb.1:
	v_bfe_u32 v2, v0, 10, 10
	v_and_b32_e32 v6, 0x3ff, v0
	s_load_b256 s[4:11], s[0:1], 0x20
	s_bfe_u32 s13, ttmp6, 0x4000c
	s_bfe_u32 s15, ttmp6, 0x40010
	s_add_co_i32 s13, s13, 1
	s_and_b32 s16, ttmp7, 0xffff
	s_add_co_i32 s15, s15, 1
	s_and_b32 s14, ttmp6, 15
	s_mul_i32 s13, ttmp9, s13
	s_mul_i32 s15, s16, s15
	s_bfe_u32 s17, ttmp6, 0x40004
	v_lshl_add_u32 v1, v2, 4, v6
	s_add_co_i32 s14, s14, s13
	s_add_co_i32 s17, s17, s15
	s_clause 0x1
	s_load_b128 s[24:27], s[0:1], 0x40
	s_load_b64 s[34:35], s[0:1], 0x50
	s_cmp_eq_u32 s12, 0
	v_dual_mov_b32 v3, 0 :: v_dual_bitop2_b32 v7, 31, v1 bitop3:0x40
	s_cselect_b32 s12, ttmp9, s14
	s_cselect_b32 s14, s16, s17
	s_ashr_i32 s13, s12, 31
	s_delay_alu instid0(VALU_DEP_1)
	v_dual_mov_b32 v5, v3 :: v_dual_lshrrev_b32 v4, 3, v1
	s_lshl_b64 s[36:37], s[12:13], 5
	s_lshl_b32 s38, s14, 5
	v_dual_mov_b32 v9, s37 :: v_dual_bitop2_b32 v8, s36, v7 bitop3:0x54
	s_mov_b32 s39, s3
	s_clause 0x1
	s_load_b128 s[28:31], s[0:1], 0x78
	s_load_b256 s[12:19], s[0:1], 0x58
	v_add_nc_u64_e32 v[10:11], s[38:39], v[4:5]
	v_dual_lshrrev_b32 v12, 5, v1 :: v_dual_bitop2_b32 v0, 7, v0 bitop3:0x40
	s_wait_kmcnt 0x0
	v_mul_u64_e32 v[8:9], s[6:7], v[8:9]
	v_lshlrev_b32_e32 v1, 3, v7
	s_load_b128 s[20:23], s[0:1], 0x10
	v_lshlrev_b32_e32 v5, 3, v0
	v_mad_nc_u64_u32 v[10:11], s24, v0, v[10:11]
	s_wait_xcnt 0x0
	s_or_b32 s0, s34, s35
	v_lshl_or_b32 v17, v12, 8, v1
	v_dual_mov_b32 v7, v3 :: v_dual_lshlrev_b32 v21, 3, v6
	v_lshl_or_b32 v13, v4, 6, v5
	v_add_nc_u64_e32 v[4:5], s[38:39], v[2:3]
	s_bitset0_b32 s0, 31
	s_delay_alu instid0(VALU_DEP_3)
	v_add_nc_u64_e32 v[6:7], s[36:37], v[6:7]
	s_cmp_eq_u32 s0, 0
	v_lshl_add_u32 v23, v2, 6, 0x800
	v_mad_u32 v11, s25, v0, v11
	s_cselect_b32 s1, -1, 0
	v_mul_u64_e32 v[0:1], s[28:29], v[4:5]
	v_mul_u64_e32 v[4:5], s[14:15], v[4:5]
	s_lshl_b64 s[36:37], s[8:9], 3
	v_lshlrev_b32_e32 v2, 3, v12
	v_add_nc_u32_e32 v19, 0x800, v13
	s_wait_kmcnt 0x0
	v_cmp_gt_i64_e64 s0, s[20:21], 0
	s_mov_b32 s6, s23
	s_mov_b32 s7, s22
	s_lshl_b64 s[28:29], s[28:29], 4
	v_lshlrev_b64_e32 v[10:11], 3, v[10:11]
	s_lshl_b64 s[14:15], s[14:15], 4
	s_mov_b32 s8, s23
	s_mov_b32 s9, s35
	;; [unrolled: 1-line block ×4, first 2 shown]
	v_lshl_add_u64 v[8:9], v[8:9], 3, s[36:37]
	v_lshl_add_u64 v[10:11], s[26:27], 3, v[10:11]
	s_mov_b32 s36, s22
	s_mov_b32 s37, s34
	;; [unrolled: 1-line block ×3, first 2 shown]
	v_add_nc_u64_e32 v[8:9], v[8:9], v[2:3]
	v_cndmask_b32_e64 v2, 0, 1, s0
	s_mov_b32 s41, s35
	s_lshl_b64 s[24:25], s[24:25], 6
	s_lshl_b64 s[26:27], s[30:31], 3
	;; [unrolled: 1-line block ×3, first 2 shown]
	v_cmp_ne_u32_e64 s0, 1, v2
	v_or_b32_e32 v8, 4, v8
	s_branch .LBB238_3
.LBB238_2:                              ;   in Loop: Header=BB238_3 Depth=1
	s_add_co_i32 s2, s2, 0x10000
	flat_store_b32 v[28:29], v25 offset:4
	s_cmp_lt_i32 s2, s33
	s_cbranch_scc0 .LBB238_10
.LBB238_3:                              ; =>This Loop Header: Depth=1
                                        ;     Child Loop BB238_5 Depth 2
	s_wait_xcnt 0x1
	v_dual_mov_b32 v2, s2 :: v_dual_mov_b32 v13, 0
	v_dual_mov_b32 v12, 0 :: v_dual_mov_b32 v22, 0
	;; [unrolled: 1-line block ×3, first 2 shown]
	s_clause 0x1
	global_load_b64 v[14:15], v2, s[12:13] scale_offset
	global_load_b64 v[26:27], v2, s[18:19] scale_offset
	s_wait_xcnt 0x0
	v_dual_mov_b32 v20, 0 :: v_dual_mov_b32 v2, 0
	v_mov_b32_e32 v16, 0
	s_and_b32 vcc_lo, exec_lo, s0
	s_cbranch_vccnz .LBB238_6
; %bb.4:                                ;   in Loop: Header=BB238_3 Depth=1
	s_lshl_b64 s[30:31], s[2:3], 3
	v_dual_mov_b32 v16, 0 :: v_dual_mov_b32 v2, 0
	s_add_nc_u64 s[42:43], s[4:5], s[30:31]
	s_add_nc_u64 s[30:31], s[10:11], s[30:31]
	s_clause 0x1
	global_load_b64 v[12:13], v3, s[42:43]
	global_load_b64 v[30:31], v3, s[30:31]
	v_dual_mov_b32 v20, 0 :: v_dual_mov_b32 v18, 0
	v_dual_mov_b32 v24, 0 :: v_dual_mov_b32 v22, 0
	s_wait_xcnt 0x0
	s_mov_b64 s[30:31], 0
	s_wait_loadcnt 0x1
	v_add_nc_u64_e32 v[28:29], v[12:13], v[8:9]
	s_wait_loadcnt 0x0
	v_add_nc_u64_e32 v[30:31], v[30:31], v[10:11]
	v_dual_mov_b32 v12, 0 :: v_dual_mov_b32 v13, v16
.LBB238_5:                              ;   Parent Loop BB238_3 Depth=1
                                        ; =>  This Inner Loop Header: Depth=2
	flat_load_b64 v[32:33], v[28:29] offset:-4
	s_add_nc_u64 s[30:31], s[30:31], 8
	s_wait_xcnt 0x0
	v_add_nc_u64_e32 v[28:29], 64, v[28:29]
	v_cmp_lt_i64_e64 s42, s[30:31], s[20:21]
	s_and_b32 vcc_lo, exec_lo, s42
	s_wait_loadcnt_dscnt 0x0
	v_xor_b32_e32 v33, 0x80000000, v33
	ds_store_b64 v17, v[32:33]
	flat_load_b64 v[32:33], v[30:31]
	s_wait_xcnt 0x0
	v_add_nc_u64_e32 v[30:31], s[24:25], v[30:31]
	s_wait_loadcnt_dscnt 0x0
	ds_store_b64 v19, v[32:33]
	s_wait_dscnt 0x0
	s_barrier_signal -1
	s_barrier_wait -1
	ds_load_b128 v[32:35], v23
	ds_load_2addr_b64 v[36:39], v21 offset1:16
	ds_load_2addr_b64 v[40:43], v21 offset0:32 offset1:48
	ds_load_b128 v[44:47], v23 offset:16
	ds_load_b128 v[48:51], v23 offset:1024
	;; [unrolled: 1-line block ×3, first 2 shown]
	ds_load_2addr_b64 v[56:59], v21 offset0:64 offset1:80
	ds_load_2addr_b64 v[60:63], v21 offset0:96 offset1:112
	;; [unrolled: 1-line block ×4, first 2 shown]
	ds_load_b128 v[72:75], v23 offset:32
	ds_load_b128 v[76:79], v23 offset:48
	ds_load_2addr_b64 v[80:83], v21 offset0:192 offset1:208
	ds_load_2addr_b64 v[84:87], v21 offset0:224 offset1:240
	ds_load_b128 v[88:91], v23 offset:1056
	ds_load_b128 v[92:95], v23 offset:1072
	s_wait_dscnt 0x0
	s_barrier_signal -1
	s_barrier_wait -1
	v_dual_mul_f32 v25, v33, v37 :: v_dual_mul_f32 v100, v32, v37
	v_dual_mul_f32 v101, v33, v39 :: v_dual_mul_f32 v102, v32, v39
	;; [unrolled: 1-line block ×3, first 2 shown]
	v_dual_mov_b32 v98, v51 :: v_dual_mov_b32 v99, v50
	v_dual_mul_f32 v103, v35, v41 :: v_dual_mul_f32 v104, v34, v41
	v_dual_mul_f32 v105, v35, v43 :: v_dual_mul_f32 v106, v34, v43
	v_pk_mul_f32 v[96:97], v[48:49], v[38:39] op_sel:[1,1] op_sel_hi:[0,1]
	v_dual_fma_f32 v25, v32, v36, -v25 :: v_dual_fmac_f32 v100, v33, v36
	v_dual_fma_f32 v107, v48, v36, -v107 :: v_dual_fmac_f32 v108, v49, v36
	v_pk_mul_f32 v[36:37], v[98:99], v[42:43] op_sel:[0,1]
	v_dual_mul_f32 v109, v51, v41 :: v_dual_mul_f32 v110, v50, v41
	v_dual_fma_f32 v101, v32, v38, -v101 :: v_dual_fmac_f32 v102, v33, v38
	v_dual_fma_f32 v103, v34, v40, -v103 :: v_dual_fmac_f32 v104, v35, v40
	;; [unrolled: 1-line block ×3, first 2 shown]
	v_pk_fma_f32 v[32:33], v[48:49], v[38:39], v[96:97] neg_lo:[0,0,1] neg_hi:[0,0,1]
	v_pk_fma_f32 v[34:35], v[48:49], v[38:39], v[96:97] op_sel_hi:[1,0,1]
	v_pk_fma_f32 v[38:39], v[50:51], v[42:43], v[36:37] neg_lo:[0,0,1] neg_hi:[0,0,1]
	v_pk_fma_f32 v[36:37], v[50:51], v[42:43], v[36:37] op_sel_hi:[1,0,1]
	v_dual_mov_b32 v42, v55 :: v_dual_mov_b32 v43, v54
	v_dual_mul_f32 v111, v45, v57 :: v_dual_mul_f32 v112, v44, v57
	v_dual_mul_f32 v113, v45, v59 :: v_dual_mul_f32 v114, v44, v59
	;; [unrolled: 1-line block ×5, first 2 shown]
	v_dual_fma_f32 v96, v50, v40, -v109 :: v_dual_fmac_f32 v110, v51, v40
	v_pk_mul_f32 v[40:41], v[52:53], v[58:59] op_sel:[1,1] op_sel_hi:[0,1]
	v_pk_mul_f32 v[42:43], v[42:43], v[62:63] op_sel:[0,1]
	v_dual_mul_f32 v39, v73, v65 :: v_dual_mul_f32 v98, v72, v65
	v_dual_fma_f32 v99, v44, v56, -v111 :: v_dual_fmac_f32 v112, v45, v56
	v_dual_fma_f32 v109, v44, v58, -v113 :: v_dual_fmac_f32 v114, v45, v58
	;; [unrolled: 1-line block ×4, first 2 shown]
	v_dual_mul_f32 v57, v73, v67 :: v_dual_mul_f32 v115, v72, v67
	v_dual_fma_f32 v117, v52, v56, -v33 :: v_dual_fmac_f32 v34, v53, v56
	v_mul_f32_e32 v33, v75, v69
	v_pk_fma_f32 v[44:45], v[52:53], v[58:59], v[40:41] neg_lo:[0,0,1] neg_hi:[0,0,1]
	v_pk_fma_f32 v[40:41], v[52:53], v[58:59], v[40:41] op_sel_hi:[1,0,1]
	v_pk_fma_f32 v[46:47], v[54:55], v[62:63], v[42:43] neg_lo:[0,0,1] neg_hi:[0,0,1]
	v_pk_fma_f32 v[42:43], v[54:55], v[62:63], v[42:43] op_sel_hi:[1,0,1]
	v_dual_mov_b32 v50, v91 :: v_dual_mov_b32 v51, v90
	v_dual_mul_f32 v40, v74, v69 :: v_dual_mul_f32 v42, v75, v71
	v_dual_mul_f32 v119, v74, v71 :: v_dual_mul_f32 v45, v89, v65
	v_mul_f32_e32 v65, v88, v65
	v_dual_fma_f32 v120, v72, v64, -v39 :: v_dual_fmac_f32 v98, v73, v64
	v_dual_fma_f32 v72, v72, v66, -v57 :: v_dual_fmac_f32 v115, v73, v66
	;; [unrolled: 1-line block ×3, first 2 shown]
	v_dual_mul_f32 v33, v91, v69 :: v_dual_mul_f32 v69, v90, v69
	v_dual_mul_f32 v36, v55, v61 :: v_dual_mul_f32 v97, v54, v61
	v_pk_mul_f32 v[50:51], v[50:51], v[70:71] op_sel:[0,1]
	v_dual_fma_f32 v42, v74, v70, -v42 :: v_dual_fmac_f32 v119, v75, v70
	v_dual_fma_f32 v74, v88, v64, -v45 :: v_dual_mul_f32 v39, v77, v81
	v_fmac_f32_e32 v65, v89, v64
	v_dual_fma_f32 v64, v90, v68, -v33 :: v_dual_mul_f32 v33, v77, v83
	v_dual_fma_f32 v36, v54, v60, -v36 :: v_dual_fmac_f32 v97, v55, v60
	v_pk_mul_f32 v[48:49], v[88:89], v[66:67] op_sel:[1,1] op_sel_hi:[0,1]
	v_pk_fma_f32 v[54:55], v[90:91], v[70:71], v[50:51] neg_lo:[0,0,1] neg_hi:[0,0,1]
	v_pk_fma_f32 v[50:51], v[90:91], v[70:71], v[50:51] op_sel_hi:[1,0,1]
	v_pk_mul_f32 v[56:57], v[92:93], v[82:83] op_sel:[1,1] op_sel_hi:[0,1]
	v_dual_fmac_f32 v69, v91, v68 :: v_dual_mul_f32 v50, v76, v83
	v_dual_mul_f32 v45, v79, v85 :: v_dual_mul_f32 v47, v79, v87
	v_dual_fma_f32 v71, v76, v82, -v33 :: v_dual_mul_f32 v33, v95, v85
	v_pk_fma_f32 v[52:53], v[88:89], v[66:67], v[48:49] neg_lo:[0,0,1] neg_hi:[0,0,1]
	v_pk_fma_f32 v[48:49], v[88:89], v[66:67], v[48:49] op_sel_hi:[1,0,1]
	v_pk_fma_f32 v[58:59], v[92:93], v[82:83], v[56:57] neg_lo:[0,0,1] neg_hi:[0,0,1]
	v_pk_fma_f32 v[56:57], v[92:93], v[82:83], v[56:57] op_sel_hi:[1,0,1]
	v_mul_f32_e32 v48, v76, v81
	v_dual_mul_f32 v66, v78, v85 :: v_dual_mul_f32 v67, v78, v87
	v_dual_mul_f32 v53, v93, v81 :: v_dual_mul_f32 v68, v92, v81
	s_delay_alu instid0(VALU_DEP_3) | instskip(NEXT) | instid1(VALU_DEP_3)
	v_dual_fma_f32 v70, v76, v80, -v39 :: v_dual_fmac_f32 v48, v77, v80
	v_dual_fma_f32 v75, v78, v84, -v45 :: v_dual_fmac_f32 v66, v79, v84
	v_fma_f32 v76, v78, v86, -v47
	v_dual_mul_f32 v56, v94, v85 :: v_dual_fma_f32 v78, v94, v84, -v33
	v_dual_add_f32 v2, v2, v107 :: v_dual_mov_b32 v33, v35
	v_dual_add_f32 v22, v22, v25 :: v_dual_add_f32 v24, v24, v100
	v_dual_add_f32 v18, v18, v101 :: v_dual_add_f32 v20, v20, v102
	v_dual_add_f32 v16, v16, v108 :: v_dual_mov_b32 v45, v41
	s_delay_alu instid0(VALU_DEP_4) | instskip(SKIP_4) | instid1(VALU_DEP_4)
	v_pk_add_f32 v[12:13], v[12:13], v[32:33]
	v_dual_mov_b32 v39, v37 :: v_dual_mov_b32 v47, v43
	v_dual_add_f32 v22, v22, v103 :: v_dual_add_f32 v24, v24, v104
	v_dual_add_f32 v18, v18, v105 :: v_dual_add_f32 v20, v20, v106
	v_dual_add_f32 v2, v2, v96 :: v_dual_add_f32 v16, v16, v110
	v_pk_add_f32 v[12:13], v[12:13], v[38:39]
	v_dual_mov_b32 v60, v95 :: v_dual_mov_b32 v61, v94
	v_dual_add_f32 v22, v22, v99 :: v_dual_add_f32 v24, v24, v112
	v_dual_add_f32 v18, v18, v109 :: v_dual_add_f32 v20, v20, v114
	v_dual_add_f32 v2, v2, v117 :: v_dual_add_f32 v16, v16, v34
	v_pk_add_f32 v[12:13], v[12:13], v[44:45]
	v_dual_fmac_f32 v50, v77, v82 :: v_dual_fma_f32 v77, v92, v80, -v53
	v_pk_mul_f32 v[60:61], v[60:61], v[86:87] op_sel:[0,1]
	v_dual_mov_b32 v53, v49 :: v_dual_mov_b32 v59, v57
	v_dual_add_f32 v22, v22, v111 :: v_dual_add_f32 v24, v24, v116
	v_dual_add_f32 v18, v18, v113 :: v_dual_add_f32 v20, v20, v118
	;; [unrolled: 1-line block ×3, first 2 shown]
	v_pk_add_f32 v[12:13], v[12:13], v[46:47]
	v_pk_fma_f32 v[62:63], v[94:95], v[86:87], v[60:61] neg_lo:[0,0,1] neg_hi:[0,0,1]
	v_pk_fma_f32 v[60:61], v[94:95], v[86:87], v[60:61] op_sel_hi:[1,0,1]
	v_dual_mov_b32 v55, v51 :: v_dual_add_f32 v22, v22, v120
	v_dual_add_f32 v24, v24, v98 :: v_dual_add_f32 v18, v18, v72
	v_dual_add_f32 v20, v20, v115 :: v_dual_add_f32 v2, v2, v74
	v_add_f32_e32 v16, v16, v65
	v_pk_add_f32 v[12:13], v[12:13], v[52:53]
	v_dual_fmac_f32 v67, v79, v86 :: v_dual_fmac_f32 v68, v93, v80
	v_dual_mov_b32 v63, v61 :: v_dual_add_f32 v22, v22, v73
	v_dual_add_f32 v24, v24, v40 :: v_dual_add_f32 v18, v18, v42
	v_dual_add_f32 v20, v20, v119 :: v_dual_add_f32 v2, v2, v64
	v_add_f32_e32 v16, v16, v69
	v_pk_add_f32 v[12:13], v[12:13], v[54:55]
	v_dual_fmac_f32 v56, v95, v84 :: v_dual_add_f32 v22, v22, v70
	v_dual_add_f32 v24, v24, v48 :: v_dual_add_f32 v18, v18, v71
	v_dual_add_f32 v20, v20, v50 :: v_dual_add_f32 v2, v2, v77
	v_add_f32_e32 v16, v16, v68
	v_pk_add_f32 v[12:13], v[12:13], v[58:59]
	s_delay_alu instid0(VALU_DEP_4) | instskip(NEXT) | instid1(VALU_DEP_4)
	v_dual_add_f32 v22, v22, v75 :: v_dual_add_f32 v24, v24, v66
	v_dual_add_f32 v18, v18, v76 :: v_dual_add_f32 v20, v20, v67
	s_delay_alu instid0(VALU_DEP_4) | instskip(NEXT) | instid1(VALU_DEP_4)
	v_dual_add_f32 v2, v2, v78 :: v_dual_add_f32 v16, v16, v56
	v_pk_add_f32 v[12:13], v[12:13], v[62:63]
	s_cbranch_vccnz .LBB238_5
.LBB238_6:                              ;   in Loop: Header=BB238_3 Depth=1
	s_wait_loadcnt 0x0
	v_add_nc_u64_e32 v[26:27], s[26:27], v[26:27]
	s_and_not1_b32 vcc_lo, exec_lo, s1
	s_mov_b32 s30, -1
                                        ; implicit-def: $vgpr25
                                        ; implicit-def: $vgpr28_vgpr29
	s_cbranch_vccz .LBB238_8
; %bb.7:                                ;   in Loop: Header=BB238_3 Depth=1
	s_and_not1_b32 vcc_lo, exec_lo, s30
	s_cbranch_vccnz .LBB238_2
	s_branch .LBB238_9
.LBB238_8:                              ;   in Loop: Header=BB238_3 Depth=1
	v_mov_b64_e32 v[28:29], s[6:7]
	s_delay_alu instid0(VALU_DEP_2) | instskip(SKIP_2) | instid1(VALU_DEP_3)
	v_lshl_add_u64 v[30:31], v[0:1], 3, v[26:27]
	v_mov_b64_e32 v[34:35], s[22:23]
	v_lshlrev_b64_e32 v[32:33], 3, v[6:7]
	v_lshl_add_u64 v[40:41], s[28:29], 3, v[30:31]
	v_pk_mul_f32 v[36:37], v[24:25], v[28:29] op_sel_hi:[0,1]
	v_pk_mul_f32 v[38:39], v[20:21], v[28:29] op_sel_hi:[0,1]
	v_pk_mul_f32 v[42:43], v[16:17], v[28:29] op_sel_hi:[0,1]
	v_add_nc_u64_e32 v[30:31], v[30:31], v[32:33]
	v_add_nc_u64_e32 v[32:33], v[40:41], v[32:33]
	v_pk_fma_f32 v[44:45], v[22:23], v[34:35], v[36:37] neg_lo:[0,0,1] neg_hi:[0,0,1]
	v_pk_fma_f32 v[36:37], v[22:23], v[34:35], v[36:37] op_sel_hi:[0,1,1]
	v_pk_fma_f32 v[46:47], v[18:19], v[34:35], v[38:39] neg_lo:[0,0,1] neg_hi:[0,0,1]
	v_pk_fma_f32 v[38:39], v[18:19], v[34:35], v[38:39] op_sel_hi:[0,1,1]
	v_pk_fma_f32 v[40:41], v[2:3], v[34:35], v[42:43] op_sel_hi:[0,1,1]
	s_delay_alu instid0(VALU_DEP_4)
	v_dual_mul_f32 v25, s22, v12 :: v_dual_mov_b32 v45, v37
	v_pk_mul_f32 v[36:37], v[12:13], v[28:29]
	v_add_nc_u64_e32 v[28:29], 0x80, v[32:33]
	v_pk_fma_f32 v[34:35], v[2:3], v[34:35], v[42:43] neg_lo:[0,0,1] neg_hi:[0,0,1]
	v_dual_mov_b32 v47, v39 :: v_dual_mov_b32 v35, v41
	v_fma_f32 v38, -v13, s6, v25
	v_add_f32_e32 v25, v36, v37
	s_clause 0x3
	flat_store_b64 v[30:31], v[44:45]
	flat_store_b64 v[30:31], v[46:47] offset:128
	flat_store_b64 v[32:33], v[34:35]
	flat_store_b32 v[32:33], v38 offset:128
	s_cbranch_execnz .LBB238_2
.LBB238_9:                              ;   in Loop: Header=BB238_3 Depth=1
	v_add_nc_u64_e32 v[14:15], s[16:17], v[14:15]
	v_lshlrev_b64_e32 v[28:29], 3, v[6:7]
	s_wait_xcnt 0x1
	v_mov_b64_e32 v[34:35], s[6:7]
	v_mov_b64_e32 v[36:37], s[40:41]
	s_wait_xcnt 0x0
	v_mov_b64_e32 v[38:39], s[22:23]
	v_mov_b64_e32 v[40:41], s[38:39]
	v_lshl_add_u64 v[26:27], v[0:1], 3, v[26:27]
	v_lshl_add_u64 v[14:15], v[4:5], 3, v[14:15]
	v_pk_mul_f32 v[24:25], v[24:25], v[34:35] op_sel_hi:[0,1]
	s_delay_alu instid0(VALU_DEP_2) | instskip(SKIP_1) | instid1(VALU_DEP_3)
	v_add_nc_u64_e32 v[30:31], v[14:15], v[28:29]
	v_lshl_add_u64 v[14:15], s[14:15], 3, v[14:15]
	v_pk_fma_f32 v[44:45], v[22:23], v[38:39], v[24:25] op_sel_hi:[0,1,1]
	v_pk_fma_f32 v[24:25], v[22:23], v[38:39], v[24:25] neg_lo:[0,0,1] neg_hi:[0,0,1]
	s_delay_alu instid0(VALU_DEP_3) | instskip(SKIP_3) | instid1(VALU_DEP_1)
	v_add_nc_u64_e32 v[14:15], v[14:15], v[28:29]
	flat_load_b64 v[32:33], v[30:31]
	s_wait_loadcnt_dscnt 0x0
	v_pk_mul_f32 v[42:43], v[32:33], v[36:37]
	v_pk_fma_f32 v[46:47], v[32:33], v[40:41], v[42:43] op_sel:[0,0,1] op_sel_hi:[1,1,0]
	v_pk_fma_f32 v[32:33], v[32:33], v[40:41], v[42:43] op_sel:[0,0,1] op_sel_hi:[1,1,0] neg_lo:[0,0,1] neg_hi:[0,0,1]
	v_mov_b32_e32 v25, v45
	v_add_nc_u64_e32 v[42:43], v[26:27], v[28:29]
	v_lshl_add_u64 v[26:27], s[28:29], 3, v[26:27]
	v_mov_b32_e32 v33, v47
	s_delay_alu instid0(VALU_DEP_2) | instskip(NEXT) | instid1(VALU_DEP_2)
	v_add_nc_u64_e32 v[26:27], v[26:27], v[28:29]
	v_pk_add_f32 v[24:25], v[24:25], v[32:33]
	v_mov_b32_e32 v28, v12
	flat_store_b64 v[42:43], v[24:25]
	flat_load_b64 v[24:25], v[30:31] offset:128
	s_wait_xcnt 0x0
	v_pk_mul_f32 v[30:31], v[20:21], v[34:35] op_sel_hi:[0,1]
	s_delay_alu instid0(VALU_DEP_1) | instskip(SKIP_3) | instid1(VALU_DEP_1)
	v_pk_fma_f32 v[44:45], v[18:19], v[38:39], v[30:31] op_sel_hi:[0,1,1]
	v_pk_fma_f32 v[30:31], v[18:19], v[38:39], v[30:31] neg_lo:[0,0,1] neg_hi:[0,0,1]
	s_wait_loadcnt_dscnt 0x0
	v_pk_mul_f32 v[32:33], v[24:25], v[36:37]
	v_pk_fma_f32 v[46:47], v[24:25], v[40:41], v[32:33] op_sel:[0,0,1] op_sel_hi:[1,1,0]
	v_pk_fma_f32 v[24:25], v[24:25], v[40:41], v[32:33] op_sel:[0,0,1] op_sel_hi:[1,1,0] neg_lo:[0,0,1] neg_hi:[0,0,1]
	s_delay_alu instid0(VALU_DEP_2) | instskip(NEXT) | instid1(VALU_DEP_1)
	v_dual_mov_b32 v31, v45 :: v_dual_mov_b32 v25, v47
	v_pk_add_f32 v[24:25], v[30:31], v[24:25]
	v_pk_mul_f32 v[30:31], v[16:17], v[34:35] op_sel_hi:[0,1]
	v_mul_f32_e32 v16, s22, v12
	flat_store_b64 v[42:43], v[24:25] offset:128
	flat_load_b64 v[24:25], v[14:15]
	v_pk_fma_f32 v[34:35], v[2:3], v[38:39], v[30:31] op_sel_hi:[0,1,1]
	v_pk_fma_f32 v[30:31], v[2:3], v[38:39], v[30:31] neg_lo:[0,0,1] neg_hi:[0,0,1]
	v_fma_f32 v16, -v13, s6, v16
	s_wait_loadcnt_dscnt 0x0
	v_pk_mul_f32 v[32:33], v[24:25], v[36:37]
	s_delay_alu instid0(VALU_DEP_1) | instskip(SKIP_1) | instid1(VALU_DEP_2)
	v_pk_fma_f32 v[36:37], v[24:25], v[40:41], v[32:33] op_sel:[0,0,1] op_sel_hi:[1,1,0]
	v_pk_fma_f32 v[24:25], v[24:25], v[40:41], v[32:33] op_sel:[0,0,1] op_sel_hi:[1,1,0] neg_lo:[0,0,1] neg_hi:[0,0,1]
	v_dual_mov_b32 v31, v35 :: v_dual_mov_b32 v25, v37
	s_delay_alu instid0(VALU_DEP_1)
	v_pk_add_f32 v[24:25], v[30:31], v[24:25]
	flat_store_b64 v[26:27], v[24:25]
	flat_load_b64 v[14:15], v[14:15] offset:128
	s_wait_xcnt 0x1
	v_mov_b64_e32 v[24:25], s[36:37]
	s_wait_loadcnt_dscnt 0x0
	v_dual_mul_f32 v2, s35, v15 :: v_dual_mov_b32 v29, v14
	s_delay_alu instid0(VALU_DEP_1) | instskip(SKIP_1) | instid1(VALU_DEP_1)
	v_fma_f32 v2, v14, s34, -v2
	s_wait_xcnt 0x0
	v_dual_mov_b32 v14, v13 :: v_dual_add_f32 v2, v16, v2
	s_delay_alu instid0(VALU_DEP_1) | instskip(SKIP_4) | instid1(VALU_DEP_2)
	v_pk_mul_f32 v[14:15], v[14:15], v[24:25]
	v_mov_b64_e32 v[24:25], s[8:9]
	flat_store_b32 v[26:27], v2 offset:128
	v_pk_fma_f32 v[12:13], v[28:29], v[24:25], v[14:15]
	v_add_nc_u64_e32 v[28:29], 0x80, v[26:27]
	v_add_f32_e32 v25, v12, v13
	s_branch .LBB238_2
.LBB238_10:
	s_sendmsg sendmsg(MSG_DEALLOC_VGPRS)
	s_endpgm
	.section	.rodata,"a",@progbits
	.p2align	6, 0x0
	.amdhsa_kernel _ZN12_GLOBAL__N_127rocblas_gemm_batched_kernelI19rocblas_complex_numIfELi16ELi16ELi32ELi32ELi8ELi32ELi8ELi8ELi32ELc67ELc84EKPKS2_S5_KPS2_EEvlllT_PT11_llSA_llS8_PT12_llPT13_lli
		.amdhsa_group_segment_fixed_size 4096
		.amdhsa_private_segment_fixed_size 0
		.amdhsa_kernarg_size 140
		.amdhsa_user_sgpr_count 2
		.amdhsa_user_sgpr_dispatch_ptr 0
		.amdhsa_user_sgpr_queue_ptr 0
		.amdhsa_user_sgpr_kernarg_segment_ptr 1
		.amdhsa_user_sgpr_dispatch_id 0
		.amdhsa_user_sgpr_kernarg_preload_length 0
		.amdhsa_user_sgpr_kernarg_preload_offset 0
		.amdhsa_user_sgpr_private_segment_size 0
		.amdhsa_wavefront_size32 1
		.amdhsa_uses_dynamic_stack 0
		.amdhsa_enable_private_segment 0
		.amdhsa_system_sgpr_workgroup_id_x 1
		.amdhsa_system_sgpr_workgroup_id_y 1
		.amdhsa_system_sgpr_workgroup_id_z 1
		.amdhsa_system_sgpr_workgroup_info 0
		.amdhsa_system_vgpr_workitem_id 1
		.amdhsa_next_free_vgpr 121
		.amdhsa_next_free_sgpr 44
		.amdhsa_named_barrier_count 0
		.amdhsa_reserve_vcc 1
		.amdhsa_float_round_mode_32 0
		.amdhsa_float_round_mode_16_64 0
		.amdhsa_float_denorm_mode_32 3
		.amdhsa_float_denorm_mode_16_64 3
		.amdhsa_fp16_overflow 0
		.amdhsa_memory_ordered 1
		.amdhsa_forward_progress 1
		.amdhsa_inst_pref_size 23
		.amdhsa_round_robin_scheduling 0
		.amdhsa_exception_fp_ieee_invalid_op 0
		.amdhsa_exception_fp_denorm_src 0
		.amdhsa_exception_fp_ieee_div_zero 0
		.amdhsa_exception_fp_ieee_overflow 0
		.amdhsa_exception_fp_ieee_underflow 0
		.amdhsa_exception_fp_ieee_inexact 0
		.amdhsa_exception_int_div_zero 0
	.end_amdhsa_kernel
	.section	.text._ZN12_GLOBAL__N_127rocblas_gemm_batched_kernelI19rocblas_complex_numIfELi16ELi16ELi32ELi32ELi8ELi32ELi8ELi8ELi32ELc67ELc84EKPKS2_S5_KPS2_EEvlllT_PT11_llSA_llS8_PT12_llPT13_lli,"axG",@progbits,_ZN12_GLOBAL__N_127rocblas_gemm_batched_kernelI19rocblas_complex_numIfELi16ELi16ELi32ELi32ELi8ELi32ELi8ELi8ELi32ELc67ELc84EKPKS2_S5_KPS2_EEvlllT_PT11_llSA_llS8_PT12_llPT13_lli,comdat
.Lfunc_end238:
	.size	_ZN12_GLOBAL__N_127rocblas_gemm_batched_kernelI19rocblas_complex_numIfELi16ELi16ELi32ELi32ELi8ELi32ELi8ELi8ELi32ELc67ELc84EKPKS2_S5_KPS2_EEvlllT_PT11_llSA_llS8_PT12_llPT13_lli, .Lfunc_end238-_ZN12_GLOBAL__N_127rocblas_gemm_batched_kernelI19rocblas_complex_numIfELi16ELi16ELi32ELi32ELi8ELi32ELi8ELi8ELi32ELc67ELc84EKPKS2_S5_KPS2_EEvlllT_PT11_llSA_llS8_PT12_llPT13_lli
                                        ; -- End function
	.set _ZN12_GLOBAL__N_127rocblas_gemm_batched_kernelI19rocblas_complex_numIfELi16ELi16ELi32ELi32ELi8ELi32ELi8ELi8ELi32ELc67ELc84EKPKS2_S5_KPS2_EEvlllT_PT11_llSA_llS8_PT12_llPT13_lli.num_vgpr, 121
	.set _ZN12_GLOBAL__N_127rocblas_gemm_batched_kernelI19rocblas_complex_numIfELi16ELi16ELi32ELi32ELi8ELi32ELi8ELi8ELi32ELc67ELc84EKPKS2_S5_KPS2_EEvlllT_PT11_llSA_llS8_PT12_llPT13_lli.num_agpr, 0
	.set _ZN12_GLOBAL__N_127rocblas_gemm_batched_kernelI19rocblas_complex_numIfELi16ELi16ELi32ELi32ELi8ELi32ELi8ELi8ELi32ELc67ELc84EKPKS2_S5_KPS2_EEvlllT_PT11_llSA_llS8_PT12_llPT13_lli.numbered_sgpr, 44
	.set _ZN12_GLOBAL__N_127rocblas_gemm_batched_kernelI19rocblas_complex_numIfELi16ELi16ELi32ELi32ELi8ELi32ELi8ELi8ELi32ELc67ELc84EKPKS2_S5_KPS2_EEvlllT_PT11_llSA_llS8_PT12_llPT13_lli.num_named_barrier, 0
	.set _ZN12_GLOBAL__N_127rocblas_gemm_batched_kernelI19rocblas_complex_numIfELi16ELi16ELi32ELi32ELi8ELi32ELi8ELi8ELi32ELc67ELc84EKPKS2_S5_KPS2_EEvlllT_PT11_llSA_llS8_PT12_llPT13_lli.private_seg_size, 0
	.set _ZN12_GLOBAL__N_127rocblas_gemm_batched_kernelI19rocblas_complex_numIfELi16ELi16ELi32ELi32ELi8ELi32ELi8ELi8ELi32ELc67ELc84EKPKS2_S5_KPS2_EEvlllT_PT11_llSA_llS8_PT12_llPT13_lli.uses_vcc, 1
	.set _ZN12_GLOBAL__N_127rocblas_gemm_batched_kernelI19rocblas_complex_numIfELi16ELi16ELi32ELi32ELi8ELi32ELi8ELi8ELi32ELc67ELc84EKPKS2_S5_KPS2_EEvlllT_PT11_llSA_llS8_PT12_llPT13_lli.uses_flat_scratch, 1
	.set _ZN12_GLOBAL__N_127rocblas_gemm_batched_kernelI19rocblas_complex_numIfELi16ELi16ELi32ELi32ELi8ELi32ELi8ELi8ELi32ELc67ELc84EKPKS2_S5_KPS2_EEvlllT_PT11_llSA_llS8_PT12_llPT13_lli.has_dyn_sized_stack, 0
	.set _ZN12_GLOBAL__N_127rocblas_gemm_batched_kernelI19rocblas_complex_numIfELi16ELi16ELi32ELi32ELi8ELi32ELi8ELi8ELi32ELc67ELc84EKPKS2_S5_KPS2_EEvlllT_PT11_llSA_llS8_PT12_llPT13_lli.has_recursion, 0
	.set _ZN12_GLOBAL__N_127rocblas_gemm_batched_kernelI19rocblas_complex_numIfELi16ELi16ELi32ELi32ELi8ELi32ELi8ELi8ELi32ELc67ELc84EKPKS2_S5_KPS2_EEvlllT_PT11_llSA_llS8_PT12_llPT13_lli.has_indirect_call, 0
	.section	.AMDGPU.csdata,"",@progbits
; Kernel info:
; codeLenInByte = 2916
; TotalNumSgprs: 46
; NumVgprs: 121
; ScratchSize: 0
; MemoryBound: 0
; FloatMode: 240
; IeeeMode: 1
; LDSByteSize: 4096 bytes/workgroup (compile time only)
; SGPRBlocks: 0
; VGPRBlocks: 7
; NumSGPRsForWavesPerEU: 46
; NumVGPRsForWavesPerEU: 121
; NamedBarCnt: 0
; Occupancy: 8
; WaveLimiterHint : 1
; COMPUTE_PGM_RSRC2:SCRATCH_EN: 0
; COMPUTE_PGM_RSRC2:USER_SGPR: 2
; COMPUTE_PGM_RSRC2:TRAP_HANDLER: 0
; COMPUTE_PGM_RSRC2:TGID_X_EN: 1
; COMPUTE_PGM_RSRC2:TGID_Y_EN: 1
; COMPUTE_PGM_RSRC2:TGID_Z_EN: 1
; COMPUTE_PGM_RSRC2:TIDIG_COMP_CNT: 1
	.section	.text._ZN12_GLOBAL__N_127rocblas_gemm_batched_kernelI19rocblas_complex_numIfELi16ELi16ELi32ELi32ELi8ELi32ELi8ELi8ELi32ELc78ELc67EKPKS2_S5_KPS2_EEvlllT_PT11_llSA_llS8_PT12_llPT13_lli,"axG",@progbits,_ZN12_GLOBAL__N_127rocblas_gemm_batched_kernelI19rocblas_complex_numIfELi16ELi16ELi32ELi32ELi8ELi32ELi8ELi8ELi32ELc78ELc67EKPKS2_S5_KPS2_EEvlllT_PT11_llSA_llS8_PT12_llPT13_lli,comdat
	.globl	_ZN12_GLOBAL__N_127rocblas_gemm_batched_kernelI19rocblas_complex_numIfELi16ELi16ELi32ELi32ELi8ELi32ELi8ELi8ELi32ELc78ELc67EKPKS2_S5_KPS2_EEvlllT_PT11_llSA_llS8_PT12_llPT13_lli ; -- Begin function _ZN12_GLOBAL__N_127rocblas_gemm_batched_kernelI19rocblas_complex_numIfELi16ELi16ELi32ELi32ELi8ELi32ELi8ELi8ELi32ELc78ELc67EKPKS2_S5_KPS2_EEvlllT_PT11_llSA_llS8_PT12_llPT13_lli
	.p2align	8
	.type	_ZN12_GLOBAL__N_127rocblas_gemm_batched_kernelI19rocblas_complex_numIfELi16ELi16ELi32ELi32ELi8ELi32ELi8ELi8ELi32ELc78ELc67EKPKS2_S5_KPS2_EEvlllT_PT11_llSA_llS8_PT12_llPT13_lli,@function
_ZN12_GLOBAL__N_127rocblas_gemm_batched_kernelI19rocblas_complex_numIfELi16ELi16ELi32ELi32ELi8ELi32ELi8ELi8ELi32ELc78ELc67EKPKS2_S5_KPS2_EEvlllT_PT11_llSA_llS8_PT12_llPT13_lli: ; @_ZN12_GLOBAL__N_127rocblas_gemm_batched_kernelI19rocblas_complex_numIfELi16ELi16ELi32ELi32ELi8ELi32ELi8ELi8ELi32ELc78ELc67EKPKS2_S5_KPS2_EEvlllT_PT11_llSA_llS8_PT12_llPT13_lli
; %bb.0:
	s_load_b32 s33, s[0:1], 0x88
	s_bfe_u32 s2, ttmp6, 0x40014
	s_lshr_b32 s3, ttmp7, 16
	s_add_co_i32 s2, s2, 1
	s_bfe_u32 s4, ttmp6, 0x40008
	s_mul_i32 s2, s3, s2
	s_getreg_b32 s12, hwreg(HW_REG_IB_STS2, 6, 4)
	s_add_co_i32 s4, s4, s2
	s_cmp_eq_u32 s12, 0
	s_cselect_b32 s2, s3, s4
	s_mov_b32 s3, 0
	s_wait_kmcnt 0x0
	s_cmp_ge_i32 s2, s33
	s_cbranch_scc1 .LBB239_10
; %bb.1:
	v_bfe_u32 v2, v0, 10, 10
	v_and_b32_e32 v6, 0x3ff, v0
	s_clause 0x1
	s_load_b256 s[4:11], s[0:1], 0x20
	s_load_b128 s[24:27], s[0:1], 0x40
	s_bfe_u32 s14, ttmp6, 0x4000c
	s_bfe_u32 s15, ttmp6, 0x40010
	s_add_co_i32 s14, s14, 1
	s_and_b32 s16, ttmp7, 0xffff
	s_add_co_i32 s15, s15, 1
	v_lshl_add_u32 v1, v2, 4, v6
	v_mov_b32_e32 v3, 0
	s_and_b32 s13, ttmp6, 15
	s_mul_i32 s14, ttmp9, s14
	s_mul_i32 s15, s16, s15
	s_bfe_u32 s17, ttmp6, 0x40004
	s_add_co_i32 s13, s13, s14
	s_add_co_i32 s17, s17, s15
	s_cmp_eq_u32 s12, 0
	v_dual_mov_b32 v5, v3 :: v_dual_lshrrev_b32 v4, 3, v1
	v_and_b32_e32 v0, 7, v0
	s_cselect_b32 s12, s16, s17
	s_cselect_b32 s36, ttmp9, s13
	s_lshl_b32 s38, s12, 5
	s_mov_b32 s39, s3
	s_clause 0x2
	s_load_b128 s[28:31], s[0:1], 0x78
	s_load_b128 s[20:23], s[0:1], 0x10
	s_load_b256 s[12:19], s[0:1], 0x58
	v_add_nc_u64_e32 v[8:9], s[38:39], v[4:5]
	v_dual_lshrrev_b32 v14, 5, v1 :: v_dual_bitop2_b32 v10, 31, v1 bitop3:0x40
	s_ashr_i32 s37, s36, 31
	v_dual_lshlrev_b32 v1, 3, v0 :: v_dual_mov_b32 v7, v3
	s_lshl_b64 s[36:37], s[36:37], 5
	s_wait_kmcnt 0x0
	s_delay_alu instid0(VALU_DEP_3)
	v_mad_nc_u64_u32 v[8:9], s24, v0, v[8:9]
	s_load_b64 s[34:35], s[0:1], 0x50
	v_mad_nc_u64_u32 v[12:13], s6, v14, s[36:37]
	v_lshl_or_b32 v1, v4, 6, v1
	v_add_nc_u64_e32 v[4:5], s[38:39], v[2:3]
	v_dual_lshlrev_b32 v15, 3, v10 :: v_dual_mov_b32 v11, v3
	v_lshl_add_u32 v23, v2, 6, 0x800
	s_delay_alu instid0(VALU_DEP_4) | instskip(NEXT) | instid1(VALU_DEP_3)
	v_add_nc_u32_e32 v19, 0x800, v1
	v_lshl_or_b32 v17, v14, 8, v15
	v_mad_u32 v9, s25, v0, v9
	v_mul_u64_e32 v[0:1], s[28:29], v[4:5]
	v_mul_u64_e32 v[4:5], s[14:15], v[4:5]
	v_mad_u32 v13, s7, v14, v13
	s_mov_b32 s38, s23
	s_mov_b32 s40, s22
	s_wait_kmcnt 0x0
	s_or_b32 s0, s34, s35
	s_delay_alu instid0(VALU_DEP_4) | instskip(SKIP_2) | instid1(VALU_DEP_2)
	v_lshlrev_b64_e32 v[8:9], 3, v[8:9]
	s_bitset0_b32 s0, 31
	s_mov_b32 s39, s35
	v_add_nc_u64_e32 v[10:11], v[12:13], v[10:11]
	s_cmp_eq_u32 s0, 0
	v_cmp_gt_i64_e64 s0, s[20:21], 0
	s_cselect_b32 s1, -1, 0
	v_lshl_add_u64 v[8:9], s[26:27], 3, v[8:9]
	v_lshlrev_b32_e32 v21, 3, v6
	v_add_nc_u64_e32 v[6:7], s[36:37], v[6:7]
	v_lshlrev_b64_e32 v[10:11], 3, v[10:11]
	s_mov_b32 s36, s23
	v_cndmask_b32_e64 v2, 0, 1, s0
	v_or_b32_e32 v8, 4, v8
	s_mov_b32 s37, s22
	s_lshl_b64 s[28:29], s[28:29], 4
	s_lshl_b64 s[14:15], s[14:15], 4
	v_lshl_add_u64 v[10:11], s[8:9], 3, v[10:11]
	v_cmp_ne_u32_e64 s0, 1, v2
	s_mov_b32 s41, s34
	s_mov_b32 s42, s34
	;; [unrolled: 1-line block ×5, first 2 shown]
	s_lshl_b64 s[6:7], s[6:7], 6
	s_lshl_b64 s[8:9], s[24:25], 6
	;; [unrolled: 1-line block ×4, first 2 shown]
	s_branch .LBB239_3
.LBB239_2:                              ;   in Loop: Header=BB239_3 Depth=1
	s_add_co_i32 s2, s2, 0x10000
	flat_store_b32 v[28:29], v25 offset:4
	s_cmp_lt_i32 s2, s33
	s_cbranch_scc0 .LBB239_10
.LBB239_3:                              ; =>This Loop Header: Depth=1
                                        ;     Child Loop BB239_5 Depth 2
	s_wait_xcnt 0x1
	v_dual_mov_b32 v2, s2 :: v_dual_mov_b32 v13, 0
	v_dual_mov_b32 v12, 0 :: v_dual_mov_b32 v22, 0
	;; [unrolled: 1-line block ×3, first 2 shown]
	s_clause 0x1
	global_load_b64 v[14:15], v2, s[12:13] scale_offset
	global_load_b64 v[26:27], v2, s[18:19] scale_offset
	s_wait_xcnt 0x0
	v_dual_mov_b32 v20, 0 :: v_dual_mov_b32 v2, 0
	v_mov_b32_e32 v16, 0
	s_and_b32 vcc_lo, exec_lo, s0
	s_cbranch_vccnz .LBB239_6
; %bb.4:                                ;   in Loop: Header=BB239_3 Depth=1
	s_lshl_b64 s[26:27], s[2:3], 3
	v_dual_mov_b32 v16, 0 :: v_dual_mov_b32 v2, 0
	s_add_nc_u64 s[30:31], s[4:5], s[26:27]
	s_add_nc_u64 s[26:27], s[10:11], s[26:27]
	s_clause 0x1
	global_load_b64 v[12:13], v3, s[30:31]
	global_load_b64 v[30:31], v3, s[26:27]
	v_dual_mov_b32 v20, 0 :: v_dual_mov_b32 v18, 0
	v_dual_mov_b32 v24, 0 :: v_dual_mov_b32 v22, 0
	s_wait_xcnt 0x0
	s_mov_b64 s[26:27], 0
	s_wait_loadcnt 0x1
	v_add_nc_u64_e32 v[28:29], v[12:13], v[10:11]
	s_wait_loadcnt 0x0
	v_add_nc_u64_e32 v[30:31], v[30:31], v[8:9]
	v_dual_mov_b32 v12, 0 :: v_dual_mov_b32 v13, v16
.LBB239_5:                              ;   Parent Loop BB239_3 Depth=1
                                        ; =>  This Inner Loop Header: Depth=2
	flat_load_b64 v[32:33], v[28:29]
	s_add_nc_u64 s[26:27], s[26:27], 8
	s_wait_xcnt 0x0
	v_add_nc_u64_e32 v[28:29], s[6:7], v[28:29]
	v_cmp_lt_i64_e64 s30, s[26:27], s[20:21]
	s_and_b32 vcc_lo, exec_lo, s30
	s_wait_loadcnt_dscnt 0x0
	ds_store_b64 v17, v[32:33]
	flat_load_b64 v[32:33], v[30:31] offset:-4
	s_wait_xcnt 0x0
	v_add_nc_u64_e32 v[30:31], s[8:9], v[30:31]
	s_wait_loadcnt_dscnt 0x0
	v_xor_b32_e32 v33, 0x80000000, v33
	ds_store_b64 v19, v[32:33]
	s_wait_dscnt 0x0
	s_barrier_signal -1
	s_barrier_wait -1
	ds_load_b128 v[32:35], v23
	ds_load_2addr_b64 v[36:39], v21 offset1:16
	ds_load_2addr_b64 v[40:43], v21 offset0:32 offset1:48
	ds_load_b128 v[44:47], v23 offset:16
	ds_load_b128 v[48:51], v23 offset:1024
	;; [unrolled: 1-line block ×3, first 2 shown]
	ds_load_2addr_b64 v[56:59], v21 offset0:64 offset1:80
	ds_load_2addr_b64 v[60:63], v21 offset0:96 offset1:112
	;; [unrolled: 1-line block ×4, first 2 shown]
	ds_load_b128 v[72:75], v23 offset:32
	ds_load_b128 v[76:79], v23 offset:48
	ds_load_2addr_b64 v[80:83], v21 offset0:192 offset1:208
	ds_load_2addr_b64 v[84:87], v21 offset0:224 offset1:240
	ds_load_b128 v[88:91], v23 offset:1056
	ds_load_b128 v[92:95], v23 offset:1072
	s_wait_dscnt 0x0
	s_barrier_signal -1
	s_barrier_wait -1
	v_dual_mul_f32 v25, v33, v37 :: v_dual_mul_f32 v100, v32, v37
	v_dual_mul_f32 v101, v33, v39 :: v_dual_mul_f32 v102, v32, v39
	v_dual_mul_f32 v107, v49, v37 :: v_dual_mul_f32 v108, v48, v37
	v_dual_mov_b32 v98, v51 :: v_dual_mov_b32 v99, v50
	v_dual_mul_f32 v103, v35, v41 :: v_dual_mul_f32 v104, v34, v41
	v_dual_mul_f32 v105, v35, v43 :: v_dual_mul_f32 v106, v34, v43
	v_pk_mul_f32 v[96:97], v[48:49], v[38:39] op_sel:[1,1] op_sel_hi:[0,1]
	v_dual_fma_f32 v25, v32, v36, -v25 :: v_dual_fmac_f32 v100, v33, v36
	v_dual_fma_f32 v107, v48, v36, -v107 :: v_dual_fmac_f32 v108, v49, v36
	v_pk_mul_f32 v[36:37], v[98:99], v[42:43] op_sel:[0,1]
	v_dual_mul_f32 v109, v51, v41 :: v_dual_mul_f32 v110, v50, v41
	v_dual_fma_f32 v101, v32, v38, -v101 :: v_dual_fmac_f32 v102, v33, v38
	v_dual_fma_f32 v103, v34, v40, -v103 :: v_dual_fmac_f32 v104, v35, v40
	;; [unrolled: 1-line block ×3, first 2 shown]
	v_pk_fma_f32 v[32:33], v[48:49], v[38:39], v[96:97] neg_lo:[0,0,1] neg_hi:[0,0,1]
	v_pk_fma_f32 v[34:35], v[48:49], v[38:39], v[96:97] op_sel_hi:[1,0,1]
	v_pk_fma_f32 v[38:39], v[50:51], v[42:43], v[36:37] neg_lo:[0,0,1] neg_hi:[0,0,1]
	v_pk_fma_f32 v[36:37], v[50:51], v[42:43], v[36:37] op_sel_hi:[1,0,1]
	v_dual_mov_b32 v42, v55 :: v_dual_mov_b32 v43, v54
	v_dual_mul_f32 v111, v45, v57 :: v_dual_mul_f32 v112, v44, v57
	v_dual_mul_f32 v113, v45, v59 :: v_dual_mul_f32 v114, v44, v59
	;; [unrolled: 1-line block ×5, first 2 shown]
	v_dual_fma_f32 v96, v50, v40, -v109 :: v_dual_fmac_f32 v110, v51, v40
	v_pk_mul_f32 v[40:41], v[52:53], v[58:59] op_sel:[1,1] op_sel_hi:[0,1]
	v_pk_mul_f32 v[42:43], v[42:43], v[62:63] op_sel:[0,1]
	v_dual_mul_f32 v39, v73, v65 :: v_dual_mul_f32 v98, v72, v65
	v_dual_fma_f32 v99, v44, v56, -v111 :: v_dual_fmac_f32 v112, v45, v56
	v_dual_fma_f32 v109, v44, v58, -v113 :: v_dual_fmac_f32 v114, v45, v58
	;; [unrolled: 1-line block ×4, first 2 shown]
	v_dual_mul_f32 v57, v73, v67 :: v_dual_mul_f32 v115, v72, v67
	v_dual_fma_f32 v117, v52, v56, -v33 :: v_dual_fmac_f32 v34, v53, v56
	v_mul_f32_e32 v33, v75, v69
	v_pk_fma_f32 v[44:45], v[52:53], v[58:59], v[40:41] neg_lo:[0,0,1] neg_hi:[0,0,1]
	v_pk_fma_f32 v[40:41], v[52:53], v[58:59], v[40:41] op_sel_hi:[1,0,1]
	v_pk_fma_f32 v[46:47], v[54:55], v[62:63], v[42:43] neg_lo:[0,0,1] neg_hi:[0,0,1]
	v_pk_fma_f32 v[42:43], v[54:55], v[62:63], v[42:43] op_sel_hi:[1,0,1]
	v_dual_mov_b32 v50, v91 :: v_dual_mov_b32 v51, v90
	v_dual_mul_f32 v40, v74, v69 :: v_dual_mul_f32 v42, v75, v71
	v_dual_mul_f32 v119, v74, v71 :: v_dual_mul_f32 v45, v89, v65
	v_mul_f32_e32 v65, v88, v65
	v_dual_fma_f32 v120, v72, v64, -v39 :: v_dual_fmac_f32 v98, v73, v64
	v_dual_fma_f32 v72, v72, v66, -v57 :: v_dual_fmac_f32 v115, v73, v66
	v_dual_fma_f32 v73, v74, v68, -v33 :: v_dual_fmac_f32 v40, v75, v68
	v_dual_mul_f32 v33, v91, v69 :: v_dual_mul_f32 v69, v90, v69
	v_dual_mul_f32 v36, v55, v61 :: v_dual_mul_f32 v97, v54, v61
	v_pk_mul_f32 v[50:51], v[50:51], v[70:71] op_sel:[0,1]
	v_dual_fma_f32 v42, v74, v70, -v42 :: v_dual_fmac_f32 v119, v75, v70
	v_dual_fma_f32 v74, v88, v64, -v45 :: v_dual_mul_f32 v39, v77, v81
	v_fmac_f32_e32 v65, v89, v64
	v_dual_fma_f32 v64, v90, v68, -v33 :: v_dual_mul_f32 v33, v77, v83
	v_dual_fma_f32 v36, v54, v60, -v36 :: v_dual_fmac_f32 v97, v55, v60
	v_pk_mul_f32 v[48:49], v[88:89], v[66:67] op_sel:[1,1] op_sel_hi:[0,1]
	v_pk_fma_f32 v[54:55], v[90:91], v[70:71], v[50:51] neg_lo:[0,0,1] neg_hi:[0,0,1]
	v_pk_fma_f32 v[50:51], v[90:91], v[70:71], v[50:51] op_sel_hi:[1,0,1]
	v_pk_mul_f32 v[56:57], v[92:93], v[82:83] op_sel:[1,1] op_sel_hi:[0,1]
	v_dual_fmac_f32 v69, v91, v68 :: v_dual_mul_f32 v50, v76, v83
	v_dual_mul_f32 v45, v79, v85 :: v_dual_mul_f32 v47, v79, v87
	v_dual_fma_f32 v71, v76, v82, -v33 :: v_dual_mul_f32 v33, v95, v85
	v_pk_fma_f32 v[52:53], v[88:89], v[66:67], v[48:49] neg_lo:[0,0,1] neg_hi:[0,0,1]
	v_pk_fma_f32 v[48:49], v[88:89], v[66:67], v[48:49] op_sel_hi:[1,0,1]
	v_pk_fma_f32 v[58:59], v[92:93], v[82:83], v[56:57] neg_lo:[0,0,1] neg_hi:[0,0,1]
	v_pk_fma_f32 v[56:57], v[92:93], v[82:83], v[56:57] op_sel_hi:[1,0,1]
	v_mul_f32_e32 v48, v76, v81
	v_dual_mul_f32 v66, v78, v85 :: v_dual_mul_f32 v67, v78, v87
	v_dual_mul_f32 v53, v93, v81 :: v_dual_mul_f32 v68, v92, v81
	s_delay_alu instid0(VALU_DEP_3) | instskip(NEXT) | instid1(VALU_DEP_3)
	v_dual_fma_f32 v70, v76, v80, -v39 :: v_dual_fmac_f32 v48, v77, v80
	v_dual_fma_f32 v75, v78, v84, -v45 :: v_dual_fmac_f32 v66, v79, v84
	v_fma_f32 v76, v78, v86, -v47
	v_dual_mul_f32 v56, v94, v85 :: v_dual_fma_f32 v78, v94, v84, -v33
	v_dual_add_f32 v2, v2, v107 :: v_dual_mov_b32 v33, v35
	v_dual_add_f32 v22, v22, v25 :: v_dual_add_f32 v24, v24, v100
	v_dual_add_f32 v18, v18, v101 :: v_dual_add_f32 v20, v20, v102
	v_dual_add_f32 v16, v16, v108 :: v_dual_mov_b32 v45, v41
	s_delay_alu instid0(VALU_DEP_4) | instskip(SKIP_4) | instid1(VALU_DEP_4)
	v_pk_add_f32 v[12:13], v[12:13], v[32:33]
	v_dual_mov_b32 v39, v37 :: v_dual_mov_b32 v47, v43
	v_dual_add_f32 v22, v22, v103 :: v_dual_add_f32 v24, v24, v104
	v_dual_add_f32 v18, v18, v105 :: v_dual_add_f32 v20, v20, v106
	;; [unrolled: 1-line block ×3, first 2 shown]
	v_pk_add_f32 v[12:13], v[12:13], v[38:39]
	v_dual_mov_b32 v60, v95 :: v_dual_mov_b32 v61, v94
	v_dual_add_f32 v22, v22, v99 :: v_dual_add_f32 v24, v24, v112
	v_dual_add_f32 v18, v18, v109 :: v_dual_add_f32 v20, v20, v114
	;; [unrolled: 1-line block ×3, first 2 shown]
	v_pk_add_f32 v[12:13], v[12:13], v[44:45]
	v_dual_fmac_f32 v50, v77, v82 :: v_dual_fma_f32 v77, v92, v80, -v53
	v_pk_mul_f32 v[60:61], v[60:61], v[86:87] op_sel:[0,1]
	v_dual_mov_b32 v53, v49 :: v_dual_mov_b32 v59, v57
	v_dual_add_f32 v22, v22, v111 :: v_dual_add_f32 v24, v24, v116
	v_dual_add_f32 v18, v18, v113 :: v_dual_add_f32 v20, v20, v118
	;; [unrolled: 1-line block ×3, first 2 shown]
	v_pk_add_f32 v[12:13], v[12:13], v[46:47]
	v_pk_fma_f32 v[62:63], v[94:95], v[86:87], v[60:61] neg_lo:[0,0,1] neg_hi:[0,0,1]
	v_pk_fma_f32 v[60:61], v[94:95], v[86:87], v[60:61] op_sel_hi:[1,0,1]
	v_dual_mov_b32 v55, v51 :: v_dual_add_f32 v22, v22, v120
	v_dual_add_f32 v24, v24, v98 :: v_dual_add_f32 v18, v18, v72
	v_dual_add_f32 v20, v20, v115 :: v_dual_add_f32 v2, v2, v74
	v_add_f32_e32 v16, v16, v65
	v_pk_add_f32 v[12:13], v[12:13], v[52:53]
	v_dual_fmac_f32 v67, v79, v86 :: v_dual_fmac_f32 v68, v93, v80
	v_dual_mov_b32 v63, v61 :: v_dual_add_f32 v22, v22, v73
	v_dual_add_f32 v24, v24, v40 :: v_dual_add_f32 v18, v18, v42
	v_dual_add_f32 v20, v20, v119 :: v_dual_add_f32 v2, v2, v64
	v_add_f32_e32 v16, v16, v69
	v_pk_add_f32 v[12:13], v[12:13], v[54:55]
	v_dual_fmac_f32 v56, v95, v84 :: v_dual_add_f32 v22, v22, v70
	v_dual_add_f32 v24, v24, v48 :: v_dual_add_f32 v18, v18, v71
	v_dual_add_f32 v20, v20, v50 :: v_dual_add_f32 v2, v2, v77
	v_add_f32_e32 v16, v16, v68
	v_pk_add_f32 v[12:13], v[12:13], v[58:59]
	s_delay_alu instid0(VALU_DEP_4) | instskip(NEXT) | instid1(VALU_DEP_4)
	v_dual_add_f32 v22, v22, v75 :: v_dual_add_f32 v24, v24, v66
	v_dual_add_f32 v18, v18, v76 :: v_dual_add_f32 v20, v20, v67
	s_delay_alu instid0(VALU_DEP_4) | instskip(NEXT) | instid1(VALU_DEP_4)
	v_dual_add_f32 v2, v2, v78 :: v_dual_add_f32 v16, v16, v56
	v_pk_add_f32 v[12:13], v[12:13], v[62:63]
	s_cbranch_vccnz .LBB239_5
.LBB239_6:                              ;   in Loop: Header=BB239_3 Depth=1
	s_wait_loadcnt 0x0
	v_add_nc_u64_e32 v[26:27], s[24:25], v[26:27]
	s_and_not1_b32 vcc_lo, exec_lo, s1
	s_mov_b32 s26, -1
                                        ; implicit-def: $vgpr25
                                        ; implicit-def: $vgpr28_vgpr29
	s_cbranch_vccz .LBB239_8
; %bb.7:                                ;   in Loop: Header=BB239_3 Depth=1
	s_and_not1_b32 vcc_lo, exec_lo, s26
	s_cbranch_vccnz .LBB239_2
	s_branch .LBB239_9
.LBB239_8:                              ;   in Loop: Header=BB239_3 Depth=1
	v_mov_b64_e32 v[28:29], s[36:37]
	s_delay_alu instid0(VALU_DEP_2) | instskip(SKIP_2) | instid1(VALU_DEP_3)
	v_lshl_add_u64 v[30:31], v[0:1], 3, v[26:27]
	v_mov_b64_e32 v[34:35], s[22:23]
	v_lshlrev_b64_e32 v[32:33], 3, v[6:7]
	v_lshl_add_u64 v[40:41], s[28:29], 3, v[30:31]
	v_pk_mul_f32 v[36:37], v[24:25], v[28:29] op_sel_hi:[0,1]
	v_pk_mul_f32 v[38:39], v[20:21], v[28:29] op_sel_hi:[0,1]
	;; [unrolled: 1-line block ×3, first 2 shown]
	v_add_nc_u64_e32 v[30:31], v[30:31], v[32:33]
	v_add_nc_u64_e32 v[32:33], v[40:41], v[32:33]
	v_pk_fma_f32 v[44:45], v[22:23], v[34:35], v[36:37] neg_lo:[0,0,1] neg_hi:[0,0,1]
	v_pk_fma_f32 v[36:37], v[22:23], v[34:35], v[36:37] op_sel_hi:[0,1,1]
	v_pk_fma_f32 v[46:47], v[18:19], v[34:35], v[38:39] neg_lo:[0,0,1] neg_hi:[0,0,1]
	v_pk_fma_f32 v[38:39], v[18:19], v[34:35], v[38:39] op_sel_hi:[0,1,1]
	v_pk_fma_f32 v[40:41], v[2:3], v[34:35], v[42:43] op_sel_hi:[0,1,1]
	s_delay_alu instid0(VALU_DEP_4)
	v_dual_mul_f32 v25, s22, v12 :: v_dual_mov_b32 v45, v37
	v_pk_mul_f32 v[36:37], v[12:13], v[28:29]
	v_add_nc_u64_e32 v[28:29], 0x80, v[32:33]
	v_pk_fma_f32 v[34:35], v[2:3], v[34:35], v[42:43] neg_lo:[0,0,1] neg_hi:[0,0,1]
	v_dual_mov_b32 v47, v39 :: v_dual_mov_b32 v35, v41
	v_fma_f32 v38, -v13, s36, v25
	v_add_f32_e32 v25, v36, v37
	s_clause 0x3
	flat_store_b64 v[30:31], v[44:45]
	flat_store_b64 v[30:31], v[46:47] offset:128
	flat_store_b64 v[32:33], v[34:35]
	flat_store_b32 v[32:33], v38 offset:128
	s_cbranch_execnz .LBB239_2
.LBB239_9:                              ;   in Loop: Header=BB239_3 Depth=1
	v_add_nc_u64_e32 v[14:15], s[16:17], v[14:15]
	v_lshlrev_b64_e32 v[28:29], 3, v[6:7]
	s_wait_xcnt 0x1
	v_mov_b64_e32 v[34:35], s[36:37]
	v_mov_b64_e32 v[36:37], s[44:45]
	s_wait_xcnt 0x0
	v_mov_b64_e32 v[38:39], s[22:23]
	v_mov_b64_e32 v[40:41], s[42:43]
	v_lshl_add_u64 v[26:27], v[0:1], 3, v[26:27]
	v_lshl_add_u64 v[14:15], v[4:5], 3, v[14:15]
	v_pk_mul_f32 v[24:25], v[24:25], v[34:35] op_sel_hi:[0,1]
	s_delay_alu instid0(VALU_DEP_2) | instskip(SKIP_1) | instid1(VALU_DEP_3)
	v_add_nc_u64_e32 v[30:31], v[14:15], v[28:29]
	v_lshl_add_u64 v[14:15], s[14:15], 3, v[14:15]
	v_pk_fma_f32 v[44:45], v[22:23], v[38:39], v[24:25] op_sel_hi:[0,1,1]
	v_pk_fma_f32 v[24:25], v[22:23], v[38:39], v[24:25] neg_lo:[0,0,1] neg_hi:[0,0,1]
	s_delay_alu instid0(VALU_DEP_3) | instskip(SKIP_3) | instid1(VALU_DEP_1)
	v_add_nc_u64_e32 v[14:15], v[14:15], v[28:29]
	flat_load_b64 v[32:33], v[30:31]
	s_wait_loadcnt_dscnt 0x0
	v_pk_mul_f32 v[42:43], v[32:33], v[36:37]
	v_pk_fma_f32 v[46:47], v[32:33], v[40:41], v[42:43] op_sel:[0,0,1] op_sel_hi:[1,1,0]
	v_pk_fma_f32 v[32:33], v[32:33], v[40:41], v[42:43] op_sel:[0,0,1] op_sel_hi:[1,1,0] neg_lo:[0,0,1] neg_hi:[0,0,1]
	v_mov_b32_e32 v25, v45
	v_add_nc_u64_e32 v[42:43], v[26:27], v[28:29]
	v_lshl_add_u64 v[26:27], s[28:29], 3, v[26:27]
	v_mov_b32_e32 v33, v47
	s_delay_alu instid0(VALU_DEP_2) | instskip(NEXT) | instid1(VALU_DEP_2)
	v_add_nc_u64_e32 v[26:27], v[26:27], v[28:29]
	v_pk_add_f32 v[24:25], v[24:25], v[32:33]
	v_mov_b32_e32 v28, v12
	flat_store_b64 v[42:43], v[24:25]
	flat_load_b64 v[24:25], v[30:31] offset:128
	s_wait_xcnt 0x0
	v_pk_mul_f32 v[30:31], v[20:21], v[34:35] op_sel_hi:[0,1]
	s_delay_alu instid0(VALU_DEP_1) | instskip(SKIP_3) | instid1(VALU_DEP_1)
	v_pk_fma_f32 v[44:45], v[18:19], v[38:39], v[30:31] op_sel_hi:[0,1,1]
	v_pk_fma_f32 v[30:31], v[18:19], v[38:39], v[30:31] neg_lo:[0,0,1] neg_hi:[0,0,1]
	s_wait_loadcnt_dscnt 0x0
	v_pk_mul_f32 v[32:33], v[24:25], v[36:37]
	v_pk_fma_f32 v[46:47], v[24:25], v[40:41], v[32:33] op_sel:[0,0,1] op_sel_hi:[1,1,0]
	v_pk_fma_f32 v[24:25], v[24:25], v[40:41], v[32:33] op_sel:[0,0,1] op_sel_hi:[1,1,0] neg_lo:[0,0,1] neg_hi:[0,0,1]
	s_delay_alu instid0(VALU_DEP_2) | instskip(NEXT) | instid1(VALU_DEP_1)
	v_dual_mov_b32 v31, v45 :: v_dual_mov_b32 v25, v47
	v_pk_add_f32 v[24:25], v[30:31], v[24:25]
	v_pk_mul_f32 v[30:31], v[16:17], v[34:35] op_sel_hi:[0,1]
	v_mul_f32_e32 v16, s22, v12
	flat_store_b64 v[42:43], v[24:25] offset:128
	flat_load_b64 v[24:25], v[14:15]
	v_pk_fma_f32 v[34:35], v[2:3], v[38:39], v[30:31] op_sel_hi:[0,1,1]
	v_pk_fma_f32 v[30:31], v[2:3], v[38:39], v[30:31] neg_lo:[0,0,1] neg_hi:[0,0,1]
	v_fma_f32 v16, -v13, s36, v16
	s_wait_loadcnt_dscnt 0x0
	v_pk_mul_f32 v[32:33], v[24:25], v[36:37]
	s_delay_alu instid0(VALU_DEP_1) | instskip(SKIP_1) | instid1(VALU_DEP_2)
	v_pk_fma_f32 v[36:37], v[24:25], v[40:41], v[32:33] op_sel:[0,0,1] op_sel_hi:[1,1,0]
	v_pk_fma_f32 v[24:25], v[24:25], v[40:41], v[32:33] op_sel:[0,0,1] op_sel_hi:[1,1,0] neg_lo:[0,0,1] neg_hi:[0,0,1]
	v_dual_mov_b32 v31, v35 :: v_dual_mov_b32 v25, v37
	s_delay_alu instid0(VALU_DEP_1)
	v_pk_add_f32 v[24:25], v[30:31], v[24:25]
	flat_store_b64 v[26:27], v[24:25]
	flat_load_b64 v[14:15], v[14:15] offset:128
	s_wait_xcnt 0x1
	v_mov_b64_e32 v[24:25], s[40:41]
	s_wait_loadcnt_dscnt 0x0
	v_dual_mul_f32 v2, s35, v15 :: v_dual_mov_b32 v29, v14
	s_delay_alu instid0(VALU_DEP_1) | instskip(SKIP_1) | instid1(VALU_DEP_1)
	v_fma_f32 v2, v14, s34, -v2
	s_wait_xcnt 0x0
	v_dual_mov_b32 v14, v13 :: v_dual_add_f32 v2, v16, v2
	s_delay_alu instid0(VALU_DEP_1) | instskip(SKIP_4) | instid1(VALU_DEP_2)
	v_pk_mul_f32 v[14:15], v[14:15], v[24:25]
	v_mov_b64_e32 v[24:25], s[38:39]
	flat_store_b32 v[26:27], v2 offset:128
	v_pk_fma_f32 v[12:13], v[28:29], v[24:25], v[14:15]
	v_add_nc_u64_e32 v[28:29], 0x80, v[26:27]
	v_add_f32_e32 v25, v12, v13
	s_branch .LBB239_2
.LBB239_10:
	s_sendmsg sendmsg(MSG_DEALLOC_VGPRS)
	s_endpgm
	.section	.rodata,"a",@progbits
	.p2align	6, 0x0
	.amdhsa_kernel _ZN12_GLOBAL__N_127rocblas_gemm_batched_kernelI19rocblas_complex_numIfELi16ELi16ELi32ELi32ELi8ELi32ELi8ELi8ELi32ELc78ELc67EKPKS2_S5_KPS2_EEvlllT_PT11_llSA_llS8_PT12_llPT13_lli
		.amdhsa_group_segment_fixed_size 4096
		.amdhsa_private_segment_fixed_size 0
		.amdhsa_kernarg_size 140
		.amdhsa_user_sgpr_count 2
		.amdhsa_user_sgpr_dispatch_ptr 0
		.amdhsa_user_sgpr_queue_ptr 0
		.amdhsa_user_sgpr_kernarg_segment_ptr 1
		.amdhsa_user_sgpr_dispatch_id 0
		.amdhsa_user_sgpr_kernarg_preload_length 0
		.amdhsa_user_sgpr_kernarg_preload_offset 0
		.amdhsa_user_sgpr_private_segment_size 0
		.amdhsa_wavefront_size32 1
		.amdhsa_uses_dynamic_stack 0
		.amdhsa_enable_private_segment 0
		.amdhsa_system_sgpr_workgroup_id_x 1
		.amdhsa_system_sgpr_workgroup_id_y 1
		.amdhsa_system_sgpr_workgroup_id_z 1
		.amdhsa_system_sgpr_workgroup_info 0
		.amdhsa_system_vgpr_workitem_id 1
		.amdhsa_next_free_vgpr 121
		.amdhsa_next_free_sgpr 46
		.amdhsa_named_barrier_count 0
		.amdhsa_reserve_vcc 1
		.amdhsa_float_round_mode_32 0
		.amdhsa_float_round_mode_16_64 0
		.amdhsa_float_denorm_mode_32 3
		.amdhsa_float_denorm_mode_16_64 3
		.amdhsa_fp16_overflow 0
		.amdhsa_memory_ordered 1
		.amdhsa_forward_progress 1
		.amdhsa_inst_pref_size 23
		.amdhsa_round_robin_scheduling 0
		.amdhsa_exception_fp_ieee_invalid_op 0
		.amdhsa_exception_fp_denorm_src 0
		.amdhsa_exception_fp_ieee_div_zero 0
		.amdhsa_exception_fp_ieee_overflow 0
		.amdhsa_exception_fp_ieee_underflow 0
		.amdhsa_exception_fp_ieee_inexact 0
		.amdhsa_exception_int_div_zero 0
	.end_amdhsa_kernel
	.section	.text._ZN12_GLOBAL__N_127rocblas_gemm_batched_kernelI19rocblas_complex_numIfELi16ELi16ELi32ELi32ELi8ELi32ELi8ELi8ELi32ELc78ELc67EKPKS2_S5_KPS2_EEvlllT_PT11_llSA_llS8_PT12_llPT13_lli,"axG",@progbits,_ZN12_GLOBAL__N_127rocblas_gemm_batched_kernelI19rocblas_complex_numIfELi16ELi16ELi32ELi32ELi8ELi32ELi8ELi8ELi32ELc78ELc67EKPKS2_S5_KPS2_EEvlllT_PT11_llSA_llS8_PT12_llPT13_lli,comdat
.Lfunc_end239:
	.size	_ZN12_GLOBAL__N_127rocblas_gemm_batched_kernelI19rocblas_complex_numIfELi16ELi16ELi32ELi32ELi8ELi32ELi8ELi8ELi32ELc78ELc67EKPKS2_S5_KPS2_EEvlllT_PT11_llSA_llS8_PT12_llPT13_lli, .Lfunc_end239-_ZN12_GLOBAL__N_127rocblas_gemm_batched_kernelI19rocblas_complex_numIfELi16ELi16ELi32ELi32ELi8ELi32ELi8ELi8ELi32ELc78ELc67EKPKS2_S5_KPS2_EEvlllT_PT11_llSA_llS8_PT12_llPT13_lli
                                        ; -- End function
	.set _ZN12_GLOBAL__N_127rocblas_gemm_batched_kernelI19rocblas_complex_numIfELi16ELi16ELi32ELi32ELi8ELi32ELi8ELi8ELi32ELc78ELc67EKPKS2_S5_KPS2_EEvlllT_PT11_llSA_llS8_PT12_llPT13_lli.num_vgpr, 121
	.set _ZN12_GLOBAL__N_127rocblas_gemm_batched_kernelI19rocblas_complex_numIfELi16ELi16ELi32ELi32ELi8ELi32ELi8ELi8ELi32ELc78ELc67EKPKS2_S5_KPS2_EEvlllT_PT11_llSA_llS8_PT12_llPT13_lli.num_agpr, 0
	.set _ZN12_GLOBAL__N_127rocblas_gemm_batched_kernelI19rocblas_complex_numIfELi16ELi16ELi32ELi32ELi8ELi32ELi8ELi8ELi32ELc78ELc67EKPKS2_S5_KPS2_EEvlllT_PT11_llSA_llS8_PT12_llPT13_lli.numbered_sgpr, 46
	.set _ZN12_GLOBAL__N_127rocblas_gemm_batched_kernelI19rocblas_complex_numIfELi16ELi16ELi32ELi32ELi8ELi32ELi8ELi8ELi32ELc78ELc67EKPKS2_S5_KPS2_EEvlllT_PT11_llSA_llS8_PT12_llPT13_lli.num_named_barrier, 0
	.set _ZN12_GLOBAL__N_127rocblas_gemm_batched_kernelI19rocblas_complex_numIfELi16ELi16ELi32ELi32ELi8ELi32ELi8ELi8ELi32ELc78ELc67EKPKS2_S5_KPS2_EEvlllT_PT11_llSA_llS8_PT12_llPT13_lli.private_seg_size, 0
	.set _ZN12_GLOBAL__N_127rocblas_gemm_batched_kernelI19rocblas_complex_numIfELi16ELi16ELi32ELi32ELi8ELi32ELi8ELi8ELi32ELc78ELc67EKPKS2_S5_KPS2_EEvlllT_PT11_llSA_llS8_PT12_llPT13_lli.uses_vcc, 1
	.set _ZN12_GLOBAL__N_127rocblas_gemm_batched_kernelI19rocblas_complex_numIfELi16ELi16ELi32ELi32ELi8ELi32ELi8ELi8ELi32ELc78ELc67EKPKS2_S5_KPS2_EEvlllT_PT11_llSA_llS8_PT12_llPT13_lli.uses_flat_scratch, 1
	.set _ZN12_GLOBAL__N_127rocblas_gemm_batched_kernelI19rocblas_complex_numIfELi16ELi16ELi32ELi32ELi8ELi32ELi8ELi8ELi32ELc78ELc67EKPKS2_S5_KPS2_EEvlllT_PT11_llSA_llS8_PT12_llPT13_lli.has_dyn_sized_stack, 0
	.set _ZN12_GLOBAL__N_127rocblas_gemm_batched_kernelI19rocblas_complex_numIfELi16ELi16ELi32ELi32ELi8ELi32ELi8ELi8ELi32ELc78ELc67EKPKS2_S5_KPS2_EEvlllT_PT11_llSA_llS8_PT12_llPT13_lli.has_recursion, 0
	.set _ZN12_GLOBAL__N_127rocblas_gemm_batched_kernelI19rocblas_complex_numIfELi16ELi16ELi32ELi32ELi8ELi32ELi8ELi8ELi32ELc78ELc67EKPKS2_S5_KPS2_EEvlllT_PT11_llSA_llS8_PT12_llPT13_lli.has_indirect_call, 0
	.section	.AMDGPU.csdata,"",@progbits
; Kernel info:
; codeLenInByte = 2920
; TotalNumSgprs: 48
; NumVgprs: 121
; ScratchSize: 0
; MemoryBound: 0
; FloatMode: 240
; IeeeMode: 1
; LDSByteSize: 4096 bytes/workgroup (compile time only)
; SGPRBlocks: 0
; VGPRBlocks: 7
; NumSGPRsForWavesPerEU: 48
; NumVGPRsForWavesPerEU: 121
; NamedBarCnt: 0
; Occupancy: 8
; WaveLimiterHint : 1
; COMPUTE_PGM_RSRC2:SCRATCH_EN: 0
; COMPUTE_PGM_RSRC2:USER_SGPR: 2
; COMPUTE_PGM_RSRC2:TRAP_HANDLER: 0
; COMPUTE_PGM_RSRC2:TGID_X_EN: 1
; COMPUTE_PGM_RSRC2:TGID_Y_EN: 1
; COMPUTE_PGM_RSRC2:TGID_Z_EN: 1
; COMPUTE_PGM_RSRC2:TIDIG_COMP_CNT: 1
	.section	.text._ZN12_GLOBAL__N_127rocblas_gemm_batched_kernelI19rocblas_complex_numIfELi16ELi16ELi32ELi32ELi8ELi32ELi8ELi8ELi32ELc84ELc67EKPKS2_S5_KPS2_EEvlllT_PT11_llSA_llS8_PT12_llPT13_lli,"axG",@progbits,_ZN12_GLOBAL__N_127rocblas_gemm_batched_kernelI19rocblas_complex_numIfELi16ELi16ELi32ELi32ELi8ELi32ELi8ELi8ELi32ELc84ELc67EKPKS2_S5_KPS2_EEvlllT_PT11_llSA_llS8_PT12_llPT13_lli,comdat
	.globl	_ZN12_GLOBAL__N_127rocblas_gemm_batched_kernelI19rocblas_complex_numIfELi16ELi16ELi32ELi32ELi8ELi32ELi8ELi8ELi32ELc84ELc67EKPKS2_S5_KPS2_EEvlllT_PT11_llSA_llS8_PT12_llPT13_lli ; -- Begin function _ZN12_GLOBAL__N_127rocblas_gemm_batched_kernelI19rocblas_complex_numIfELi16ELi16ELi32ELi32ELi8ELi32ELi8ELi8ELi32ELc84ELc67EKPKS2_S5_KPS2_EEvlllT_PT11_llSA_llS8_PT12_llPT13_lli
	.p2align	8
	.type	_ZN12_GLOBAL__N_127rocblas_gemm_batched_kernelI19rocblas_complex_numIfELi16ELi16ELi32ELi32ELi8ELi32ELi8ELi8ELi32ELc84ELc67EKPKS2_S5_KPS2_EEvlllT_PT11_llSA_llS8_PT12_llPT13_lli,@function
_ZN12_GLOBAL__N_127rocblas_gemm_batched_kernelI19rocblas_complex_numIfELi16ELi16ELi32ELi32ELi8ELi32ELi8ELi8ELi32ELc84ELc67EKPKS2_S5_KPS2_EEvlllT_PT11_llSA_llS8_PT12_llPT13_lli: ; @_ZN12_GLOBAL__N_127rocblas_gemm_batched_kernelI19rocblas_complex_numIfELi16ELi16ELi32ELi32ELi8ELi32ELi8ELi8ELi32ELc84ELc67EKPKS2_S5_KPS2_EEvlllT_PT11_llSA_llS8_PT12_llPT13_lli
; %bb.0:
	s_load_b32 s33, s[0:1], 0x88
	s_bfe_u32 s2, ttmp6, 0x40014
	s_lshr_b32 s3, ttmp7, 16
	s_add_co_i32 s2, s2, 1
	s_bfe_u32 s4, ttmp6, 0x40008
	s_mul_i32 s2, s3, s2
	s_getreg_b32 s12, hwreg(HW_REG_IB_STS2, 6, 4)
	s_add_co_i32 s4, s4, s2
	s_cmp_eq_u32 s12, 0
	s_cselect_b32 s2, s3, s4
	s_mov_b32 s3, 0
	s_wait_kmcnt 0x0
	s_cmp_ge_i32 s2, s33
	s_cbranch_scc1 .LBB240_10
; %bb.1:
	s_bfe_u32 s13, ttmp6, 0x4000c
	s_bfe_u32 s15, ttmp6, 0x40010
	v_bfe_u32 v2, v0, 10, 10
	v_and_b32_e32 v6, 0x3ff, v0
	s_clause 0x1
	s_load_b256 s[4:11], s[0:1], 0x20
	s_load_b128 s[24:27], s[0:1], 0x78
	s_add_co_i32 s13, s13, 1
	s_and_b32 s16, ttmp7, 0xffff
	s_add_co_i32 s15, s15, 1
	s_and_b32 s14, ttmp6, 15
	s_mul_i32 s13, ttmp9, s13
	s_mul_i32 s15, s16, s15
	s_bfe_u32 s17, ttmp6, 0x40004
	s_clause 0x1
	s_load_b128 s[28:31], s[0:1], 0x40
	s_load_b64 s[34:35], s[0:1], 0x50
	v_lshl_add_u32 v7, v2, 4, v6
	s_add_co_i32 s14, s14, s13
	s_add_co_i32 s17, s17, s15
	v_mov_b32_e32 v3, 0
	s_cmp_eq_u32 s12, 0
	v_and_b32_e32 v12, 31, v7
	s_cselect_b32 s13, s16, s17
	s_cselect_b32 s12, ttmp9, s14
	s_lshl_b32 s36, s13, 5
	s_ashr_i32 s13, s12, 31
	v_dual_mov_b32 v5, v3 :: v_dual_lshrrev_b32 v4, 3, v7
	s_lshl_b64 s[38:39], s[12:13], 5
	s_load_b256 s[12:19], s[0:1], 0x58
	s_mov_b32 s37, s3
	v_dual_mov_b32 v1, s39 :: v_dual_bitop2_b32 v13, 7, v0 bitop3:0x40
	v_or_b32_e32 v0, s38, v12
	v_add_nc_u64_e32 v[8:9], s[36:37], v[4:5]
	s_load_b128 s[20:23], s[0:1], 0x10
	s_delay_alu instid0(VALU_DEP_3)
	v_dual_lshlrev_b32 v5, 3, v13 :: v_dual_lshrrev_b32 v14, 5, v7
	s_wait_kmcnt 0x0
	v_mul_u64_e32 v[10:11], s[6:7], v[0:1]
	v_lshlrev_b32_e32 v0, 3, v12
	s_or_b32 s0, s34, s35
	v_mad_nc_u64_u32 v[8:9], s28, v13, v[8:9]
	v_lshl_or_b32 v1, v4, 6, v5
	v_add_nc_u64_e32 v[4:5], s[36:37], v[2:3]
	v_lshl_or_b32 v17, v14, 8, v0
	s_bitset0_b32 s0, 31
	v_dual_mov_b32 v7, v3 :: v_dual_lshlrev_b32 v21, 3, v6
	v_add_nc_u32_e32 v19, 0x800, v1
	s_cmp_eq_u32 s0, 0
	s_delay_alu instid0(VALU_DEP_4)
	v_mul_u64_e32 v[0:1], s[24:25], v[4:5]
	v_mul_u64_e32 v[4:5], s[14:15], v[4:5]
	v_mad_u32 v9, s29, v13, v9
	s_cselect_b32 s1, -1, 0
	s_lshl_b64 s[8:9], s[8:9], 3
	v_cmp_gt_i64_e64 s0, s[20:21], 0
	v_lshl_add_u32 v23, v2, 6, 0x800
	v_add_nc_u64_e32 v[6:7], s[38:39], v[6:7]
	s_mov_b32 s6, s23
	s_mov_b32 s7, s22
	s_lshl_b64 s[24:25], s[24:25], 4
	s_lshl_b64 s[14:15], s[14:15], 4
	v_cndmask_b32_e64 v12, 0, 1, s0
	v_lshlrev_b64_e32 v[8:9], 3, v[8:9]
	s_mov_b32 s36, s23
	s_mov_b32 s37, s35
	;; [unrolled: 1-line block ×3, first 2 shown]
	v_cmp_ne_u32_e64 s0, 1, v12
	s_mov_b32 s39, s34
	s_mov_b32 s40, s34
	v_lshl_add_u64 v[10:11], v[10:11], 3, s[8:9]
	v_lshl_add_u64 v[8:9], s[30:31], 3, v[8:9]
	v_lshlrev_b32_e32 v2, 3, v14
	s_mov_b32 s41, s34
	s_mov_b32 s8, s35
	;; [unrolled: 1-line block ×3, first 2 shown]
	v_or_b32_e32 v8, 4, v8
	v_add_nc_u64_e32 v[10:11], v[10:11], v[2:3]
	s_lshl_b64 s[28:29], s[28:29], 6
	s_lshl_b64 s[26:27], s[26:27], 3
	;; [unrolled: 1-line block ×3, first 2 shown]
	s_branch .LBB240_3
.LBB240_2:                              ;   in Loop: Header=BB240_3 Depth=1
	s_add_co_i32 s2, s2, 0x10000
	flat_store_b32 v[28:29], v25 offset:4
	s_cmp_lt_i32 s2, s33
	s_cbranch_scc0 .LBB240_10
.LBB240_3:                              ; =>This Loop Header: Depth=1
                                        ;     Child Loop BB240_5 Depth 2
	s_wait_xcnt 0x1
	v_dual_mov_b32 v2, s2 :: v_dual_mov_b32 v13, 0
	v_dual_mov_b32 v12, 0 :: v_dual_mov_b32 v22, 0
	;; [unrolled: 1-line block ×3, first 2 shown]
	s_clause 0x1
	global_load_b64 v[14:15], v2, s[12:13] scale_offset
	global_load_b64 v[26:27], v2, s[18:19] scale_offset
	s_wait_xcnt 0x0
	v_dual_mov_b32 v20, 0 :: v_dual_mov_b32 v2, 0
	v_mov_b32_e32 v16, 0
	s_and_b32 vcc_lo, exec_lo, s0
	s_cbranch_vccnz .LBB240_6
; %bb.4:                                ;   in Loop: Header=BB240_3 Depth=1
	s_lshl_b64 s[30:31], s[2:3], 3
	v_dual_mov_b32 v16, 0 :: v_dual_mov_b32 v2, 0
	s_add_nc_u64 s[42:43], s[4:5], s[30:31]
	s_add_nc_u64 s[30:31], s[10:11], s[30:31]
	s_clause 0x1
	global_load_b64 v[12:13], v3, s[42:43]
	global_load_b64 v[30:31], v3, s[30:31]
	v_dual_mov_b32 v20, 0 :: v_dual_mov_b32 v18, 0
	v_dual_mov_b32 v24, 0 :: v_dual_mov_b32 v22, 0
	s_wait_xcnt 0x0
	s_mov_b64 s[30:31], 0
	s_wait_loadcnt 0x1
	v_add_nc_u64_e32 v[28:29], v[12:13], v[10:11]
	s_wait_loadcnt 0x0
	v_add_nc_u64_e32 v[30:31], v[30:31], v[8:9]
	v_dual_mov_b32 v12, 0 :: v_dual_mov_b32 v13, v16
.LBB240_5:                              ;   Parent Loop BB240_3 Depth=1
                                        ; =>  This Inner Loop Header: Depth=2
	flat_load_b64 v[32:33], v[28:29]
	s_add_nc_u64 s[30:31], s[30:31], 8
	s_wait_xcnt 0x0
	v_add_nc_u64_e32 v[28:29], 64, v[28:29]
	v_cmp_lt_i64_e64 s42, s[30:31], s[20:21]
	s_and_b32 vcc_lo, exec_lo, s42
	s_wait_loadcnt_dscnt 0x0
	ds_store_b64 v17, v[32:33]
	flat_load_b64 v[32:33], v[30:31] offset:-4
	s_wait_xcnt 0x0
	v_add_nc_u64_e32 v[30:31], s[28:29], v[30:31]
	s_wait_loadcnt_dscnt 0x0
	v_xor_b32_e32 v33, 0x80000000, v33
	ds_store_b64 v19, v[32:33]
	s_wait_dscnt 0x0
	s_barrier_signal -1
	s_barrier_wait -1
	ds_load_b128 v[32:35], v23
	ds_load_2addr_b64 v[36:39], v21 offset1:16
	ds_load_2addr_b64 v[40:43], v21 offset0:32 offset1:48
	ds_load_b128 v[44:47], v23 offset:16
	ds_load_b128 v[48:51], v23 offset:1024
	;; [unrolled: 1-line block ×3, first 2 shown]
	ds_load_2addr_b64 v[56:59], v21 offset0:64 offset1:80
	ds_load_2addr_b64 v[60:63], v21 offset0:96 offset1:112
	;; [unrolled: 1-line block ×4, first 2 shown]
	ds_load_b128 v[72:75], v23 offset:32
	ds_load_b128 v[76:79], v23 offset:48
	ds_load_2addr_b64 v[80:83], v21 offset0:192 offset1:208
	ds_load_2addr_b64 v[84:87], v21 offset0:224 offset1:240
	ds_load_b128 v[88:91], v23 offset:1056
	ds_load_b128 v[92:95], v23 offset:1072
	s_wait_dscnt 0x0
	s_barrier_signal -1
	s_barrier_wait -1
	v_dual_mul_f32 v25, v33, v37 :: v_dual_mul_f32 v100, v32, v37
	v_dual_mul_f32 v101, v33, v39 :: v_dual_mul_f32 v102, v32, v39
	;; [unrolled: 1-line block ×3, first 2 shown]
	v_dual_mov_b32 v98, v51 :: v_dual_mov_b32 v99, v50
	v_dual_mul_f32 v103, v35, v41 :: v_dual_mul_f32 v104, v34, v41
	v_dual_mul_f32 v105, v35, v43 :: v_dual_mul_f32 v106, v34, v43
	v_pk_mul_f32 v[96:97], v[48:49], v[38:39] op_sel:[1,1] op_sel_hi:[0,1]
	v_dual_fma_f32 v25, v32, v36, -v25 :: v_dual_fmac_f32 v100, v33, v36
	v_dual_fma_f32 v107, v48, v36, -v107 :: v_dual_fmac_f32 v108, v49, v36
	v_pk_mul_f32 v[36:37], v[98:99], v[42:43] op_sel:[0,1]
	v_dual_mul_f32 v109, v51, v41 :: v_dual_mul_f32 v110, v50, v41
	v_dual_fma_f32 v101, v32, v38, -v101 :: v_dual_fmac_f32 v102, v33, v38
	v_dual_fma_f32 v103, v34, v40, -v103 :: v_dual_fmac_f32 v104, v35, v40
	v_dual_fma_f32 v105, v34, v42, -v105 :: v_dual_fmac_f32 v106, v35, v42
	v_pk_fma_f32 v[32:33], v[48:49], v[38:39], v[96:97] neg_lo:[0,0,1] neg_hi:[0,0,1]
	v_pk_fma_f32 v[34:35], v[48:49], v[38:39], v[96:97] op_sel_hi:[1,0,1]
	v_pk_fma_f32 v[38:39], v[50:51], v[42:43], v[36:37] neg_lo:[0,0,1] neg_hi:[0,0,1]
	v_pk_fma_f32 v[36:37], v[50:51], v[42:43], v[36:37] op_sel_hi:[1,0,1]
	v_dual_mov_b32 v42, v55 :: v_dual_mov_b32 v43, v54
	v_dual_mul_f32 v111, v45, v57 :: v_dual_mul_f32 v112, v44, v57
	v_dual_mul_f32 v113, v45, v59 :: v_dual_mul_f32 v114, v44, v59
	;; [unrolled: 1-line block ×5, first 2 shown]
	v_dual_fma_f32 v96, v50, v40, -v109 :: v_dual_fmac_f32 v110, v51, v40
	v_pk_mul_f32 v[40:41], v[52:53], v[58:59] op_sel:[1,1] op_sel_hi:[0,1]
	v_pk_mul_f32 v[42:43], v[42:43], v[62:63] op_sel:[0,1]
	v_dual_mul_f32 v39, v73, v65 :: v_dual_mul_f32 v98, v72, v65
	v_dual_fma_f32 v99, v44, v56, -v111 :: v_dual_fmac_f32 v112, v45, v56
	v_dual_fma_f32 v109, v44, v58, -v113 :: v_dual_fmac_f32 v114, v45, v58
	;; [unrolled: 1-line block ×4, first 2 shown]
	v_dual_mul_f32 v57, v73, v67 :: v_dual_mul_f32 v115, v72, v67
	v_dual_fma_f32 v117, v52, v56, -v33 :: v_dual_fmac_f32 v34, v53, v56
	v_mul_f32_e32 v33, v75, v69
	v_pk_fma_f32 v[44:45], v[52:53], v[58:59], v[40:41] neg_lo:[0,0,1] neg_hi:[0,0,1]
	v_pk_fma_f32 v[40:41], v[52:53], v[58:59], v[40:41] op_sel_hi:[1,0,1]
	v_pk_fma_f32 v[46:47], v[54:55], v[62:63], v[42:43] neg_lo:[0,0,1] neg_hi:[0,0,1]
	v_pk_fma_f32 v[42:43], v[54:55], v[62:63], v[42:43] op_sel_hi:[1,0,1]
	v_dual_mov_b32 v50, v91 :: v_dual_mov_b32 v51, v90
	v_dual_mul_f32 v40, v74, v69 :: v_dual_mul_f32 v42, v75, v71
	v_dual_mul_f32 v119, v74, v71 :: v_dual_mul_f32 v45, v89, v65
	v_mul_f32_e32 v65, v88, v65
	v_dual_fma_f32 v120, v72, v64, -v39 :: v_dual_fmac_f32 v98, v73, v64
	v_dual_fma_f32 v72, v72, v66, -v57 :: v_dual_fmac_f32 v115, v73, v66
	v_dual_fma_f32 v73, v74, v68, -v33 :: v_dual_fmac_f32 v40, v75, v68
	v_dual_mul_f32 v33, v91, v69 :: v_dual_mul_f32 v69, v90, v69
	v_dual_mul_f32 v36, v55, v61 :: v_dual_mul_f32 v97, v54, v61
	v_pk_mul_f32 v[50:51], v[50:51], v[70:71] op_sel:[0,1]
	v_dual_fma_f32 v42, v74, v70, -v42 :: v_dual_fmac_f32 v119, v75, v70
	v_dual_fma_f32 v74, v88, v64, -v45 :: v_dual_mul_f32 v39, v77, v81
	v_fmac_f32_e32 v65, v89, v64
	v_dual_fma_f32 v64, v90, v68, -v33 :: v_dual_mul_f32 v33, v77, v83
	v_dual_fma_f32 v36, v54, v60, -v36 :: v_dual_fmac_f32 v97, v55, v60
	v_pk_mul_f32 v[48:49], v[88:89], v[66:67] op_sel:[1,1] op_sel_hi:[0,1]
	v_pk_fma_f32 v[54:55], v[90:91], v[70:71], v[50:51] neg_lo:[0,0,1] neg_hi:[0,0,1]
	v_pk_fma_f32 v[50:51], v[90:91], v[70:71], v[50:51] op_sel_hi:[1,0,1]
	v_pk_mul_f32 v[56:57], v[92:93], v[82:83] op_sel:[1,1] op_sel_hi:[0,1]
	v_dual_fmac_f32 v69, v91, v68 :: v_dual_mul_f32 v50, v76, v83
	v_dual_mul_f32 v45, v79, v85 :: v_dual_mul_f32 v47, v79, v87
	v_dual_fma_f32 v71, v76, v82, -v33 :: v_dual_mul_f32 v33, v95, v85
	v_pk_fma_f32 v[52:53], v[88:89], v[66:67], v[48:49] neg_lo:[0,0,1] neg_hi:[0,0,1]
	v_pk_fma_f32 v[48:49], v[88:89], v[66:67], v[48:49] op_sel_hi:[1,0,1]
	v_pk_fma_f32 v[58:59], v[92:93], v[82:83], v[56:57] neg_lo:[0,0,1] neg_hi:[0,0,1]
	v_pk_fma_f32 v[56:57], v[92:93], v[82:83], v[56:57] op_sel_hi:[1,0,1]
	v_mul_f32_e32 v48, v76, v81
	v_dual_mul_f32 v66, v78, v85 :: v_dual_mul_f32 v67, v78, v87
	v_dual_mul_f32 v53, v93, v81 :: v_dual_mul_f32 v68, v92, v81
	s_delay_alu instid0(VALU_DEP_3) | instskip(NEXT) | instid1(VALU_DEP_3)
	v_dual_fma_f32 v70, v76, v80, -v39 :: v_dual_fmac_f32 v48, v77, v80
	v_dual_fma_f32 v75, v78, v84, -v45 :: v_dual_fmac_f32 v66, v79, v84
	v_fma_f32 v76, v78, v86, -v47
	v_dual_mul_f32 v56, v94, v85 :: v_dual_fma_f32 v78, v94, v84, -v33
	v_dual_add_f32 v2, v2, v107 :: v_dual_mov_b32 v33, v35
	v_dual_add_f32 v22, v22, v25 :: v_dual_add_f32 v24, v24, v100
	v_dual_add_f32 v18, v18, v101 :: v_dual_add_f32 v20, v20, v102
	v_dual_add_f32 v16, v16, v108 :: v_dual_mov_b32 v45, v41
	s_delay_alu instid0(VALU_DEP_4) | instskip(SKIP_4) | instid1(VALU_DEP_4)
	v_pk_add_f32 v[12:13], v[12:13], v[32:33]
	v_dual_mov_b32 v39, v37 :: v_dual_mov_b32 v47, v43
	v_dual_add_f32 v22, v22, v103 :: v_dual_add_f32 v24, v24, v104
	v_dual_add_f32 v18, v18, v105 :: v_dual_add_f32 v20, v20, v106
	;; [unrolled: 1-line block ×3, first 2 shown]
	v_pk_add_f32 v[12:13], v[12:13], v[38:39]
	v_dual_mov_b32 v60, v95 :: v_dual_mov_b32 v61, v94
	v_dual_add_f32 v22, v22, v99 :: v_dual_add_f32 v24, v24, v112
	v_dual_add_f32 v18, v18, v109 :: v_dual_add_f32 v20, v20, v114
	;; [unrolled: 1-line block ×3, first 2 shown]
	v_pk_add_f32 v[12:13], v[12:13], v[44:45]
	v_dual_fmac_f32 v50, v77, v82 :: v_dual_fma_f32 v77, v92, v80, -v53
	v_pk_mul_f32 v[60:61], v[60:61], v[86:87] op_sel:[0,1]
	v_dual_mov_b32 v53, v49 :: v_dual_mov_b32 v59, v57
	v_dual_add_f32 v22, v22, v111 :: v_dual_add_f32 v24, v24, v116
	v_dual_add_f32 v18, v18, v113 :: v_dual_add_f32 v20, v20, v118
	;; [unrolled: 1-line block ×3, first 2 shown]
	v_pk_add_f32 v[12:13], v[12:13], v[46:47]
	v_pk_fma_f32 v[62:63], v[94:95], v[86:87], v[60:61] neg_lo:[0,0,1] neg_hi:[0,0,1]
	v_pk_fma_f32 v[60:61], v[94:95], v[86:87], v[60:61] op_sel_hi:[1,0,1]
	v_dual_mov_b32 v55, v51 :: v_dual_add_f32 v22, v22, v120
	v_dual_add_f32 v24, v24, v98 :: v_dual_add_f32 v18, v18, v72
	v_dual_add_f32 v20, v20, v115 :: v_dual_add_f32 v2, v2, v74
	v_add_f32_e32 v16, v16, v65
	v_pk_add_f32 v[12:13], v[12:13], v[52:53]
	v_dual_fmac_f32 v67, v79, v86 :: v_dual_fmac_f32 v68, v93, v80
	v_dual_mov_b32 v63, v61 :: v_dual_add_f32 v22, v22, v73
	v_dual_add_f32 v24, v24, v40 :: v_dual_add_f32 v18, v18, v42
	v_dual_add_f32 v20, v20, v119 :: v_dual_add_f32 v2, v2, v64
	v_add_f32_e32 v16, v16, v69
	v_pk_add_f32 v[12:13], v[12:13], v[54:55]
	v_dual_fmac_f32 v56, v95, v84 :: v_dual_add_f32 v22, v22, v70
	v_dual_add_f32 v24, v24, v48 :: v_dual_add_f32 v18, v18, v71
	v_dual_add_f32 v20, v20, v50 :: v_dual_add_f32 v2, v2, v77
	v_add_f32_e32 v16, v16, v68
	v_pk_add_f32 v[12:13], v[12:13], v[58:59]
	s_delay_alu instid0(VALU_DEP_4) | instskip(NEXT) | instid1(VALU_DEP_4)
	v_dual_add_f32 v22, v22, v75 :: v_dual_add_f32 v24, v24, v66
	v_dual_add_f32 v18, v18, v76 :: v_dual_add_f32 v20, v20, v67
	s_delay_alu instid0(VALU_DEP_4) | instskip(NEXT) | instid1(VALU_DEP_4)
	v_dual_add_f32 v2, v2, v78 :: v_dual_add_f32 v16, v16, v56
	v_pk_add_f32 v[12:13], v[12:13], v[62:63]
	s_cbranch_vccnz .LBB240_5
.LBB240_6:                              ;   in Loop: Header=BB240_3 Depth=1
	s_wait_loadcnt 0x0
	v_add_nc_u64_e32 v[26:27], s[26:27], v[26:27]
	s_and_not1_b32 vcc_lo, exec_lo, s1
	s_mov_b32 s30, -1
                                        ; implicit-def: $vgpr25
                                        ; implicit-def: $vgpr28_vgpr29
	s_cbranch_vccz .LBB240_8
; %bb.7:                                ;   in Loop: Header=BB240_3 Depth=1
	s_and_not1_b32 vcc_lo, exec_lo, s30
	s_cbranch_vccnz .LBB240_2
	s_branch .LBB240_9
.LBB240_8:                              ;   in Loop: Header=BB240_3 Depth=1
	v_mov_b64_e32 v[28:29], s[6:7]
	s_delay_alu instid0(VALU_DEP_2) | instskip(SKIP_2) | instid1(VALU_DEP_3)
	v_lshl_add_u64 v[30:31], v[0:1], 3, v[26:27]
	v_mov_b64_e32 v[34:35], s[22:23]
	v_lshlrev_b64_e32 v[32:33], 3, v[6:7]
	v_lshl_add_u64 v[40:41], s[24:25], 3, v[30:31]
	v_pk_mul_f32 v[36:37], v[24:25], v[28:29] op_sel_hi:[0,1]
	v_pk_mul_f32 v[38:39], v[20:21], v[28:29] op_sel_hi:[0,1]
	;; [unrolled: 1-line block ×3, first 2 shown]
	v_add_nc_u64_e32 v[30:31], v[30:31], v[32:33]
	v_add_nc_u64_e32 v[32:33], v[40:41], v[32:33]
	v_pk_fma_f32 v[44:45], v[22:23], v[34:35], v[36:37] neg_lo:[0,0,1] neg_hi:[0,0,1]
	v_pk_fma_f32 v[36:37], v[22:23], v[34:35], v[36:37] op_sel_hi:[0,1,1]
	v_pk_fma_f32 v[46:47], v[18:19], v[34:35], v[38:39] neg_lo:[0,0,1] neg_hi:[0,0,1]
	v_pk_fma_f32 v[38:39], v[18:19], v[34:35], v[38:39] op_sel_hi:[0,1,1]
	v_pk_fma_f32 v[40:41], v[2:3], v[34:35], v[42:43] op_sel_hi:[0,1,1]
	s_delay_alu instid0(VALU_DEP_4)
	v_dual_mul_f32 v25, s22, v12 :: v_dual_mov_b32 v45, v37
	v_pk_mul_f32 v[36:37], v[12:13], v[28:29]
	v_add_nc_u64_e32 v[28:29], 0x80, v[32:33]
	v_pk_fma_f32 v[34:35], v[2:3], v[34:35], v[42:43] neg_lo:[0,0,1] neg_hi:[0,0,1]
	v_dual_mov_b32 v47, v39 :: v_dual_mov_b32 v35, v41
	v_fma_f32 v38, -v13, s6, v25
	v_add_f32_e32 v25, v36, v37
	s_clause 0x3
	flat_store_b64 v[30:31], v[44:45]
	flat_store_b64 v[30:31], v[46:47] offset:128
	flat_store_b64 v[32:33], v[34:35]
	flat_store_b32 v[32:33], v38 offset:128
	s_cbranch_execnz .LBB240_2
.LBB240_9:                              ;   in Loop: Header=BB240_3 Depth=1
	v_add_nc_u64_e32 v[14:15], s[16:17], v[14:15]
	v_lshlrev_b64_e32 v[28:29], 3, v[6:7]
	s_wait_xcnt 0x1
	v_mov_b64_e32 v[34:35], s[6:7]
	v_mov_b64_e32 v[36:37], s[8:9]
	s_wait_xcnt 0x0
	v_mov_b64_e32 v[38:39], s[22:23]
	v_mov_b64_e32 v[40:41], s[40:41]
	v_lshl_add_u64 v[26:27], v[0:1], 3, v[26:27]
	v_lshl_add_u64 v[14:15], v[4:5], 3, v[14:15]
	v_pk_mul_f32 v[24:25], v[24:25], v[34:35] op_sel_hi:[0,1]
	s_delay_alu instid0(VALU_DEP_2) | instskip(SKIP_1) | instid1(VALU_DEP_3)
	v_add_nc_u64_e32 v[30:31], v[14:15], v[28:29]
	v_lshl_add_u64 v[14:15], s[14:15], 3, v[14:15]
	v_pk_fma_f32 v[44:45], v[22:23], v[38:39], v[24:25] op_sel_hi:[0,1,1]
	v_pk_fma_f32 v[24:25], v[22:23], v[38:39], v[24:25] neg_lo:[0,0,1] neg_hi:[0,0,1]
	s_delay_alu instid0(VALU_DEP_3) | instskip(SKIP_3) | instid1(VALU_DEP_1)
	v_add_nc_u64_e32 v[14:15], v[14:15], v[28:29]
	flat_load_b64 v[32:33], v[30:31]
	s_wait_loadcnt_dscnt 0x0
	v_pk_mul_f32 v[42:43], v[32:33], v[36:37]
	v_pk_fma_f32 v[46:47], v[32:33], v[40:41], v[42:43] op_sel:[0,0,1] op_sel_hi:[1,1,0]
	v_pk_fma_f32 v[32:33], v[32:33], v[40:41], v[42:43] op_sel:[0,0,1] op_sel_hi:[1,1,0] neg_lo:[0,0,1] neg_hi:[0,0,1]
	v_mov_b32_e32 v25, v45
	v_add_nc_u64_e32 v[42:43], v[26:27], v[28:29]
	v_lshl_add_u64 v[26:27], s[24:25], 3, v[26:27]
	v_mov_b32_e32 v33, v47
	s_delay_alu instid0(VALU_DEP_2) | instskip(NEXT) | instid1(VALU_DEP_2)
	v_add_nc_u64_e32 v[26:27], v[26:27], v[28:29]
	v_pk_add_f32 v[24:25], v[24:25], v[32:33]
	v_mov_b32_e32 v28, v12
	flat_store_b64 v[42:43], v[24:25]
	flat_load_b64 v[24:25], v[30:31] offset:128
	s_wait_xcnt 0x0
	v_pk_mul_f32 v[30:31], v[20:21], v[34:35] op_sel_hi:[0,1]
	s_delay_alu instid0(VALU_DEP_1) | instskip(SKIP_3) | instid1(VALU_DEP_1)
	v_pk_fma_f32 v[44:45], v[18:19], v[38:39], v[30:31] op_sel_hi:[0,1,1]
	v_pk_fma_f32 v[30:31], v[18:19], v[38:39], v[30:31] neg_lo:[0,0,1] neg_hi:[0,0,1]
	s_wait_loadcnt_dscnt 0x0
	v_pk_mul_f32 v[32:33], v[24:25], v[36:37]
	v_pk_fma_f32 v[46:47], v[24:25], v[40:41], v[32:33] op_sel:[0,0,1] op_sel_hi:[1,1,0]
	v_pk_fma_f32 v[24:25], v[24:25], v[40:41], v[32:33] op_sel:[0,0,1] op_sel_hi:[1,1,0] neg_lo:[0,0,1] neg_hi:[0,0,1]
	s_delay_alu instid0(VALU_DEP_2) | instskip(NEXT) | instid1(VALU_DEP_1)
	v_dual_mov_b32 v31, v45 :: v_dual_mov_b32 v25, v47
	v_pk_add_f32 v[24:25], v[30:31], v[24:25]
	v_pk_mul_f32 v[30:31], v[16:17], v[34:35] op_sel_hi:[0,1]
	v_mul_f32_e32 v16, s22, v12
	flat_store_b64 v[42:43], v[24:25] offset:128
	flat_load_b64 v[24:25], v[14:15]
	v_pk_fma_f32 v[34:35], v[2:3], v[38:39], v[30:31] op_sel_hi:[0,1,1]
	v_pk_fma_f32 v[30:31], v[2:3], v[38:39], v[30:31] neg_lo:[0,0,1] neg_hi:[0,0,1]
	v_fma_f32 v16, -v13, s6, v16
	s_wait_loadcnt_dscnt 0x0
	v_pk_mul_f32 v[32:33], v[24:25], v[36:37]
	s_delay_alu instid0(VALU_DEP_1) | instskip(SKIP_1) | instid1(VALU_DEP_2)
	v_pk_fma_f32 v[36:37], v[24:25], v[40:41], v[32:33] op_sel:[0,0,1] op_sel_hi:[1,1,0]
	v_pk_fma_f32 v[24:25], v[24:25], v[40:41], v[32:33] op_sel:[0,0,1] op_sel_hi:[1,1,0] neg_lo:[0,0,1] neg_hi:[0,0,1]
	v_dual_mov_b32 v31, v35 :: v_dual_mov_b32 v25, v37
	s_delay_alu instid0(VALU_DEP_1)
	v_pk_add_f32 v[24:25], v[30:31], v[24:25]
	flat_store_b64 v[26:27], v[24:25]
	flat_load_b64 v[14:15], v[14:15] offset:128
	s_wait_xcnt 0x1
	v_mov_b64_e32 v[24:25], s[38:39]
	s_wait_loadcnt_dscnt 0x0
	v_dual_mul_f32 v2, s35, v15 :: v_dual_mov_b32 v29, v14
	s_delay_alu instid0(VALU_DEP_1) | instskip(SKIP_1) | instid1(VALU_DEP_1)
	v_fma_f32 v2, v14, s34, -v2
	s_wait_xcnt 0x0
	v_dual_mov_b32 v14, v13 :: v_dual_add_f32 v2, v16, v2
	s_delay_alu instid0(VALU_DEP_1) | instskip(SKIP_4) | instid1(VALU_DEP_2)
	v_pk_mul_f32 v[14:15], v[14:15], v[24:25]
	v_mov_b64_e32 v[24:25], s[36:37]
	flat_store_b32 v[26:27], v2 offset:128
	v_pk_fma_f32 v[12:13], v[28:29], v[24:25], v[14:15]
	v_add_nc_u64_e32 v[28:29], 0x80, v[26:27]
	v_add_f32_e32 v25, v12, v13
	s_branch .LBB240_2
.LBB240_10:
	s_sendmsg sendmsg(MSG_DEALLOC_VGPRS)
	s_endpgm
	.section	.rodata,"a",@progbits
	.p2align	6, 0x0
	.amdhsa_kernel _ZN12_GLOBAL__N_127rocblas_gemm_batched_kernelI19rocblas_complex_numIfELi16ELi16ELi32ELi32ELi8ELi32ELi8ELi8ELi32ELc84ELc67EKPKS2_S5_KPS2_EEvlllT_PT11_llSA_llS8_PT12_llPT13_lli
		.amdhsa_group_segment_fixed_size 4096
		.amdhsa_private_segment_fixed_size 0
		.amdhsa_kernarg_size 140
		.amdhsa_user_sgpr_count 2
		.amdhsa_user_sgpr_dispatch_ptr 0
		.amdhsa_user_sgpr_queue_ptr 0
		.amdhsa_user_sgpr_kernarg_segment_ptr 1
		.amdhsa_user_sgpr_dispatch_id 0
		.amdhsa_user_sgpr_kernarg_preload_length 0
		.amdhsa_user_sgpr_kernarg_preload_offset 0
		.amdhsa_user_sgpr_private_segment_size 0
		.amdhsa_wavefront_size32 1
		.amdhsa_uses_dynamic_stack 0
		.amdhsa_enable_private_segment 0
		.amdhsa_system_sgpr_workgroup_id_x 1
		.amdhsa_system_sgpr_workgroup_id_y 1
		.amdhsa_system_sgpr_workgroup_id_z 1
		.amdhsa_system_sgpr_workgroup_info 0
		.amdhsa_system_vgpr_workitem_id 1
		.amdhsa_next_free_vgpr 121
		.amdhsa_next_free_sgpr 44
		.amdhsa_named_barrier_count 0
		.amdhsa_reserve_vcc 1
		.amdhsa_float_round_mode_32 0
		.amdhsa_float_round_mode_16_64 0
		.amdhsa_float_denorm_mode_32 3
		.amdhsa_float_denorm_mode_16_64 3
		.amdhsa_fp16_overflow 0
		.amdhsa_memory_ordered 1
		.amdhsa_forward_progress 1
		.amdhsa_inst_pref_size 23
		.amdhsa_round_robin_scheduling 0
		.amdhsa_exception_fp_ieee_invalid_op 0
		.amdhsa_exception_fp_denorm_src 0
		.amdhsa_exception_fp_ieee_div_zero 0
		.amdhsa_exception_fp_ieee_overflow 0
		.amdhsa_exception_fp_ieee_underflow 0
		.amdhsa_exception_fp_ieee_inexact 0
		.amdhsa_exception_int_div_zero 0
	.end_amdhsa_kernel
	.section	.text._ZN12_GLOBAL__N_127rocblas_gemm_batched_kernelI19rocblas_complex_numIfELi16ELi16ELi32ELi32ELi8ELi32ELi8ELi8ELi32ELc84ELc67EKPKS2_S5_KPS2_EEvlllT_PT11_llSA_llS8_PT12_llPT13_lli,"axG",@progbits,_ZN12_GLOBAL__N_127rocblas_gemm_batched_kernelI19rocblas_complex_numIfELi16ELi16ELi32ELi32ELi8ELi32ELi8ELi8ELi32ELc84ELc67EKPKS2_S5_KPS2_EEvlllT_PT11_llSA_llS8_PT12_llPT13_lli,comdat
.Lfunc_end240:
	.size	_ZN12_GLOBAL__N_127rocblas_gemm_batched_kernelI19rocblas_complex_numIfELi16ELi16ELi32ELi32ELi8ELi32ELi8ELi8ELi32ELc84ELc67EKPKS2_S5_KPS2_EEvlllT_PT11_llSA_llS8_PT12_llPT13_lli, .Lfunc_end240-_ZN12_GLOBAL__N_127rocblas_gemm_batched_kernelI19rocblas_complex_numIfELi16ELi16ELi32ELi32ELi8ELi32ELi8ELi8ELi32ELc84ELc67EKPKS2_S5_KPS2_EEvlllT_PT11_llSA_llS8_PT12_llPT13_lli
                                        ; -- End function
	.set _ZN12_GLOBAL__N_127rocblas_gemm_batched_kernelI19rocblas_complex_numIfELi16ELi16ELi32ELi32ELi8ELi32ELi8ELi8ELi32ELc84ELc67EKPKS2_S5_KPS2_EEvlllT_PT11_llSA_llS8_PT12_llPT13_lli.num_vgpr, 121
	.set _ZN12_GLOBAL__N_127rocblas_gemm_batched_kernelI19rocblas_complex_numIfELi16ELi16ELi32ELi32ELi8ELi32ELi8ELi8ELi32ELc84ELc67EKPKS2_S5_KPS2_EEvlllT_PT11_llSA_llS8_PT12_llPT13_lli.num_agpr, 0
	.set _ZN12_GLOBAL__N_127rocblas_gemm_batched_kernelI19rocblas_complex_numIfELi16ELi16ELi32ELi32ELi8ELi32ELi8ELi8ELi32ELc84ELc67EKPKS2_S5_KPS2_EEvlllT_PT11_llSA_llS8_PT12_llPT13_lli.numbered_sgpr, 44
	.set _ZN12_GLOBAL__N_127rocblas_gemm_batched_kernelI19rocblas_complex_numIfELi16ELi16ELi32ELi32ELi8ELi32ELi8ELi8ELi32ELc84ELc67EKPKS2_S5_KPS2_EEvlllT_PT11_llSA_llS8_PT12_llPT13_lli.num_named_barrier, 0
	.set _ZN12_GLOBAL__N_127rocblas_gemm_batched_kernelI19rocblas_complex_numIfELi16ELi16ELi32ELi32ELi8ELi32ELi8ELi8ELi32ELc84ELc67EKPKS2_S5_KPS2_EEvlllT_PT11_llSA_llS8_PT12_llPT13_lli.private_seg_size, 0
	.set _ZN12_GLOBAL__N_127rocblas_gemm_batched_kernelI19rocblas_complex_numIfELi16ELi16ELi32ELi32ELi8ELi32ELi8ELi8ELi32ELc84ELc67EKPKS2_S5_KPS2_EEvlllT_PT11_llSA_llS8_PT12_llPT13_lli.uses_vcc, 1
	.set _ZN12_GLOBAL__N_127rocblas_gemm_batched_kernelI19rocblas_complex_numIfELi16ELi16ELi32ELi32ELi8ELi32ELi8ELi8ELi32ELc84ELc67EKPKS2_S5_KPS2_EEvlllT_PT11_llSA_llS8_PT12_llPT13_lli.uses_flat_scratch, 1
	.set _ZN12_GLOBAL__N_127rocblas_gemm_batched_kernelI19rocblas_complex_numIfELi16ELi16ELi32ELi32ELi8ELi32ELi8ELi8ELi32ELc84ELc67EKPKS2_S5_KPS2_EEvlllT_PT11_llSA_llS8_PT12_llPT13_lli.has_dyn_sized_stack, 0
	.set _ZN12_GLOBAL__N_127rocblas_gemm_batched_kernelI19rocblas_complex_numIfELi16ELi16ELi32ELi32ELi8ELi32ELi8ELi8ELi32ELc84ELc67EKPKS2_S5_KPS2_EEvlllT_PT11_llSA_llS8_PT12_llPT13_lli.has_recursion, 0
	.set _ZN12_GLOBAL__N_127rocblas_gemm_batched_kernelI19rocblas_complex_numIfELi16ELi16ELi32ELi32ELi8ELi32ELi8ELi8ELi32ELc84ELc67EKPKS2_S5_KPS2_EEvlllT_PT11_llSA_llS8_PT12_llPT13_lli.has_indirect_call, 0
	.section	.AMDGPU.csdata,"",@progbits
; Kernel info:
; codeLenInByte = 2904
; TotalNumSgprs: 46
; NumVgprs: 121
; ScratchSize: 0
; MemoryBound: 0
; FloatMode: 240
; IeeeMode: 1
; LDSByteSize: 4096 bytes/workgroup (compile time only)
; SGPRBlocks: 0
; VGPRBlocks: 7
; NumSGPRsForWavesPerEU: 46
; NumVGPRsForWavesPerEU: 121
; NamedBarCnt: 0
; Occupancy: 8
; WaveLimiterHint : 1
; COMPUTE_PGM_RSRC2:SCRATCH_EN: 0
; COMPUTE_PGM_RSRC2:USER_SGPR: 2
; COMPUTE_PGM_RSRC2:TRAP_HANDLER: 0
; COMPUTE_PGM_RSRC2:TGID_X_EN: 1
; COMPUTE_PGM_RSRC2:TGID_Y_EN: 1
; COMPUTE_PGM_RSRC2:TGID_Z_EN: 1
; COMPUTE_PGM_RSRC2:TIDIG_COMP_CNT: 1
	.section	.text._ZN12_GLOBAL__N_135rocblas_gemm_batched_general_kernelI19rocblas_complex_numIfELi16ELi16ELi32ELi32ELi8ELi32ELi8ELi8ELi32ELc78ELc78EKPKS2_S5_KPS2_EEvlllT_PT11_llSA_llS8_PT12_llPT13_lli,"axG",@progbits,_ZN12_GLOBAL__N_135rocblas_gemm_batched_general_kernelI19rocblas_complex_numIfELi16ELi16ELi32ELi32ELi8ELi32ELi8ELi8ELi32ELc78ELc78EKPKS2_S5_KPS2_EEvlllT_PT11_llSA_llS8_PT12_llPT13_lli,comdat
	.globl	_ZN12_GLOBAL__N_135rocblas_gemm_batched_general_kernelI19rocblas_complex_numIfELi16ELi16ELi32ELi32ELi8ELi32ELi8ELi8ELi32ELc78ELc78EKPKS2_S5_KPS2_EEvlllT_PT11_llSA_llS8_PT12_llPT13_lli ; -- Begin function _ZN12_GLOBAL__N_135rocblas_gemm_batched_general_kernelI19rocblas_complex_numIfELi16ELi16ELi32ELi32ELi8ELi32ELi8ELi8ELi32ELc78ELc78EKPKS2_S5_KPS2_EEvlllT_PT11_llSA_llS8_PT12_llPT13_lli
	.p2align	8
	.type	_ZN12_GLOBAL__N_135rocblas_gemm_batched_general_kernelI19rocblas_complex_numIfELi16ELi16ELi32ELi32ELi8ELi32ELi8ELi8ELi32ELc78ELc78EKPKS2_S5_KPS2_EEvlllT_PT11_llSA_llS8_PT12_llPT13_lli,@function
_ZN12_GLOBAL__N_135rocblas_gemm_batched_general_kernelI19rocblas_complex_numIfELi16ELi16ELi32ELi32ELi8ELi32ELi8ELi8ELi32ELc78ELc78EKPKS2_S5_KPS2_EEvlllT_PT11_llSA_llS8_PT12_llPT13_lli: ; @_ZN12_GLOBAL__N_135rocblas_gemm_batched_general_kernelI19rocblas_complex_numIfELi16ELi16ELi32ELi32ELi8ELi32ELi8ELi8ELi32ELc78ELc78EKPKS2_S5_KPS2_EEvlllT_PT11_llSA_llS8_PT12_llPT13_lli
; %bb.0:
	s_load_b32 s33, s[0:1], 0x88
	s_bfe_u32 s2, ttmp6, 0x40014
	s_lshr_b32 s3, ttmp7, 16
	s_add_co_i32 s2, s2, 1
	s_bfe_u32 s5, ttmp6, 0x40008
	s_mul_i32 s4, s3, s2
	s_getreg_b32 s2, hwreg(HW_REG_IB_STS2, 6, 4)
	s_add_co_i32 s5, s5, s4
	s_cmp_eq_u32 s2, 0
	s_mov_b32 s35, 0
	s_cselect_b32 s34, s3, s5
	s_wait_kmcnt 0x0
	s_cmp_ge_i32 s34, s33
	s_cbranch_scc1 .LBB241_34
; %bb.1:
	v_bfe_u32 v10, v0, 10, 10
	v_and_b32_e32 v6, 0x3ff, v0
	s_clause 0x5
	s_load_b256 s[4:11], s[0:1], 0x0
	s_load_b256 s[12:19], s[0:1], 0x20
	s_load_b128 s[28:31], s[0:1], 0x78
	s_load_b256 s[20:27], s[0:1], 0x58
	s_load_b128 s[36:39], s[0:1], 0x40
	s_load_b64 s[40:41], s[0:1], 0x50
	s_wait_xcnt 0x0
	s_bfe_u32 s0, ttmp6, 0x4000c
	s_bfe_u32 s3, ttmp6, 0x40010
	s_add_co_i32 s0, s0, 1
	s_and_b32 s42, ttmp7, 0xffff
	s_add_co_i32 s3, s3, 1
	v_lshl_add_u32 v3, v10, 4, v6
	v_mov_b32_e32 v1, 0
	s_and_b32 s1, ttmp6, 15
	s_mul_i32 s0, ttmp9, s0
	s_mul_i32 s3, s42, s3
	s_bfe_u32 s43, ttmp6, 0x40004
	s_add_co_i32 s1, s1, s0
	s_add_co_i32 s43, s43, s3
	s_cmp_eq_u32 s2, 0
	v_and_b32_e32 v14, 31, v3
	v_dual_lshrrev_b32 v4, 3, v3 :: v_dual_bitop2_b32 v2, 7, v0 bitop3:0x40
	v_dual_mov_b32 v5, v1 :: v_dual_lshrrev_b32 v0, 5, v3
	s_cselect_b32 s0, s42, s43
	s_cselect_b32 s44, ttmp9, s1
	s_lshl_b32 s2, s0, 5
	s_mov_b32 s3, s35
	s_ashr_i32 s45, s44, 31
	v_add_nc_u64_e32 v[8:9], s[2:3], v[4:5]
	s_lshl_b64 s[42:43], s[44:45], 5
	v_dual_mov_b32 v11, v1 :: v_dual_mov_b32 v7, v1
	v_dual_mov_b32 v13, s43 :: v_dual_bitop2_b32 v12, s42, v14 bitop3:0x54
	v_dual_mov_b32 v17, v1 :: v_dual_lshlrev_b32 v16, 3, v2
	s_wait_kmcnt 0x0
	s_delay_alu instid0(VALU_DEP_4)
	v_mul_u64_e32 v[18:19], s[36:37], v[8:9]
	v_add_nc_u64_e32 v[20:21], s[2:3], v[10:11]
	v_cmp_gt_i64_e64 s0, s[4:5], v[12:13]
	v_mul_u64_e32 v[12:13], s[14:15], v[0:1]
	v_lshl_or_b32 v15, v4, 6, v16
	v_cmp_gt_i64_e64 s1, s[6:7], v[8:9]
	v_add_nc_u64_e32 v[4:5], s[42:43], v[6:7]
	v_lshlrev_b32_e32 v36, 3, v6
	v_mul_u64_e32 v[6:7], s[28:29], v[20:21]
	v_mul_u64_e32 v[8:9], s[22:23], v[20:21]
	s_or_b32 s2, s40, s41
	v_lshl_add_u32 v37, v10, 6, 0x800
	s_bitset0_b32 s2, 31
	v_add_nc_u64_e32 v[22:23], 16, v[4:5]
	v_add_nc_u64_e32 v[10:11], 16, v[20:21]
	s_cmp_eq_u32 s2, 0
	v_dual_mov_b32 v3, v1 :: v_dual_lshlrev_b32 v14, 3, v14
	s_cselect_b32 s42, -1, 0
	s_lshl_b64 s[44:45], s[44:45], 8
	s_lshl_b64 s[16:17], s[16:17], 3
	;; [unrolled: 1-line block ×3, first 2 shown]
	s_add_nc_u64 s[16:17], s[16:17], s[44:45]
	v_add_nc_u32_e32 v35, 0x800, v15
	v_cmp_gt_i64_e64 s3, s[4:5], v[4:5]
	v_cmp_gt_i64_e64 s4, s[4:5], v[22:23]
	;; [unrolled: 1-line block ×3, first 2 shown]
	v_mov_b32_e32 v15, v1
	v_cmp_gt_i64_e64 s2, s[6:7], v[20:21]
	v_lshl_or_b32 v34, v0, 8, v14
	s_mov_b32 s36, s11
	s_mov_b32 s37, s11
	v_lshl_add_u64 v[10:11], v[18:19], 3, s[38:39]
	v_cmp_gt_i64_e64 s38, s[8:9], 0
	s_mov_b32 s11, s10
	v_lshl_add_u64 v[12:13], v[12:13], 3, s[16:17]
	s_lshl_b64 s[6:7], s[28:29], 4
	v_add_nc_u64_e32 v[10:11], v[10:11], v[16:17]
	s_mov_b32 s28, s41
	s_mov_b32 s29, s41
	v_add_nc_u64_e32 v[12:13], v[12:13], v[14:15]
	s_mov_b32 s41, s40
	s_lshl_b64 s[16:17], s[22:23], 4
	s_lshl_b64 s[14:15], s[14:15], 6
	;; [unrolled: 1-line block ×4, first 2 shown]
	s_branch .LBB241_4
.LBB241_2:                              ;   in Loop: Header=BB241_4 Depth=1
	s_wait_xcnt 0x0
	s_or_b32 exec_lo, exec_lo, s30
.LBB241_3:                              ;   in Loop: Header=BB241_4 Depth=1
	s_add_co_i32 s34, s34, 0x10000
	s_delay_alu instid0(SALU_CYCLE_1)
	s_cmp_lt_i32 s34, s33
	s_cbranch_scc0 .LBB241_34
.LBB241_4:                              ; =>This Loop Header: Depth=1
                                        ;     Child Loop BB241_7 Depth 2
	v_dual_mov_b32 v14, s34 :: v_dual_mov_b32 v21, 0
	v_dual_mov_b32 v20, 0 :: v_dual_mov_b32 v25, 0
	;; [unrolled: 1-line block ×3, first 2 shown]
	s_clause 0x1
	global_load_b64 v[16:17], v14, s[20:21] scale_offset
	global_load_b64 v[22:23], v14, s[26:27] scale_offset
	v_dual_mov_b32 v18, 0 :: v_dual_mov_b32 v15, 0
	s_wait_xcnt 0x0
	v_mov_b32_e32 v14, 0
	s_and_not1_b32 vcc_lo, exec_lo, s38
	s_cbranch_vccnz .LBB241_11
; %bb.5:                                ;   in Loop: Header=BB241_4 Depth=1
	s_lshl_b64 s[30:31], s[34:35], 3
	v_mov_b32_e32 v14, 0
	s_add_nc_u64 s[44:45], s[18:19], s[30:31]
	s_add_nc_u64 s[30:31], s[12:13], s[30:31]
	s_clause 0x1
	global_load_b64 v[20:21], v1, s[44:45]
	global_load_b64 v[28:29], v1, s[30:31]
	s_wait_xcnt 0x0
	s_mov_b64 s[30:31], 0
	v_dual_mov_b32 v15, v14 :: v_dual_mov_b32 v18, v14
	v_dual_mov_b32 v19, v14 :: v_dual_mov_b32 v24, v14
	v_mov_b32_e32 v25, v14
	s_wait_loadcnt 0x1
	v_add_nc_u64_e32 v[26:27], v[20:21], v[10:11]
	s_wait_loadcnt 0x0
	v_add_nc_u64_e32 v[28:29], v[28:29], v[12:13]
	v_dual_mov_b32 v20, v14 :: v_dual_mov_b32 v21, v14
	s_branch .LBB241_7
.LBB241_6:                              ;   in Loop: Header=BB241_7 Depth=2
	s_wait_xcnt 0x0
	s_or_b32 exec_lo, exec_lo, s39
	s_wait_loadcnt_dscnt 0x0
	ds_store_b64 v35, v[30:31]
	s_wait_dscnt 0x0
	s_barrier_signal -1
	s_barrier_wait -1
	ds_load_2addr_b64 v[30:33], v36 offset1:16
	ds_load_b128 v[38:41], v37
	ds_load_2addr_b64 v[42:45], v36 offset0:32 offset1:48
	ds_load_b128 v[46:49], v37 offset:1024
	ds_load_b128 v[50:53], v37 offset:16
	ds_load_2addr_b64 v[54:57], v36 offset0:64 offset1:80
	ds_load_2addr_b64 v[58:61], v36 offset0:96 offset1:112
	;; [unrolled: 1-line block ×3, first 2 shown]
	ds_load_b128 v[66:69], v37 offset:1040
	s_add_nc_u64 s[30:31], s[30:31], 8
	v_add_nc_u64_e32 v[26:27], 64, v[26:27]
	v_cmp_lt_i64_e64 s39, s[30:31], s[8:9]
	v_add_nc_u64_e32 v[28:29], s[14:15], v[28:29]
	s_and_b32 vcc_lo, exec_lo, s39
	s_wait_dscnt 0x7
	v_pk_mul_f32 v[70:71], v[38:39], v[30:31] op_sel:[0,1]
	s_wait_dscnt 0x6
	v_pk_mul_f32 v[72:73], v[40:41], v[42:43] op_sel:[0,1]
	v_pk_mul_f32 v[74:75], v[38:39], v[32:33] op_sel:[0,1]
	;; [unrolled: 1-line block ×3, first 2 shown]
	s_wait_dscnt 0x5
	v_pk_mul_f32 v[78:79], v[46:47], v[30:31] op_sel:[0,1]
	v_pk_mul_f32 v[80:81], v[46:47], v[32:33] op_sel:[0,1]
	v_pk_fma_f32 v[82:83], v[38:39], v[30:31], v[70:71] op_sel:[0,0,1] op_sel_hi:[1,1,0] neg_lo:[0,0,1] neg_hi:[0,0,1]
	v_pk_fma_f32 v[84:85], v[38:39], v[30:31], v[70:71] op_sel:[0,0,1] op_sel_hi:[1,0,0]
	v_pk_fma_f32 v[86:87], v[40:41], v[42:43], v[72:73] op_sel:[0,0,1] op_sel_hi:[1,1,0] neg_lo:[0,0,1] neg_hi:[0,0,1]
	v_pk_fma_f32 v[88:89], v[40:41], v[42:43], v[72:73] op_sel:[0,0,1] op_sel_hi:[1,0,0]
	;; [unrolled: 2-line block ×3, first 2 shown]
	v_pk_fma_f32 v[92:93], v[40:41], v[44:45], v[76:77] op_sel:[0,0,1] op_sel_hi:[1,1,0] neg_lo:[0,0,1] neg_hi:[0,0,1]
	ds_load_b128 v[70:73], v37 offset:32
	v_pk_fma_f32 v[76:77], v[40:41], v[44:45], v[76:77] op_sel:[0,0,1] op_sel_hi:[1,0,0]
	v_pk_mul_f32 v[38:39], v[48:49], v[42:43] op_sel:[0,1]
	v_pk_mul_f32 v[40:41], v[48:49], v[44:45] op_sel:[0,1]
	v_pk_fma_f32 v[94:95], v[46:47], v[30:31], v[78:79] op_sel:[0,0,1] op_sel_hi:[1,1,0] neg_lo:[0,0,1] neg_hi:[0,0,1]
	v_pk_fma_f32 v[78:79], v[46:47], v[30:31], v[78:79] op_sel:[0,0,1] op_sel_hi:[1,0,0]
	v_pk_fma_f32 v[96:97], v[46:47], v[32:33], v[80:81] op_sel:[0,0,1] op_sel_hi:[1,1,0] neg_lo:[0,0,1] neg_hi:[0,0,1]
	v_pk_fma_f32 v[80:81], v[46:47], v[32:33], v[80:81] op_sel:[0,0,1] op_sel_hi:[1,0,0]
	v_pk_fma_f32 v[98:99], v[48:49], v[42:43], v[38:39] op_sel:[0,0,1] op_sel_hi:[1,1,0] neg_lo:[0,0,1] neg_hi:[0,0,1]
	s_wait_dscnt 0x4
	v_pk_mul_f32 v[46:47], v[50:51], v[54:55] op_sel:[0,1]
	v_pk_fma_f32 v[100:101], v[48:49], v[42:43], v[38:39] op_sel:[0,0,1] op_sel_hi:[1,0,0]
	ds_load_2addr_b64 v[30:33], v36 offset0:160 offset1:176
	v_pk_fma_f32 v[102:103], v[48:49], v[44:45], v[40:41] op_sel:[0,0,1] op_sel_hi:[1,1,0] neg_lo:[0,0,1] neg_hi:[0,0,1]
	s_wait_dscnt 0x4
	v_pk_mul_f32 v[38:39], v[52:53], v[58:59] op_sel:[0,1]
	v_pk_fma_f32 v[104:105], v[48:49], v[44:45], v[40:41] op_sel:[0,0,1] op_sel_hi:[1,0,0]
	v_pk_mul_f32 v[42:43], v[50:51], v[56:57] op_sel:[0,1]
	v_dual_mov_b32 v83, v85 :: v_dual_mov_b32 v87, v89
	v_pk_mul_f32 v[44:45], v[52:53], v[60:61] op_sel:[0,1]
	v_pk_fma_f32 v[106:107], v[50:51], v[54:55], v[46:47] op_sel:[0,0,1] op_sel_hi:[1,1,0] neg_lo:[0,0,1] neg_hi:[0,0,1]
	v_pk_fma_f32 v[46:47], v[50:51], v[54:55], v[46:47] op_sel:[0,0,1] op_sel_hi:[1,0,0]
	v_pk_fma_f32 v[108:109], v[52:53], v[58:59], v[38:39] op_sel:[0,0,1] op_sel_hi:[1,1,0] neg_lo:[0,0,1] neg_hi:[0,0,1]
	v_pk_fma_f32 v[84:85], v[52:53], v[58:59], v[38:39] op_sel:[0,0,1] op_sel_hi:[1,0,0]
	ds_load_b128 v[38:41], v37 offset:48
	v_pk_add_f32 v[20:21], v[20:21], v[82:83]
	v_pk_fma_f32 v[82:83], v[50:51], v[56:57], v[42:43] op_sel:[0,0,1] op_sel_hi:[1,1,0] neg_lo:[0,0,1] neg_hi:[0,0,1]
	v_pk_fma_f32 v[50:51], v[50:51], v[56:57], v[42:43] op_sel:[0,0,1] op_sel_hi:[1,0,0]
	v_pk_fma_f32 v[88:89], v[52:53], v[60:61], v[44:45] op_sel:[0,0,1] op_sel_hi:[1,1,0] neg_lo:[0,0,1] neg_hi:[0,0,1]
	v_pk_fma_f32 v[52:53], v[52:53], v[60:61], v[44:45] op_sel:[0,0,1] op_sel_hi:[1,0,0]
	ds_load_2addr_b64 v[42:45], v36 offset0:192 offset1:208
	s_wait_dscnt 0x3
	v_pk_mul_f32 v[110:111], v[70:71], v[62:63] op_sel:[0,1]
	v_dual_mov_b32 v91, v75 :: v_dual_mov_b32 v107, v47
	v_pk_add_f32 v[20:21], v[20:21], v[86:87]
	ds_load_2addr_b64 v[46:49], v36 offset0:224 offset1:240
	s_wait_dscnt 0x3
	v_pk_mul_f32 v[74:75], v[72:73], v[30:31] op_sel:[0,1]
	v_pk_add_f32 v[24:25], v[24:25], v[90:91]
	v_pk_fma_f32 v[90:91], v[70:71], v[62:63], v[110:111] op_sel:[0,0,1] op_sel_hi:[1,0,0]
	v_dual_mov_b32 v93, v77 :: v_dual_mov_b32 v109, v85
	v_pk_add_f32 v[20:21], v[20:21], v[106:107]
	v_pk_mul_f32 v[106:107], v[70:71], v[64:65] op_sel:[0,1]
	v_pk_mul_f32 v[84:85], v[72:73], v[32:33] op_sel:[0,1]
	v_pk_fma_f32 v[86:87], v[70:71], v[62:63], v[110:111] op_sel:[0,0,1] op_sel_hi:[1,1,0] neg_lo:[0,0,1] neg_hi:[0,0,1]
	v_pk_fma_f32 v[76:77], v[72:73], v[30:31], v[74:75] op_sel:[0,0,1] op_sel_hi:[1,1,0] neg_lo:[0,0,1] neg_hi:[0,0,1]
	v_pk_fma_f32 v[74:75], v[72:73], v[30:31], v[74:75] op_sel:[0,0,1] op_sel_hi:[1,0,0]
	v_pk_add_f32 v[24:25], v[24:25], v[92:93]
	v_pk_fma_f32 v[92:93], v[70:71], v[64:65], v[106:107] op_sel:[0,0,1] op_sel_hi:[1,1,0] neg_lo:[0,0,1] neg_hi:[0,0,1]
	v_pk_fma_f32 v[70:71], v[70:71], v[64:65], v[106:107] op_sel:[0,0,1] op_sel_hi:[1,0,0]
	v_dual_mov_b32 v83, v51 :: v_dual_mov_b32 v87, v91
	v_pk_fma_f32 v[106:107], v[72:73], v[32:33], v[84:85] op_sel:[0,0,1] op_sel_hi:[1,1,0] neg_lo:[0,0,1] neg_hi:[0,0,1]
	v_pk_fma_f32 v[50:51], v[72:73], v[32:33], v[84:85] op_sel:[0,0,1] op_sel_hi:[1,0,0]
	s_wait_dscnt 0x1
	v_pk_mul_f32 v[72:73], v[38:39], v[42:43] op_sel:[0,1]
	v_pk_add_f32 v[20:21], v[20:21], v[108:109]
	v_dual_mov_b32 v89, v53 :: v_dual_mov_b32 v77, v75
	v_pk_add_f32 v[24:25], v[24:25], v[82:83]
	s_delay_alu instid0(VALU_DEP_4)
	v_pk_fma_f32 v[52:53], v[38:39], v[42:43], v[72:73] op_sel:[0,0,1] op_sel_hi:[1,1,0] neg_lo:[0,0,1] neg_hi:[0,0,1]
	v_pk_fma_f32 v[72:73], v[38:39], v[42:43], v[72:73] op_sel:[0,0,1] op_sel_hi:[1,0,0]
	v_pk_add_f32 v[20:21], v[20:21], v[86:87]
	v_mov_b32_e32 v93, v71
	s_wait_dscnt 0x0
	v_pk_mul_f32 v[82:83], v[40:41], v[46:47] op_sel:[0,1]
	v_pk_mul_f32 v[74:75], v[38:39], v[44:45] op_sel:[0,1]
	v_mov_b32_e32 v53, v73
	v_pk_add_f32 v[20:21], v[20:21], v[76:77]
	v_dual_mov_b32 v107, v51 :: v_dual_mov_b32 v95, v79
	v_pk_fma_f32 v[84:85], v[40:41], v[46:47], v[82:83] op_sel:[0,0,1] op_sel_hi:[1,1,0] neg_lo:[0,0,1] neg_hi:[0,0,1]
	v_pk_fma_f32 v[82:83], v[40:41], v[46:47], v[82:83] op_sel:[0,0,1] op_sel_hi:[1,0,0]
	s_delay_alu instid0(VALU_DEP_4)
	v_pk_add_f32 v[20:21], v[20:21], v[52:53]
	ds_load_b128 v[50:53], v37 offset:1056
	v_pk_fma_f32 v[70:71], v[38:39], v[44:45], v[74:75] op_sel:[0,0,1] op_sel_hi:[1,1,0] neg_lo:[0,0,1] neg_hi:[0,0,1]
	v_pk_fma_f32 v[38:39], v[38:39], v[44:45], v[74:75] op_sel:[0,0,1] op_sel_hi:[1,0,0]
	v_pk_mul_f32 v[74:75], v[66:67], v[54:55] op_sel:[0,1]
	v_pk_add_f32 v[24:25], v[24:25], v[88:89]
	v_dual_mov_b32 v85, v83 :: v_dual_mov_b32 v99, v101
	v_pk_add_f32 v[18:19], v[18:19], v[94:95]
	s_delay_alu instid0(VALU_DEP_4)
	v_pk_fma_f32 v[76:77], v[66:67], v[54:55], v[74:75] op_sel:[0,0,1] op_sel_hi:[1,0,0]
	v_pk_mul_f32 v[86:87], v[40:41], v[48:49] op_sel:[0,1]
	v_pk_add_f32 v[24:25], v[24:25], v[92:93]
	v_mov_b32_e32 v71, v39
	v_pk_mul_f32 v[38:39], v[68:69], v[58:59] op_sel:[0,1]
	v_pk_fma_f32 v[54:55], v[66:67], v[54:55], v[74:75] op_sel:[0,0,1] op_sel_hi:[1,1,0] neg_lo:[0,0,1] neg_hi:[0,0,1]
	v_pk_add_f32 v[18:19], v[18:19], v[98:99]
	v_mov_b32_e32 v55, v77
	v_pk_fma_f32 v[72:73], v[40:41], v[48:49], v[86:87] op_sel:[0,0,1] op_sel_hi:[1,1,0] neg_lo:[0,0,1] neg_hi:[0,0,1]
	v_pk_add_f32 v[24:25], v[24:25], v[106:107]
	v_pk_fma_f32 v[74:75], v[40:41], v[48:49], v[86:87] op_sel:[0,0,1] op_sel_hi:[1,0,0]
	v_pk_fma_f32 v[40:41], v[68:69], v[58:59], v[38:39] op_sel:[0,0,1] op_sel_hi:[1,0,0]
	v_pk_add_f32 v[18:19], v[18:19], v[54:55]
	v_pk_fma_f32 v[54:55], v[68:69], v[58:59], v[38:39] op_sel:[0,0,1] op_sel_hi:[1,1,0] neg_lo:[0,0,1] neg_hi:[0,0,1]
	v_pk_add_f32 v[24:25], v[24:25], v[70:71]
	v_pk_mul_f32 v[58:59], v[66:67], v[56:57] op_sel:[0,1]
	v_dual_mov_b32 v55, v41 :: v_dual_mov_b32 v97, v81
	ds_load_b128 v[38:41], v37 offset:1072
	s_wait_dscnt 0x1
	v_pk_mul_f32 v[70:71], v[50:51], v[62:63] op_sel:[0,1]
	v_dual_mov_b32 v73, v75 :: v_dual_mov_b32 v103, v105
	v_pk_add_f32 v[18:19], v[18:19], v[54:55]
	v_pk_fma_f32 v[54:55], v[66:67], v[56:57], v[58:59] op_sel:[0,0,1] op_sel_hi:[1,1,0] neg_lo:[0,0,1] neg_hi:[0,0,1]
	s_delay_alu instid0(VALU_DEP_4)
	v_pk_fma_f32 v[74:75], v[50:51], v[62:63], v[70:71] op_sel:[0,0,1] op_sel_hi:[1,0,0]
	v_pk_add_f32 v[14:15], v[14:15], v[96:97]
	v_pk_mul_f32 v[76:77], v[52:53], v[30:31] op_sel:[0,1]
	v_pk_fma_f32 v[56:57], v[66:67], v[56:57], v[58:59] op_sel:[0,0,1] op_sel_hi:[1,0,0]
	v_pk_fma_f32 v[58:59], v[50:51], v[62:63], v[70:71] op_sel:[0,0,1] op_sel_hi:[1,1,0] neg_lo:[0,0,1] neg_hi:[0,0,1]
	v_mov_b32_e32 v59, v75
	v_pk_add_f32 v[14:15], v[14:15], v[102:103]
	v_pk_fma_f32 v[62:63], v[52:53], v[30:31], v[76:77] op_sel:[0,0,1] op_sel_hi:[1,0,0]
	v_pk_mul_f32 v[66:67], v[68:69], v[60:61] op_sel:[0,1]
	v_mov_b32_e32 v55, v57
	v_pk_fma_f32 v[30:31], v[52:53], v[30:31], v[76:77] op_sel:[0,0,1] op_sel_hi:[1,1,0] neg_lo:[0,0,1] neg_hi:[0,0,1]
	v_pk_add_f32 v[18:19], v[18:19], v[58:59]
	v_pk_add_f32 v[20:21], v[20:21], v[84:85]
	v_pk_fma_f32 v[56:57], v[68:69], v[60:61], v[66:67] op_sel:[0,0,1] op_sel_hi:[1,0,0]
	v_mov_b32_e32 v31, v63
	v_pk_add_f32 v[14:15], v[14:15], v[54:55]
	v_pk_mul_f32 v[54:55], v[50:51], v[64:65] op_sel:[0,1]
	v_pk_fma_f32 v[60:61], v[68:69], v[60:61], v[66:67] op_sel:[0,0,1] op_sel_hi:[1,1,0] neg_lo:[0,0,1] neg_hi:[0,0,1]
	s_wait_dscnt 0x0
	v_pk_mul_f32 v[58:59], v[38:39], v[42:43] op_sel:[0,1]
	v_mov_b32_e32 v61, v57
	v_pk_add_f32 v[18:19], v[18:19], v[30:31]
	v_pk_fma_f32 v[30:31], v[50:51], v[64:65], v[54:55] op_sel:[0,0,1] op_sel_hi:[1,0,0]
	v_pk_mul_f32 v[62:63], v[52:53], v[32:33] op_sel:[0,1]
	v_pk_fma_f32 v[50:51], v[50:51], v[64:65], v[54:55] op_sel:[0,0,1] op_sel_hi:[1,1,0] neg_lo:[0,0,1] neg_hi:[0,0,1]
	v_pk_fma_f32 v[56:57], v[38:39], v[42:43], v[58:59] op_sel:[0,0,1] op_sel_hi:[1,1,0] neg_lo:[0,0,1] neg_hi:[0,0,1]
	v_pk_add_f32 v[14:15], v[14:15], v[60:61]
	v_mov_b32_e32 v51, v31
	v_pk_fma_f32 v[30:31], v[38:39], v[42:43], v[58:59] op_sel:[0,0,1] op_sel_hi:[1,0,0]
	v_pk_fma_f32 v[42:43], v[52:53], v[32:33], v[62:63] op_sel:[0,0,1] op_sel_hi:[1,0,0]
	v_pk_mul_f32 v[58:59], v[38:39], v[44:45] op_sel:[0,1]
	v_pk_fma_f32 v[32:33], v[52:53], v[32:33], v[62:63] op_sel:[0,0,1] op_sel_hi:[1,1,0] neg_lo:[0,0,1] neg_hi:[0,0,1]
	v_pk_mul_f32 v[54:55], v[40:41], v[46:47] op_sel:[0,1]
	s_delay_alu instid0(VALU_DEP_4)
	v_dual_mov_b32 v57, v31 :: v_dual_mov_b32 v33, v43
	v_pk_add_f32 v[14:15], v[14:15], v[50:51]
	v_pk_fma_f32 v[30:31], v[38:39], v[44:45], v[58:59] op_sel:[0,0,1] op_sel_hi:[1,0,0]
	v_pk_mul_f32 v[50:51], v[40:41], v[48:49] op_sel:[0,1]
	v_pk_fma_f32 v[42:43], v[40:41], v[46:47], v[54:55] op_sel:[0,0,1] op_sel_hi:[1,0,0]
	v_pk_add_f32 v[24:25], v[24:25], v[72:73]
	v_pk_add_f32 v[14:15], v[14:15], v[32:33]
	v_pk_fma_f32 v[32:33], v[38:39], v[44:45], v[58:59] op_sel:[0,0,1] op_sel_hi:[1,1,0] neg_lo:[0,0,1] neg_hi:[0,0,1]
	v_mov_b32_e32 v33, v31
	v_pk_fma_f32 v[30:31], v[40:41], v[48:49], v[50:51] op_sel:[0,0,1] op_sel_hi:[1,0,0]
	v_pk_fma_f32 v[38:39], v[40:41], v[46:47], v[54:55] op_sel:[0,0,1] op_sel_hi:[1,1,0] neg_lo:[0,0,1] neg_hi:[0,0,1]
	v_pk_add_f32 v[18:19], v[18:19], v[56:57]
	v_mov_b32_e32 v39, v43
	v_pk_add_f32 v[14:15], v[14:15], v[32:33]
	v_pk_fma_f32 v[32:33], v[40:41], v[48:49], v[50:51] op_sel:[0,0,1] op_sel_hi:[1,1,0] neg_lo:[0,0,1] neg_hi:[0,0,1]
	v_mov_b32_e32 v33, v31
	s_delay_alu instid0(VALU_DEP_4) | instskip(SKIP_2) | instid1(VALU_DEP_2)
	v_pk_add_f32 v[18:19], v[18:19], v[38:39]
	s_barrier_signal -1
	s_barrier_wait -1
	v_pk_add_f32 v[14:15], v[14:15], v[32:33]
	s_cbranch_vccz .LBB241_11
.LBB241_7:                              ;   Parent Loop BB241_4 Depth=1
                                        ; =>  This Inner Loop Header: Depth=2
	v_add_nc_u64_e32 v[30:31], s[30:31], v[0:1]
	v_dual_mov_b32 v32, 0 :: v_dual_mov_b32 v33, 0
	s_delay_alu instid0(VALU_DEP_2) | instskip(SKIP_1) | instid1(SALU_CYCLE_1)
	v_cmp_gt_i64_e32 vcc_lo, s[8:9], v[30:31]
	s_and_b32 s43, s0, vcc_lo
	s_and_saveexec_b32 s39, s43
	s_cbranch_execz .LBB241_9
; %bb.8:                                ;   in Loop: Header=BB241_7 Depth=2
	flat_load_b64 v[32:33], v[28:29]
.LBB241_9:                              ;   in Loop: Header=BB241_7 Depth=2
	s_wait_xcnt 0x0
	s_or_b32 exec_lo, exec_lo, s39
	v_add_nc_u64_e32 v[30:31], s[30:31], v[2:3]
	s_wait_loadcnt_dscnt 0x0
	ds_store_b64 v34, v[32:33]
	v_cmp_gt_i64_e32 vcc_lo, s[8:9], v[30:31]
	v_dual_mov_b32 v30, 0 :: v_dual_mov_b32 v31, 0
	s_and_b32 s43, vcc_lo, s1
	s_delay_alu instid0(SALU_CYCLE_1)
	s_and_saveexec_b32 s39, s43
	s_cbranch_execz .LBB241_6
; %bb.10:                               ;   in Loop: Header=BB241_7 Depth=2
	flat_load_b64 v[30:31], v[26:27]
	s_branch .LBB241_6
.LBB241_11:                             ;   in Loop: Header=BB241_4 Depth=1
	s_wait_loadcnt 0x0
	v_add_nc_u64_e32 v[22:23], s[22:23], v[22:23]
	s_and_not1_b32 vcc_lo, exec_lo, s42
	s_mov_b32 s30, -1
	s_cbranch_vccz .LBB241_13
; %bb.12:                               ;   in Loop: Header=BB241_4 Depth=1
	s_and_not1_b32 vcc_lo, exec_lo, s30
	s_cbranch_vccnz .LBB241_3
	s_branch .LBB241_24
.LBB241_13:                             ;   in Loop: Header=BB241_4 Depth=1
	s_and_saveexec_b32 s30, s2
	s_cbranch_execz .LBB241_23
; %bb.14:                               ;   in Loop: Header=BB241_4 Depth=1
	s_delay_alu instid0(VALU_DEP_1) | instskip(NEXT) | instid1(VALU_DEP_1)
	v_lshl_add_u64 v[26:27], v[6:7], 3, v[22:23]
	v_lshl_add_u64 v[28:29], v[4:5], 3, v[26:27]
	s_and_saveexec_b32 s31, s3
	s_cbranch_execnz .LBB241_17
; %bb.15:                               ;   in Loop: Header=BB241_4 Depth=1
	s_or_b32 exec_lo, exec_lo, s31
	s_and_saveexec_b32 s31, s4
	s_cbranch_execnz .LBB241_18
.LBB241_16:                             ;   in Loop: Header=BB241_4 Depth=1
	s_or_b32 exec_lo, exec_lo, s31
	s_delay_alu instid0(SALU_CYCLE_1)
	s_and_b32 exec_lo, exec_lo, s5
	s_cbranch_execnz .LBB241_19
	s_branch .LBB241_23
.LBB241_17:                             ;   in Loop: Header=BB241_4 Depth=1
	v_mov_b64_e32 v[30:31], s[36:37]
	v_mov_b64_e32 v[32:33], s[10:11]
	s_delay_alu instid0(VALU_DEP_2) | instskip(NEXT) | instid1(VALU_DEP_1)
	v_pk_mul_f32 v[30:31], v[20:21], v[30:31] op_sel:[1,0] op_sel_hi:[0,1]
	v_pk_fma_f32 v[38:39], v[20:21], v[32:33], v[30:31]
	v_pk_fma_f32 v[30:31], v[20:21], v[32:33], v[30:31] neg_lo:[0,0,1] neg_hi:[0,0,1]
	s_delay_alu instid0(VALU_DEP_2)
	v_mov_b32_e32 v31, v39
	flat_store_b64 v[28:29], v[30:31]
	s_wait_xcnt 0x0
	s_or_b32 exec_lo, exec_lo, s31
	s_and_saveexec_b32 s31, s4
	s_cbranch_execz .LBB241_16
.LBB241_18:                             ;   in Loop: Header=BB241_4 Depth=1
	v_mov_b64_e32 v[30:31], s[36:37]
	v_mov_b64_e32 v[32:33], s[10:11]
	s_delay_alu instid0(VALU_DEP_2) | instskip(NEXT) | instid1(VALU_DEP_1)
	v_pk_mul_f32 v[30:31], v[24:25], v[30:31] op_sel:[1,0] op_sel_hi:[0,1]
	v_pk_fma_f32 v[38:39], v[24:25], v[32:33], v[30:31]
	v_pk_fma_f32 v[30:31], v[24:25], v[32:33], v[30:31] neg_lo:[0,0,1] neg_hi:[0,0,1]
	s_delay_alu instid0(VALU_DEP_2) | instskip(SKIP_3) | instid1(SALU_CYCLE_1)
	v_mov_b32_e32 v31, v39
	flat_store_b64 v[28:29], v[30:31] offset:128
	s_wait_xcnt 0x0
	s_or_b32 exec_lo, exec_lo, s31
	s_and_b32 exec_lo, exec_lo, s5
	s_cbranch_execz .LBB241_23
.LBB241_19:                             ;   in Loop: Header=BB241_4 Depth=1
	v_lshl_add_u64 v[26:27], s[6:7], 3, v[26:27]
	s_delay_alu instid0(VALU_DEP_1)
	v_lshl_add_u64 v[26:27], v[4:5], 3, v[26:27]
	s_and_saveexec_b32 s31, s3
	s_cbranch_execz .LBB241_21
; %bb.20:                               ;   in Loop: Header=BB241_4 Depth=1
	v_mov_b64_e32 v[28:29], s[36:37]
	v_mov_b64_e32 v[30:31], s[10:11]
	s_delay_alu instid0(VALU_DEP_2) | instskip(NEXT) | instid1(VALU_DEP_1)
	v_pk_mul_f32 v[28:29], v[18:19], v[28:29] op_sel:[1,0] op_sel_hi:[0,1]
	v_pk_fma_f32 v[32:33], v[18:19], v[30:31], v[28:29]
	v_pk_fma_f32 v[28:29], v[18:19], v[30:31], v[28:29] neg_lo:[0,0,1] neg_hi:[0,0,1]
	s_delay_alu instid0(VALU_DEP_2)
	v_mov_b32_e32 v29, v33
	flat_store_b64 v[26:27], v[28:29]
.LBB241_21:                             ;   in Loop: Header=BB241_4 Depth=1
	s_wait_xcnt 0x0
	s_or_b32 exec_lo, exec_lo, s31
	s_delay_alu instid0(SALU_CYCLE_1)
	s_and_b32 exec_lo, exec_lo, s4
	s_cbranch_execz .LBB241_23
; %bb.22:                               ;   in Loop: Header=BB241_4 Depth=1
	v_mov_b64_e32 v[28:29], s[36:37]
	v_mov_b64_e32 v[30:31], s[10:11]
	s_delay_alu instid0(VALU_DEP_2) | instskip(NEXT) | instid1(VALU_DEP_1)
	v_pk_mul_f32 v[28:29], v[14:15], v[28:29] op_sel:[1,0] op_sel_hi:[0,1]
	v_pk_fma_f32 v[32:33], v[14:15], v[30:31], v[28:29]
	v_pk_fma_f32 v[28:29], v[14:15], v[30:31], v[28:29] neg_lo:[0,0,1] neg_hi:[0,0,1]
	s_delay_alu instid0(VALU_DEP_2)
	v_mov_b32_e32 v29, v33
	flat_store_b64 v[26:27], v[28:29] offset:128
.LBB241_23:                             ;   in Loop: Header=BB241_4 Depth=1
	s_wait_xcnt 0x0
	s_or_b32 exec_lo, exec_lo, s30
	s_cbranch_execnz .LBB241_3
.LBB241_24:                             ;   in Loop: Header=BB241_4 Depth=1
	s_and_saveexec_b32 s30, s2
	s_cbranch_execz .LBB241_2
; %bb.25:                               ;   in Loop: Header=BB241_4 Depth=1
	v_add_nc_u64_e32 v[26:27], s[24:25], v[16:17]
	v_lshlrev_b64_e32 v[16:17], 3, v[4:5]
	v_lshl_add_u64 v[22:23], v[6:7], 3, v[22:23]
	s_delay_alu instid0(VALU_DEP_3) | instskip(NEXT) | instid1(VALU_DEP_2)
	v_lshl_add_u64 v[26:27], v[8:9], 3, v[26:27]
	v_add_nc_u64_e32 v[28:29], v[22:23], v[16:17]
	s_delay_alu instid0(VALU_DEP_2)
	v_add_nc_u64_e32 v[30:31], v[26:27], v[16:17]
	s_and_saveexec_b32 s31, s3
	s_cbranch_execnz .LBB241_28
; %bb.26:                               ;   in Loop: Header=BB241_4 Depth=1
	s_or_b32 exec_lo, exec_lo, s31
	s_and_saveexec_b32 s31, s4
	s_cbranch_execnz .LBB241_29
.LBB241_27:                             ;   in Loop: Header=BB241_4 Depth=1
	s_or_b32 exec_lo, exec_lo, s31
	s_delay_alu instid0(SALU_CYCLE_1)
	s_and_b32 exec_lo, exec_lo, s5
	s_cbranch_execz .LBB241_2
	s_branch .LBB241_30
.LBB241_28:                             ;   in Loop: Header=BB241_4 Depth=1
	flat_load_b64 v[32:33], v[30:31]
	v_mov_b64_e32 v[38:39], s[36:37]
	v_mov_b64_e32 v[40:41], s[28:29]
	;; [unrolled: 1-line block ×4, first 2 shown]
	s_delay_alu instid0(VALU_DEP_4) | instskip(NEXT) | instid1(VALU_DEP_1)
	v_pk_mul_f32 v[38:39], v[20:21], v[38:39] op_sel:[1,0] op_sel_hi:[0,1]
	v_pk_fma_f32 v[46:47], v[20:21], v[42:43], v[38:39]
	v_pk_fma_f32 v[20:21], v[20:21], v[42:43], v[38:39] neg_lo:[0,0,1] neg_hi:[0,0,1]
	s_wait_loadcnt_dscnt 0x0
	v_pk_mul_f32 v[40:41], v[32:33], v[40:41] op_sel:[1,0] op_sel_hi:[0,1]
	s_delay_alu instid0(VALU_DEP_1) | instskip(SKIP_1) | instid1(VALU_DEP_2)
	v_pk_fma_f32 v[48:49], v[32:33], v[44:45], v[40:41]
	v_pk_fma_f32 v[32:33], v[32:33], v[44:45], v[40:41] neg_lo:[0,0,1] neg_hi:[0,0,1]
	v_dual_mov_b32 v21, v47 :: v_dual_mov_b32 v33, v49
	s_delay_alu instid0(VALU_DEP_1)
	v_pk_add_f32 v[20:21], v[20:21], v[32:33]
	flat_store_b64 v[28:29], v[20:21]
	s_wait_xcnt 0x0
	s_or_b32 exec_lo, exec_lo, s31
	s_and_saveexec_b32 s31, s4
	s_cbranch_execz .LBB241_27
.LBB241_29:                             ;   in Loop: Header=BB241_4 Depth=1
	flat_load_b64 v[20:21], v[30:31] offset:128
	s_wait_xcnt 0x0
	v_mov_b64_e32 v[30:31], s[36:37]
	v_mov_b64_e32 v[32:33], s[28:29]
	;; [unrolled: 1-line block ×4, first 2 shown]
	s_delay_alu instid0(VALU_DEP_4) | instskip(NEXT) | instid1(VALU_DEP_1)
	v_pk_mul_f32 v[30:31], v[24:25], v[30:31] op_sel:[1,0] op_sel_hi:[0,1]
	v_pk_fma_f32 v[42:43], v[24:25], v[38:39], v[30:31]
	v_pk_fma_f32 v[24:25], v[24:25], v[38:39], v[30:31] neg_lo:[0,0,1] neg_hi:[0,0,1]
	s_wait_loadcnt_dscnt 0x0
	v_pk_mul_f32 v[32:33], v[20:21], v[32:33] op_sel:[1,0] op_sel_hi:[0,1]
	s_delay_alu instid0(VALU_DEP_1) | instskip(SKIP_1) | instid1(VALU_DEP_2)
	v_pk_fma_f32 v[44:45], v[20:21], v[40:41], v[32:33]
	v_pk_fma_f32 v[20:21], v[20:21], v[40:41], v[32:33] neg_lo:[0,0,1] neg_hi:[0,0,1]
	v_dual_mov_b32 v25, v43 :: v_dual_mov_b32 v21, v45
	s_delay_alu instid0(VALU_DEP_1) | instskip(SKIP_3) | instid1(SALU_CYCLE_1)
	v_pk_add_f32 v[20:21], v[24:25], v[20:21]
	flat_store_b64 v[28:29], v[20:21] offset:128
	s_wait_xcnt 0x0
	s_or_b32 exec_lo, exec_lo, s31
	s_and_b32 exec_lo, exec_lo, s5
	s_cbranch_execz .LBB241_2
.LBB241_30:                             ;   in Loop: Header=BB241_4 Depth=1
	v_lshl_add_u64 v[20:21], s[16:17], 3, v[26:27]
	v_lshl_add_u64 v[22:23], s[6:7], 3, v[22:23]
	s_delay_alu instid0(VALU_DEP_2) | instskip(NEXT) | instid1(VALU_DEP_2)
	v_add_nc_u64_e32 v[20:21], v[20:21], v[16:17]
	v_add_nc_u64_e32 v[16:17], v[22:23], v[16:17]
	s_and_saveexec_b32 s31, s3
	s_cbranch_execz .LBB241_32
; %bb.31:                               ;   in Loop: Header=BB241_4 Depth=1
	flat_load_b64 v[22:23], v[20:21]
	v_mov_b64_e32 v[24:25], s[36:37]
	v_mov_b64_e32 v[26:27], s[28:29]
	;; [unrolled: 1-line block ×4, first 2 shown]
	s_delay_alu instid0(VALU_DEP_4) | instskip(NEXT) | instid1(VALU_DEP_1)
	v_pk_mul_f32 v[24:25], v[18:19], v[24:25] op_sel:[1,0] op_sel_hi:[0,1]
	v_pk_fma_f32 v[32:33], v[18:19], v[28:29], v[24:25]
	v_pk_fma_f32 v[18:19], v[18:19], v[28:29], v[24:25] neg_lo:[0,0,1] neg_hi:[0,0,1]
	s_wait_loadcnt_dscnt 0x0
	v_pk_mul_f32 v[26:27], v[22:23], v[26:27] op_sel:[1,0] op_sel_hi:[0,1]
	s_delay_alu instid0(VALU_DEP_1) | instskip(SKIP_1) | instid1(VALU_DEP_2)
	v_pk_fma_f32 v[38:39], v[22:23], v[30:31], v[26:27]
	v_pk_fma_f32 v[22:23], v[22:23], v[30:31], v[26:27] neg_lo:[0,0,1] neg_hi:[0,0,1]
	v_dual_mov_b32 v19, v33 :: v_dual_mov_b32 v23, v39
	s_delay_alu instid0(VALU_DEP_1)
	v_pk_add_f32 v[18:19], v[18:19], v[22:23]
	flat_store_b64 v[16:17], v[18:19]
.LBB241_32:                             ;   in Loop: Header=BB241_4 Depth=1
	s_wait_xcnt 0x0
	s_or_b32 exec_lo, exec_lo, s31
	s_delay_alu instid0(SALU_CYCLE_1)
	s_and_b32 exec_lo, exec_lo, s4
	s_cbranch_execz .LBB241_2
; %bb.33:                               ;   in Loop: Header=BB241_4 Depth=1
	flat_load_b64 v[18:19], v[20:21] offset:128
	s_wait_xcnt 0x0
	v_mov_b64_e32 v[20:21], s[36:37]
	v_mov_b64_e32 v[22:23], s[28:29]
	;; [unrolled: 1-line block ×4, first 2 shown]
	s_delay_alu instid0(VALU_DEP_4) | instskip(NEXT) | instid1(VALU_DEP_1)
	v_pk_mul_f32 v[20:21], v[14:15], v[20:21] op_sel:[1,0] op_sel_hi:[0,1]
	v_pk_fma_f32 v[28:29], v[14:15], v[24:25], v[20:21]
	v_pk_fma_f32 v[14:15], v[14:15], v[24:25], v[20:21] neg_lo:[0,0,1] neg_hi:[0,0,1]
	s_wait_loadcnt_dscnt 0x0
	v_pk_mul_f32 v[22:23], v[18:19], v[22:23] op_sel:[1,0] op_sel_hi:[0,1]
	s_delay_alu instid0(VALU_DEP_1) | instskip(SKIP_1) | instid1(VALU_DEP_2)
	v_pk_fma_f32 v[30:31], v[18:19], v[26:27], v[22:23]
	v_pk_fma_f32 v[18:19], v[18:19], v[26:27], v[22:23] neg_lo:[0,0,1] neg_hi:[0,0,1]
	v_dual_mov_b32 v15, v29 :: v_dual_mov_b32 v19, v31
	s_delay_alu instid0(VALU_DEP_1)
	v_pk_add_f32 v[14:15], v[14:15], v[18:19]
	flat_store_b64 v[16:17], v[14:15] offset:128
	s_branch .LBB241_2
.LBB241_34:
	s_sendmsg sendmsg(MSG_DEALLOC_VGPRS)
	s_endpgm
	.section	.rodata,"a",@progbits
	.p2align	6, 0x0
	.amdhsa_kernel _ZN12_GLOBAL__N_135rocblas_gemm_batched_general_kernelI19rocblas_complex_numIfELi16ELi16ELi32ELi32ELi8ELi32ELi8ELi8ELi32ELc78ELc78EKPKS2_S5_KPS2_EEvlllT_PT11_llSA_llS8_PT12_llPT13_lli
		.amdhsa_group_segment_fixed_size 4096
		.amdhsa_private_segment_fixed_size 0
		.amdhsa_kernarg_size 140
		.amdhsa_user_sgpr_count 2
		.amdhsa_user_sgpr_dispatch_ptr 0
		.amdhsa_user_sgpr_queue_ptr 0
		.amdhsa_user_sgpr_kernarg_segment_ptr 1
		.amdhsa_user_sgpr_dispatch_id 0
		.amdhsa_user_sgpr_kernarg_preload_length 0
		.amdhsa_user_sgpr_kernarg_preload_offset 0
		.amdhsa_user_sgpr_private_segment_size 0
		.amdhsa_wavefront_size32 1
		.amdhsa_uses_dynamic_stack 0
		.amdhsa_enable_private_segment 0
		.amdhsa_system_sgpr_workgroup_id_x 1
		.amdhsa_system_sgpr_workgroup_id_y 1
		.amdhsa_system_sgpr_workgroup_id_z 1
		.amdhsa_system_sgpr_workgroup_info 0
		.amdhsa_system_vgpr_workitem_id 1
		.amdhsa_next_free_vgpr 112
		.amdhsa_next_free_sgpr 46
		.amdhsa_named_barrier_count 0
		.amdhsa_reserve_vcc 1
		.amdhsa_float_round_mode_32 0
		.amdhsa_float_round_mode_16_64 0
		.amdhsa_float_denorm_mode_32 3
		.amdhsa_float_denorm_mode_16_64 3
		.amdhsa_fp16_overflow 0
		.amdhsa_memory_ordered 1
		.amdhsa_forward_progress 1
		.amdhsa_inst_pref_size 27
		.amdhsa_round_robin_scheduling 0
		.amdhsa_exception_fp_ieee_invalid_op 0
		.amdhsa_exception_fp_denorm_src 0
		.amdhsa_exception_fp_ieee_div_zero 0
		.amdhsa_exception_fp_ieee_overflow 0
		.amdhsa_exception_fp_ieee_underflow 0
		.amdhsa_exception_fp_ieee_inexact 0
		.amdhsa_exception_int_div_zero 0
	.end_amdhsa_kernel
	.section	.text._ZN12_GLOBAL__N_135rocblas_gemm_batched_general_kernelI19rocblas_complex_numIfELi16ELi16ELi32ELi32ELi8ELi32ELi8ELi8ELi32ELc78ELc78EKPKS2_S5_KPS2_EEvlllT_PT11_llSA_llS8_PT12_llPT13_lli,"axG",@progbits,_ZN12_GLOBAL__N_135rocblas_gemm_batched_general_kernelI19rocblas_complex_numIfELi16ELi16ELi32ELi32ELi8ELi32ELi8ELi8ELi32ELc78ELc78EKPKS2_S5_KPS2_EEvlllT_PT11_llSA_llS8_PT12_llPT13_lli,comdat
.Lfunc_end241:
	.size	_ZN12_GLOBAL__N_135rocblas_gemm_batched_general_kernelI19rocblas_complex_numIfELi16ELi16ELi32ELi32ELi8ELi32ELi8ELi8ELi32ELc78ELc78EKPKS2_S5_KPS2_EEvlllT_PT11_llSA_llS8_PT12_llPT13_lli, .Lfunc_end241-_ZN12_GLOBAL__N_135rocblas_gemm_batched_general_kernelI19rocblas_complex_numIfELi16ELi16ELi32ELi32ELi8ELi32ELi8ELi8ELi32ELc78ELc78EKPKS2_S5_KPS2_EEvlllT_PT11_llSA_llS8_PT12_llPT13_lli
                                        ; -- End function
	.set _ZN12_GLOBAL__N_135rocblas_gemm_batched_general_kernelI19rocblas_complex_numIfELi16ELi16ELi32ELi32ELi8ELi32ELi8ELi8ELi32ELc78ELc78EKPKS2_S5_KPS2_EEvlllT_PT11_llSA_llS8_PT12_llPT13_lli.num_vgpr, 112
	.set _ZN12_GLOBAL__N_135rocblas_gemm_batched_general_kernelI19rocblas_complex_numIfELi16ELi16ELi32ELi32ELi8ELi32ELi8ELi8ELi32ELc78ELc78EKPKS2_S5_KPS2_EEvlllT_PT11_llSA_llS8_PT12_llPT13_lli.num_agpr, 0
	.set _ZN12_GLOBAL__N_135rocblas_gemm_batched_general_kernelI19rocblas_complex_numIfELi16ELi16ELi32ELi32ELi8ELi32ELi8ELi8ELi32ELc78ELc78EKPKS2_S5_KPS2_EEvlllT_PT11_llSA_llS8_PT12_llPT13_lli.numbered_sgpr, 46
	.set _ZN12_GLOBAL__N_135rocblas_gemm_batched_general_kernelI19rocblas_complex_numIfELi16ELi16ELi32ELi32ELi8ELi32ELi8ELi8ELi32ELc78ELc78EKPKS2_S5_KPS2_EEvlllT_PT11_llSA_llS8_PT12_llPT13_lli.num_named_barrier, 0
	.set _ZN12_GLOBAL__N_135rocblas_gemm_batched_general_kernelI19rocblas_complex_numIfELi16ELi16ELi32ELi32ELi8ELi32ELi8ELi8ELi32ELc78ELc78EKPKS2_S5_KPS2_EEvlllT_PT11_llSA_llS8_PT12_llPT13_lli.private_seg_size, 0
	.set _ZN12_GLOBAL__N_135rocblas_gemm_batched_general_kernelI19rocblas_complex_numIfELi16ELi16ELi32ELi32ELi8ELi32ELi8ELi8ELi32ELc78ELc78EKPKS2_S5_KPS2_EEvlllT_PT11_llSA_llS8_PT12_llPT13_lli.uses_vcc, 1
	.set _ZN12_GLOBAL__N_135rocblas_gemm_batched_general_kernelI19rocblas_complex_numIfELi16ELi16ELi32ELi32ELi8ELi32ELi8ELi8ELi32ELc78ELc78EKPKS2_S5_KPS2_EEvlllT_PT11_llSA_llS8_PT12_llPT13_lli.uses_flat_scratch, 0
	.set _ZN12_GLOBAL__N_135rocblas_gemm_batched_general_kernelI19rocblas_complex_numIfELi16ELi16ELi32ELi32ELi8ELi32ELi8ELi8ELi32ELc78ELc78EKPKS2_S5_KPS2_EEvlllT_PT11_llSA_llS8_PT12_llPT13_lli.has_dyn_sized_stack, 0
	.set _ZN12_GLOBAL__N_135rocblas_gemm_batched_general_kernelI19rocblas_complex_numIfELi16ELi16ELi32ELi32ELi8ELi32ELi8ELi8ELi32ELc78ELc78EKPKS2_S5_KPS2_EEvlllT_PT11_llSA_llS8_PT12_llPT13_lli.has_recursion, 0
	.set _ZN12_GLOBAL__N_135rocblas_gemm_batched_general_kernelI19rocblas_complex_numIfELi16ELi16ELi32ELi32ELi8ELi32ELi8ELi8ELi32ELc78ELc78EKPKS2_S5_KPS2_EEvlllT_PT11_llSA_llS8_PT12_llPT13_lli.has_indirect_call, 0
	.section	.AMDGPU.csdata,"",@progbits
; Kernel info:
; codeLenInByte = 3432
; TotalNumSgprs: 48
; NumVgprs: 112
; ScratchSize: 0
; MemoryBound: 0
; FloatMode: 240
; IeeeMode: 1
; LDSByteSize: 4096 bytes/workgroup (compile time only)
; SGPRBlocks: 0
; VGPRBlocks: 6
; NumSGPRsForWavesPerEU: 48
; NumVGPRsForWavesPerEU: 112
; NamedBarCnt: 0
; Occupancy: 9
; WaveLimiterHint : 1
; COMPUTE_PGM_RSRC2:SCRATCH_EN: 0
; COMPUTE_PGM_RSRC2:USER_SGPR: 2
; COMPUTE_PGM_RSRC2:TRAP_HANDLER: 0
; COMPUTE_PGM_RSRC2:TGID_X_EN: 1
; COMPUTE_PGM_RSRC2:TGID_Y_EN: 1
; COMPUTE_PGM_RSRC2:TGID_Z_EN: 1
; COMPUTE_PGM_RSRC2:TIDIG_COMP_CNT: 1
	.section	.text._ZN12_GLOBAL__N_135rocblas_gemm_batched_general_kernelI19rocblas_complex_numIfELi16ELi16ELi32ELi32ELi8ELi32ELi8ELi8ELi32ELc84ELc78EKPKS2_S5_KPS2_EEvlllT_PT11_llSA_llS8_PT12_llPT13_lli,"axG",@progbits,_ZN12_GLOBAL__N_135rocblas_gemm_batched_general_kernelI19rocblas_complex_numIfELi16ELi16ELi32ELi32ELi8ELi32ELi8ELi8ELi32ELc84ELc78EKPKS2_S5_KPS2_EEvlllT_PT11_llSA_llS8_PT12_llPT13_lli,comdat
	.globl	_ZN12_GLOBAL__N_135rocblas_gemm_batched_general_kernelI19rocblas_complex_numIfELi16ELi16ELi32ELi32ELi8ELi32ELi8ELi8ELi32ELc84ELc78EKPKS2_S5_KPS2_EEvlllT_PT11_llSA_llS8_PT12_llPT13_lli ; -- Begin function _ZN12_GLOBAL__N_135rocblas_gemm_batched_general_kernelI19rocblas_complex_numIfELi16ELi16ELi32ELi32ELi8ELi32ELi8ELi8ELi32ELc84ELc78EKPKS2_S5_KPS2_EEvlllT_PT11_llSA_llS8_PT12_llPT13_lli
	.p2align	8
	.type	_ZN12_GLOBAL__N_135rocblas_gemm_batched_general_kernelI19rocblas_complex_numIfELi16ELi16ELi32ELi32ELi8ELi32ELi8ELi8ELi32ELc84ELc78EKPKS2_S5_KPS2_EEvlllT_PT11_llSA_llS8_PT12_llPT13_lli,@function
_ZN12_GLOBAL__N_135rocblas_gemm_batched_general_kernelI19rocblas_complex_numIfELi16ELi16ELi32ELi32ELi8ELi32ELi8ELi8ELi32ELc84ELc78EKPKS2_S5_KPS2_EEvlllT_PT11_llSA_llS8_PT12_llPT13_lli: ; @_ZN12_GLOBAL__N_135rocblas_gemm_batched_general_kernelI19rocblas_complex_numIfELi16ELi16ELi32ELi32ELi8ELi32ELi8ELi8ELi32ELc84ELc78EKPKS2_S5_KPS2_EEvlllT_PT11_llSA_llS8_PT12_llPT13_lli
; %bb.0:
	s_load_b32 s33, s[0:1], 0x88
	s_bfe_u32 s2, ttmp6, 0x40014
	s_lshr_b32 s3, ttmp7, 16
	s_add_co_i32 s2, s2, 1
	s_bfe_u32 s5, ttmp6, 0x40008
	s_mul_i32 s4, s3, s2
	s_getreg_b32 s2, hwreg(HW_REG_IB_STS2, 6, 4)
	s_add_co_i32 s5, s5, s4
	s_cmp_eq_u32 s2, 0
	s_mov_b32 s35, 0
	s_cselect_b32 s34, s3, s5
	s_wait_kmcnt 0x0
	s_cmp_ge_i32 s34, s33
	s_cbranch_scc1 .LBB242_34
; %bb.1:
	v_bfe_u32 v10, v0, 10, 10
	v_and_b32_e32 v6, 0x3ff, v0
	s_clause 0x5
	s_load_b256 s[4:11], s[0:1], 0x0
	s_load_b256 s[12:19], s[0:1], 0x20
	s_load_b128 s[28:31], s[0:1], 0x78
	s_load_b256 s[20:27], s[0:1], 0x58
	s_load_b128 s[36:39], s[0:1], 0x40
	s_load_b64 s[40:41], s[0:1], 0x50
	s_wait_xcnt 0x0
	s_bfe_u32 s0, ttmp6, 0x4000c
	s_bfe_u32 s3, ttmp6, 0x40010
	s_add_co_i32 s0, s0, 1
	s_and_b32 s42, ttmp7, 0xffff
	s_add_co_i32 s3, s3, 1
	v_lshl_add_u32 v3, v10, 4, v6
	v_mov_b32_e32 v1, 0
	s_and_b32 s1, ttmp6, 15
	s_mul_i32 s0, ttmp9, s0
	s_mul_i32 s3, s42, s3
	s_bfe_u32 s43, ttmp6, 0x40004
	s_add_co_i32 s1, s1, s0
	s_add_co_i32 s43, s43, s3
	s_cmp_eq_u32 s2, 0
	v_dual_lshrrev_b32 v4, 3, v3 :: v_dual_bitop2_b32 v7, 31, v3 bitop3:0x40
	v_mov_b32_e32 v5, v1
	s_cselect_b32 s2, s42, s43
	s_cselect_b32 s0, ttmp9, s1
	s_lshl_b32 s2, s2, 5
	s_mov_b32 s3, s35
	s_ashr_i32 s1, s0, 31
	v_add_nc_u64_e32 v[8:9], s[2:3], v[4:5]
	s_lshl_b64 s[42:43], s[0:1], 5
	v_dual_mov_b32 v11, v1 :: v_dual_bitop2_b32 v2, 7, v0 bitop3:0x40
	v_dual_mov_b32 v13, s43 :: v_dual_bitop2_b32 v12, s42, v7 bitop3:0x54
	v_lshrrev_b32_e32 v0, 5, v3
	s_wait_kmcnt 0x0
	s_delay_alu instid0(VALU_DEP_4)
	v_mul_u64_e32 v[14:15], s[36:37], v[8:9]
	v_dual_lshlrev_b32 v5, 3, v7 :: v_dual_mov_b32 v7, v1
	v_mul_u64_e32 v[18:19], s[14:15], v[12:13]
	v_cmp_gt_i64_e64 s0, s[4:5], v[12:13]
	v_add_nc_u64_e32 v[12:13], s[2:3], v[10:11]
	v_dual_mov_b32 v3, v1 :: v_dual_lshlrev_b32 v16, 3, v2
	v_lshlrev_b32_e32 v36, 3, v6
	v_lshl_or_b32 v34, v0, 8, v5
	v_cmp_gt_i64_e64 s1, s[6:7], v[8:9]
	s_delay_alu instid0(VALU_DEP_4)
	v_lshl_or_b32 v17, v4, 6, v16
	v_add_nc_u64_e32 v[4:5], s[42:43], v[6:7]
	v_mul_u64_e32 v[6:7], s[28:29], v[12:13]
	v_mul_u64_e32 v[8:9], s[22:23], v[12:13]
	s_or_b32 s2, s40, s41
	v_lshl_add_u32 v37, v10, 6, 0x800
	v_add_nc_u64_e32 v[10:11], 16, v[12:13]
	s_bitset0_b32 s2, 31
	v_add_nc_u64_e32 v[20:21], 16, v[4:5]
	s_cmp_eq_u32 s2, 0
	v_add_nc_u32_e32 v35, 0x800, v17
	s_cselect_b32 s36, -1, 0
	s_lshl_b64 s[38:39], s[38:39], 3
	s_lshl_b64 s[16:17], s[16:17], 3
	v_cmp_gt_i64_e64 s2, s[6:7], v[12:13]
	v_cmp_gt_i64_e64 s3, s[4:5], v[4:5]
	;; [unrolled: 1-line block ×4, first 2 shown]
	v_mov_b32_e32 v17, v1
	v_cmp_gt_i64_e64 s37, s[8:9], 0
	s_mov_b32 s14, s11
	v_lshl_add_u64 v[10:11], v[14:15], 3, s[38:39]
	v_dual_mov_b32 v15, v1 :: v_dual_lshlrev_b32 v14, 3, v0
	v_lshl_add_u64 v[12:13], v[18:19], 3, s[16:17]
	s_mov_b32 s15, s11
	s_delay_alu instid0(VALU_DEP_3)
	v_add_nc_u64_e32 v[10:11], v[10:11], v[16:17]
	s_mov_b32 s11, s10
	s_lshl_b64 s[6:7], s[28:29], 4
	v_add_nc_u64_e32 v[12:13], v[12:13], v[14:15]
	s_mov_b32 s16, s41
	s_mov_b32 s17, s41
	;; [unrolled: 1-line block ×3, first 2 shown]
	s_lshl_b64 s[22:23], s[22:23], 4
	s_lshl_b64 s[28:29], s[30:31], 3
	;; [unrolled: 1-line block ×3, first 2 shown]
	s_branch .LBB242_4
.LBB242_2:                              ;   in Loop: Header=BB242_4 Depth=1
	s_wait_xcnt 0x0
	s_or_b32 exec_lo, exec_lo, s30
.LBB242_3:                              ;   in Loop: Header=BB242_4 Depth=1
	s_add_co_i32 s34, s34, 0x10000
	s_delay_alu instid0(SALU_CYCLE_1)
	s_cmp_lt_i32 s34, s33
	s_cbranch_scc0 .LBB242_34
.LBB242_4:                              ; =>This Loop Header: Depth=1
                                        ;     Child Loop BB242_7 Depth 2
	v_dual_mov_b32 v14, s34 :: v_dual_mov_b32 v21, 0
	v_dual_mov_b32 v20, 0 :: v_dual_mov_b32 v25, 0
	;; [unrolled: 1-line block ×3, first 2 shown]
	s_clause 0x1
	global_load_b64 v[16:17], v14, s[20:21] scale_offset
	global_load_b64 v[22:23], v14, s[26:27] scale_offset
	v_dual_mov_b32 v18, 0 :: v_dual_mov_b32 v15, 0
	s_wait_xcnt 0x0
	v_mov_b32_e32 v14, 0
	s_and_not1_b32 vcc_lo, exec_lo, s37
	s_cbranch_vccnz .LBB242_11
; %bb.5:                                ;   in Loop: Header=BB242_4 Depth=1
	s_lshl_b64 s[30:31], s[34:35], 3
	v_mov_b32_e32 v14, 0
	s_add_nc_u64 s[38:39], s[18:19], s[30:31]
	s_add_nc_u64 s[30:31], s[12:13], s[30:31]
	s_clause 0x1
	global_load_b64 v[20:21], v1, s[38:39]
	global_load_b64 v[28:29], v1, s[30:31]
	s_wait_xcnt 0x0
	s_mov_b64 s[30:31], 0
	v_dual_mov_b32 v15, v14 :: v_dual_mov_b32 v18, v14
	v_dual_mov_b32 v19, v14 :: v_dual_mov_b32 v24, v14
	v_mov_b32_e32 v25, v14
	s_wait_loadcnt 0x1
	v_add_nc_u64_e32 v[26:27], v[20:21], v[10:11]
	s_wait_loadcnt 0x0
	v_add_nc_u64_e32 v[28:29], v[28:29], v[12:13]
	v_dual_mov_b32 v20, v14 :: v_dual_mov_b32 v21, v14
	s_branch .LBB242_7
.LBB242_6:                              ;   in Loop: Header=BB242_7 Depth=2
	s_wait_xcnt 0x0
	s_or_b32 exec_lo, exec_lo, s38
	s_wait_loadcnt_dscnt 0x0
	ds_store_b64 v35, v[30:31]
	s_wait_dscnt 0x0
	s_barrier_signal -1
	s_barrier_wait -1
	ds_load_2addr_b64 v[30:33], v36 offset1:16
	ds_load_b128 v[38:41], v37
	ds_load_2addr_b64 v[42:45], v36 offset0:32 offset1:48
	ds_load_b128 v[46:49], v37 offset:1024
	ds_load_b128 v[50:53], v37 offset:16
	ds_load_2addr_b64 v[54:57], v36 offset0:64 offset1:80
	ds_load_2addr_b64 v[58:61], v36 offset0:96 offset1:112
	;; [unrolled: 1-line block ×3, first 2 shown]
	ds_load_b128 v[66:69], v37 offset:1040
	s_add_nc_u64 s[30:31], s[30:31], 8
	v_add_nc_u64_e32 v[26:27], 64, v[26:27]
	v_cmp_lt_i64_e64 s38, s[30:31], s[8:9]
	v_add_nc_u64_e32 v[28:29], 64, v[28:29]
	s_and_b32 vcc_lo, exec_lo, s38
	s_wait_dscnt 0x7
	v_pk_mul_f32 v[70:71], v[38:39], v[30:31] op_sel:[0,1]
	s_wait_dscnt 0x6
	v_pk_mul_f32 v[72:73], v[40:41], v[42:43] op_sel:[0,1]
	v_pk_mul_f32 v[74:75], v[38:39], v[32:33] op_sel:[0,1]
	;; [unrolled: 1-line block ×3, first 2 shown]
	s_wait_dscnt 0x5
	v_pk_mul_f32 v[78:79], v[46:47], v[30:31] op_sel:[0,1]
	v_pk_mul_f32 v[80:81], v[46:47], v[32:33] op_sel:[0,1]
	v_pk_fma_f32 v[82:83], v[38:39], v[30:31], v[70:71] op_sel:[0,0,1] op_sel_hi:[1,1,0] neg_lo:[0,0,1] neg_hi:[0,0,1]
	v_pk_fma_f32 v[84:85], v[38:39], v[30:31], v[70:71] op_sel:[0,0,1] op_sel_hi:[1,0,0]
	v_pk_fma_f32 v[86:87], v[40:41], v[42:43], v[72:73] op_sel:[0,0,1] op_sel_hi:[1,1,0] neg_lo:[0,0,1] neg_hi:[0,0,1]
	v_pk_fma_f32 v[88:89], v[40:41], v[42:43], v[72:73] op_sel:[0,0,1] op_sel_hi:[1,0,0]
	;; [unrolled: 2-line block ×3, first 2 shown]
	v_pk_fma_f32 v[92:93], v[40:41], v[44:45], v[76:77] op_sel:[0,0,1] op_sel_hi:[1,1,0] neg_lo:[0,0,1] neg_hi:[0,0,1]
	ds_load_b128 v[70:73], v37 offset:32
	v_pk_fma_f32 v[76:77], v[40:41], v[44:45], v[76:77] op_sel:[0,0,1] op_sel_hi:[1,0,0]
	v_pk_mul_f32 v[38:39], v[48:49], v[42:43] op_sel:[0,1]
	v_pk_mul_f32 v[40:41], v[48:49], v[44:45] op_sel:[0,1]
	v_pk_fma_f32 v[94:95], v[46:47], v[30:31], v[78:79] op_sel:[0,0,1] op_sel_hi:[1,1,0] neg_lo:[0,0,1] neg_hi:[0,0,1]
	v_pk_fma_f32 v[78:79], v[46:47], v[30:31], v[78:79] op_sel:[0,0,1] op_sel_hi:[1,0,0]
	v_pk_fma_f32 v[96:97], v[46:47], v[32:33], v[80:81] op_sel:[0,0,1] op_sel_hi:[1,1,0] neg_lo:[0,0,1] neg_hi:[0,0,1]
	v_pk_fma_f32 v[80:81], v[46:47], v[32:33], v[80:81] op_sel:[0,0,1] op_sel_hi:[1,0,0]
	v_pk_fma_f32 v[98:99], v[48:49], v[42:43], v[38:39] op_sel:[0,0,1] op_sel_hi:[1,1,0] neg_lo:[0,0,1] neg_hi:[0,0,1]
	s_wait_dscnt 0x4
	v_pk_mul_f32 v[46:47], v[50:51], v[54:55] op_sel:[0,1]
	v_pk_fma_f32 v[100:101], v[48:49], v[42:43], v[38:39] op_sel:[0,0,1] op_sel_hi:[1,0,0]
	ds_load_2addr_b64 v[30:33], v36 offset0:160 offset1:176
	v_pk_fma_f32 v[102:103], v[48:49], v[44:45], v[40:41] op_sel:[0,0,1] op_sel_hi:[1,1,0] neg_lo:[0,0,1] neg_hi:[0,0,1]
	s_wait_dscnt 0x4
	v_pk_mul_f32 v[38:39], v[52:53], v[58:59] op_sel:[0,1]
	v_pk_fma_f32 v[104:105], v[48:49], v[44:45], v[40:41] op_sel:[0,0,1] op_sel_hi:[1,0,0]
	v_pk_mul_f32 v[42:43], v[50:51], v[56:57] op_sel:[0,1]
	v_dual_mov_b32 v83, v85 :: v_dual_mov_b32 v87, v89
	v_pk_mul_f32 v[44:45], v[52:53], v[60:61] op_sel:[0,1]
	v_pk_fma_f32 v[106:107], v[50:51], v[54:55], v[46:47] op_sel:[0,0,1] op_sel_hi:[1,1,0] neg_lo:[0,0,1] neg_hi:[0,0,1]
	v_pk_fma_f32 v[46:47], v[50:51], v[54:55], v[46:47] op_sel:[0,0,1] op_sel_hi:[1,0,0]
	v_pk_fma_f32 v[108:109], v[52:53], v[58:59], v[38:39] op_sel:[0,0,1] op_sel_hi:[1,1,0] neg_lo:[0,0,1] neg_hi:[0,0,1]
	v_pk_fma_f32 v[84:85], v[52:53], v[58:59], v[38:39] op_sel:[0,0,1] op_sel_hi:[1,0,0]
	ds_load_b128 v[38:41], v37 offset:48
	v_pk_add_f32 v[20:21], v[20:21], v[82:83]
	v_pk_fma_f32 v[82:83], v[50:51], v[56:57], v[42:43] op_sel:[0,0,1] op_sel_hi:[1,1,0] neg_lo:[0,0,1] neg_hi:[0,0,1]
	v_pk_fma_f32 v[50:51], v[50:51], v[56:57], v[42:43] op_sel:[0,0,1] op_sel_hi:[1,0,0]
	v_pk_fma_f32 v[88:89], v[52:53], v[60:61], v[44:45] op_sel:[0,0,1] op_sel_hi:[1,1,0] neg_lo:[0,0,1] neg_hi:[0,0,1]
	v_pk_fma_f32 v[52:53], v[52:53], v[60:61], v[44:45] op_sel:[0,0,1] op_sel_hi:[1,0,0]
	ds_load_2addr_b64 v[42:45], v36 offset0:192 offset1:208
	s_wait_dscnt 0x3
	v_pk_mul_f32 v[110:111], v[70:71], v[62:63] op_sel:[0,1]
	v_dual_mov_b32 v91, v75 :: v_dual_mov_b32 v107, v47
	v_pk_add_f32 v[20:21], v[20:21], v[86:87]
	ds_load_2addr_b64 v[46:49], v36 offset0:224 offset1:240
	s_wait_dscnt 0x3
	v_pk_mul_f32 v[74:75], v[72:73], v[30:31] op_sel:[0,1]
	v_pk_add_f32 v[24:25], v[24:25], v[90:91]
	v_pk_fma_f32 v[90:91], v[70:71], v[62:63], v[110:111] op_sel:[0,0,1] op_sel_hi:[1,0,0]
	v_dual_mov_b32 v93, v77 :: v_dual_mov_b32 v109, v85
	v_pk_add_f32 v[20:21], v[20:21], v[106:107]
	v_pk_mul_f32 v[106:107], v[70:71], v[64:65] op_sel:[0,1]
	v_pk_mul_f32 v[84:85], v[72:73], v[32:33] op_sel:[0,1]
	v_pk_fma_f32 v[86:87], v[70:71], v[62:63], v[110:111] op_sel:[0,0,1] op_sel_hi:[1,1,0] neg_lo:[0,0,1] neg_hi:[0,0,1]
	v_pk_fma_f32 v[76:77], v[72:73], v[30:31], v[74:75] op_sel:[0,0,1] op_sel_hi:[1,1,0] neg_lo:[0,0,1] neg_hi:[0,0,1]
	v_pk_fma_f32 v[74:75], v[72:73], v[30:31], v[74:75] op_sel:[0,0,1] op_sel_hi:[1,0,0]
	v_pk_add_f32 v[24:25], v[24:25], v[92:93]
	v_pk_fma_f32 v[92:93], v[70:71], v[64:65], v[106:107] op_sel:[0,0,1] op_sel_hi:[1,1,0] neg_lo:[0,0,1] neg_hi:[0,0,1]
	v_pk_fma_f32 v[70:71], v[70:71], v[64:65], v[106:107] op_sel:[0,0,1] op_sel_hi:[1,0,0]
	v_dual_mov_b32 v83, v51 :: v_dual_mov_b32 v87, v91
	v_pk_fma_f32 v[106:107], v[72:73], v[32:33], v[84:85] op_sel:[0,0,1] op_sel_hi:[1,1,0] neg_lo:[0,0,1] neg_hi:[0,0,1]
	v_pk_fma_f32 v[50:51], v[72:73], v[32:33], v[84:85] op_sel:[0,0,1] op_sel_hi:[1,0,0]
	s_wait_dscnt 0x1
	v_pk_mul_f32 v[72:73], v[38:39], v[42:43] op_sel:[0,1]
	v_pk_add_f32 v[20:21], v[20:21], v[108:109]
	v_dual_mov_b32 v89, v53 :: v_dual_mov_b32 v77, v75
	v_pk_add_f32 v[24:25], v[24:25], v[82:83]
	s_delay_alu instid0(VALU_DEP_4)
	v_pk_fma_f32 v[52:53], v[38:39], v[42:43], v[72:73] op_sel:[0,0,1] op_sel_hi:[1,1,0] neg_lo:[0,0,1] neg_hi:[0,0,1]
	v_pk_fma_f32 v[72:73], v[38:39], v[42:43], v[72:73] op_sel:[0,0,1] op_sel_hi:[1,0,0]
	v_pk_add_f32 v[20:21], v[20:21], v[86:87]
	v_mov_b32_e32 v93, v71
	s_wait_dscnt 0x0
	v_pk_mul_f32 v[82:83], v[40:41], v[46:47] op_sel:[0,1]
	v_pk_mul_f32 v[74:75], v[38:39], v[44:45] op_sel:[0,1]
	v_mov_b32_e32 v53, v73
	v_pk_add_f32 v[20:21], v[20:21], v[76:77]
	v_dual_mov_b32 v107, v51 :: v_dual_mov_b32 v95, v79
	v_pk_fma_f32 v[84:85], v[40:41], v[46:47], v[82:83] op_sel:[0,0,1] op_sel_hi:[1,1,0] neg_lo:[0,0,1] neg_hi:[0,0,1]
	v_pk_fma_f32 v[82:83], v[40:41], v[46:47], v[82:83] op_sel:[0,0,1] op_sel_hi:[1,0,0]
	s_delay_alu instid0(VALU_DEP_4)
	v_pk_add_f32 v[20:21], v[20:21], v[52:53]
	ds_load_b128 v[50:53], v37 offset:1056
	v_pk_fma_f32 v[70:71], v[38:39], v[44:45], v[74:75] op_sel:[0,0,1] op_sel_hi:[1,1,0] neg_lo:[0,0,1] neg_hi:[0,0,1]
	v_pk_fma_f32 v[38:39], v[38:39], v[44:45], v[74:75] op_sel:[0,0,1] op_sel_hi:[1,0,0]
	v_pk_mul_f32 v[74:75], v[66:67], v[54:55] op_sel:[0,1]
	v_pk_add_f32 v[24:25], v[24:25], v[88:89]
	v_dual_mov_b32 v85, v83 :: v_dual_mov_b32 v99, v101
	v_pk_add_f32 v[18:19], v[18:19], v[94:95]
	s_delay_alu instid0(VALU_DEP_4)
	v_pk_fma_f32 v[76:77], v[66:67], v[54:55], v[74:75] op_sel:[0,0,1] op_sel_hi:[1,0,0]
	v_pk_mul_f32 v[86:87], v[40:41], v[48:49] op_sel:[0,1]
	v_pk_add_f32 v[24:25], v[24:25], v[92:93]
	v_mov_b32_e32 v71, v39
	v_pk_mul_f32 v[38:39], v[68:69], v[58:59] op_sel:[0,1]
	v_pk_fma_f32 v[54:55], v[66:67], v[54:55], v[74:75] op_sel:[0,0,1] op_sel_hi:[1,1,0] neg_lo:[0,0,1] neg_hi:[0,0,1]
	v_pk_add_f32 v[18:19], v[18:19], v[98:99]
	v_mov_b32_e32 v55, v77
	v_pk_fma_f32 v[72:73], v[40:41], v[48:49], v[86:87] op_sel:[0,0,1] op_sel_hi:[1,1,0] neg_lo:[0,0,1] neg_hi:[0,0,1]
	v_pk_add_f32 v[24:25], v[24:25], v[106:107]
	v_pk_fma_f32 v[74:75], v[40:41], v[48:49], v[86:87] op_sel:[0,0,1] op_sel_hi:[1,0,0]
	v_pk_fma_f32 v[40:41], v[68:69], v[58:59], v[38:39] op_sel:[0,0,1] op_sel_hi:[1,0,0]
	v_pk_add_f32 v[18:19], v[18:19], v[54:55]
	v_pk_fma_f32 v[54:55], v[68:69], v[58:59], v[38:39] op_sel:[0,0,1] op_sel_hi:[1,1,0] neg_lo:[0,0,1] neg_hi:[0,0,1]
	v_pk_add_f32 v[24:25], v[24:25], v[70:71]
	v_pk_mul_f32 v[58:59], v[66:67], v[56:57] op_sel:[0,1]
	v_dual_mov_b32 v55, v41 :: v_dual_mov_b32 v97, v81
	ds_load_b128 v[38:41], v37 offset:1072
	s_wait_dscnt 0x1
	v_pk_mul_f32 v[70:71], v[50:51], v[62:63] op_sel:[0,1]
	v_dual_mov_b32 v73, v75 :: v_dual_mov_b32 v103, v105
	v_pk_add_f32 v[18:19], v[18:19], v[54:55]
	v_pk_fma_f32 v[54:55], v[66:67], v[56:57], v[58:59] op_sel:[0,0,1] op_sel_hi:[1,1,0] neg_lo:[0,0,1] neg_hi:[0,0,1]
	s_delay_alu instid0(VALU_DEP_4)
	v_pk_fma_f32 v[74:75], v[50:51], v[62:63], v[70:71] op_sel:[0,0,1] op_sel_hi:[1,0,0]
	v_pk_add_f32 v[14:15], v[14:15], v[96:97]
	v_pk_mul_f32 v[76:77], v[52:53], v[30:31] op_sel:[0,1]
	v_pk_fma_f32 v[56:57], v[66:67], v[56:57], v[58:59] op_sel:[0,0,1] op_sel_hi:[1,0,0]
	v_pk_fma_f32 v[58:59], v[50:51], v[62:63], v[70:71] op_sel:[0,0,1] op_sel_hi:[1,1,0] neg_lo:[0,0,1] neg_hi:[0,0,1]
	v_mov_b32_e32 v59, v75
	v_pk_add_f32 v[14:15], v[14:15], v[102:103]
	v_pk_fma_f32 v[62:63], v[52:53], v[30:31], v[76:77] op_sel:[0,0,1] op_sel_hi:[1,0,0]
	v_pk_mul_f32 v[66:67], v[68:69], v[60:61] op_sel:[0,1]
	v_mov_b32_e32 v55, v57
	v_pk_fma_f32 v[30:31], v[52:53], v[30:31], v[76:77] op_sel:[0,0,1] op_sel_hi:[1,1,0] neg_lo:[0,0,1] neg_hi:[0,0,1]
	v_pk_add_f32 v[18:19], v[18:19], v[58:59]
	v_pk_add_f32 v[20:21], v[20:21], v[84:85]
	v_pk_fma_f32 v[56:57], v[68:69], v[60:61], v[66:67] op_sel:[0,0,1] op_sel_hi:[1,0,0]
	v_mov_b32_e32 v31, v63
	v_pk_add_f32 v[14:15], v[14:15], v[54:55]
	v_pk_mul_f32 v[54:55], v[50:51], v[64:65] op_sel:[0,1]
	v_pk_fma_f32 v[60:61], v[68:69], v[60:61], v[66:67] op_sel:[0,0,1] op_sel_hi:[1,1,0] neg_lo:[0,0,1] neg_hi:[0,0,1]
	s_wait_dscnt 0x0
	v_pk_mul_f32 v[58:59], v[38:39], v[42:43] op_sel:[0,1]
	v_mov_b32_e32 v61, v57
	v_pk_add_f32 v[18:19], v[18:19], v[30:31]
	v_pk_fma_f32 v[30:31], v[50:51], v[64:65], v[54:55] op_sel:[0,0,1] op_sel_hi:[1,0,0]
	v_pk_mul_f32 v[62:63], v[52:53], v[32:33] op_sel:[0,1]
	v_pk_fma_f32 v[50:51], v[50:51], v[64:65], v[54:55] op_sel:[0,0,1] op_sel_hi:[1,1,0] neg_lo:[0,0,1] neg_hi:[0,0,1]
	v_pk_fma_f32 v[56:57], v[38:39], v[42:43], v[58:59] op_sel:[0,0,1] op_sel_hi:[1,1,0] neg_lo:[0,0,1] neg_hi:[0,0,1]
	v_pk_add_f32 v[14:15], v[14:15], v[60:61]
	v_mov_b32_e32 v51, v31
	v_pk_fma_f32 v[30:31], v[38:39], v[42:43], v[58:59] op_sel:[0,0,1] op_sel_hi:[1,0,0]
	v_pk_fma_f32 v[42:43], v[52:53], v[32:33], v[62:63] op_sel:[0,0,1] op_sel_hi:[1,0,0]
	v_pk_mul_f32 v[58:59], v[38:39], v[44:45] op_sel:[0,1]
	v_pk_fma_f32 v[32:33], v[52:53], v[32:33], v[62:63] op_sel:[0,0,1] op_sel_hi:[1,1,0] neg_lo:[0,0,1] neg_hi:[0,0,1]
	v_pk_mul_f32 v[54:55], v[40:41], v[46:47] op_sel:[0,1]
	s_delay_alu instid0(VALU_DEP_4)
	v_dual_mov_b32 v57, v31 :: v_dual_mov_b32 v33, v43
	v_pk_add_f32 v[14:15], v[14:15], v[50:51]
	v_pk_fma_f32 v[30:31], v[38:39], v[44:45], v[58:59] op_sel:[0,0,1] op_sel_hi:[1,0,0]
	v_pk_mul_f32 v[50:51], v[40:41], v[48:49] op_sel:[0,1]
	v_pk_fma_f32 v[42:43], v[40:41], v[46:47], v[54:55] op_sel:[0,0,1] op_sel_hi:[1,0,0]
	v_pk_add_f32 v[24:25], v[24:25], v[72:73]
	v_pk_add_f32 v[14:15], v[14:15], v[32:33]
	v_pk_fma_f32 v[32:33], v[38:39], v[44:45], v[58:59] op_sel:[0,0,1] op_sel_hi:[1,1,0] neg_lo:[0,0,1] neg_hi:[0,0,1]
	v_mov_b32_e32 v33, v31
	v_pk_fma_f32 v[30:31], v[40:41], v[48:49], v[50:51] op_sel:[0,0,1] op_sel_hi:[1,0,0]
	v_pk_fma_f32 v[38:39], v[40:41], v[46:47], v[54:55] op_sel:[0,0,1] op_sel_hi:[1,1,0] neg_lo:[0,0,1] neg_hi:[0,0,1]
	v_pk_add_f32 v[18:19], v[18:19], v[56:57]
	v_mov_b32_e32 v39, v43
	v_pk_add_f32 v[14:15], v[14:15], v[32:33]
	v_pk_fma_f32 v[32:33], v[40:41], v[48:49], v[50:51] op_sel:[0,0,1] op_sel_hi:[1,1,0] neg_lo:[0,0,1] neg_hi:[0,0,1]
	v_mov_b32_e32 v33, v31
	s_delay_alu instid0(VALU_DEP_4) | instskip(SKIP_2) | instid1(VALU_DEP_2)
	v_pk_add_f32 v[18:19], v[18:19], v[38:39]
	s_barrier_signal -1
	s_barrier_wait -1
	v_pk_add_f32 v[14:15], v[14:15], v[32:33]
	s_cbranch_vccz .LBB242_11
.LBB242_7:                              ;   Parent Loop BB242_4 Depth=1
                                        ; =>  This Inner Loop Header: Depth=2
	v_add_nc_u64_e32 v[30:31], s[30:31], v[0:1]
	v_dual_mov_b32 v32, 0 :: v_dual_mov_b32 v33, 0
	s_delay_alu instid0(VALU_DEP_2) | instskip(SKIP_1) | instid1(SALU_CYCLE_1)
	v_cmp_gt_i64_e32 vcc_lo, s[8:9], v[30:31]
	s_and_b32 s39, s0, vcc_lo
	s_and_saveexec_b32 s38, s39
	s_cbranch_execz .LBB242_9
; %bb.8:                                ;   in Loop: Header=BB242_7 Depth=2
	flat_load_b64 v[32:33], v[28:29]
.LBB242_9:                              ;   in Loop: Header=BB242_7 Depth=2
	s_wait_xcnt 0x0
	s_or_b32 exec_lo, exec_lo, s38
	v_add_nc_u64_e32 v[30:31], s[30:31], v[2:3]
	s_wait_loadcnt_dscnt 0x0
	ds_store_b64 v34, v[32:33]
	v_cmp_gt_i64_e32 vcc_lo, s[8:9], v[30:31]
	v_dual_mov_b32 v30, 0 :: v_dual_mov_b32 v31, 0
	s_and_b32 s39, vcc_lo, s1
	s_delay_alu instid0(SALU_CYCLE_1)
	s_and_saveexec_b32 s38, s39
	s_cbranch_execz .LBB242_6
; %bb.10:                               ;   in Loop: Header=BB242_7 Depth=2
	flat_load_b64 v[30:31], v[26:27]
	s_branch .LBB242_6
.LBB242_11:                             ;   in Loop: Header=BB242_4 Depth=1
	s_wait_loadcnt 0x0
	v_add_nc_u64_e32 v[22:23], s[28:29], v[22:23]
	s_and_not1_b32 vcc_lo, exec_lo, s36
	s_mov_b32 s30, -1
	s_cbranch_vccz .LBB242_13
; %bb.12:                               ;   in Loop: Header=BB242_4 Depth=1
	s_and_not1_b32 vcc_lo, exec_lo, s30
	s_cbranch_vccnz .LBB242_3
	s_branch .LBB242_24
.LBB242_13:                             ;   in Loop: Header=BB242_4 Depth=1
	s_and_saveexec_b32 s30, s2
	s_cbranch_execz .LBB242_23
; %bb.14:                               ;   in Loop: Header=BB242_4 Depth=1
	s_delay_alu instid0(VALU_DEP_1) | instskip(NEXT) | instid1(VALU_DEP_1)
	v_lshl_add_u64 v[26:27], v[6:7], 3, v[22:23]
	v_lshl_add_u64 v[28:29], v[4:5], 3, v[26:27]
	s_and_saveexec_b32 s31, s3
	s_cbranch_execnz .LBB242_17
; %bb.15:                               ;   in Loop: Header=BB242_4 Depth=1
	s_or_b32 exec_lo, exec_lo, s31
	s_and_saveexec_b32 s31, s4
	s_cbranch_execnz .LBB242_18
.LBB242_16:                             ;   in Loop: Header=BB242_4 Depth=1
	s_or_b32 exec_lo, exec_lo, s31
	s_delay_alu instid0(SALU_CYCLE_1)
	s_and_b32 exec_lo, exec_lo, s5
	s_cbranch_execnz .LBB242_19
	s_branch .LBB242_23
.LBB242_17:                             ;   in Loop: Header=BB242_4 Depth=1
	v_mov_b64_e32 v[30:31], s[14:15]
	v_mov_b64_e32 v[32:33], s[10:11]
	s_delay_alu instid0(VALU_DEP_2) | instskip(NEXT) | instid1(VALU_DEP_1)
	v_pk_mul_f32 v[30:31], v[20:21], v[30:31] op_sel:[1,0] op_sel_hi:[0,1]
	v_pk_fma_f32 v[38:39], v[20:21], v[32:33], v[30:31]
	v_pk_fma_f32 v[30:31], v[20:21], v[32:33], v[30:31] neg_lo:[0,0,1] neg_hi:[0,0,1]
	s_delay_alu instid0(VALU_DEP_2)
	v_mov_b32_e32 v31, v39
	flat_store_b64 v[28:29], v[30:31]
	s_wait_xcnt 0x0
	s_or_b32 exec_lo, exec_lo, s31
	s_and_saveexec_b32 s31, s4
	s_cbranch_execz .LBB242_16
.LBB242_18:                             ;   in Loop: Header=BB242_4 Depth=1
	v_mov_b64_e32 v[30:31], s[14:15]
	v_mov_b64_e32 v[32:33], s[10:11]
	s_delay_alu instid0(VALU_DEP_2) | instskip(NEXT) | instid1(VALU_DEP_1)
	v_pk_mul_f32 v[30:31], v[24:25], v[30:31] op_sel:[1,0] op_sel_hi:[0,1]
	v_pk_fma_f32 v[38:39], v[24:25], v[32:33], v[30:31]
	v_pk_fma_f32 v[30:31], v[24:25], v[32:33], v[30:31] neg_lo:[0,0,1] neg_hi:[0,0,1]
	s_delay_alu instid0(VALU_DEP_2) | instskip(SKIP_3) | instid1(SALU_CYCLE_1)
	v_mov_b32_e32 v31, v39
	flat_store_b64 v[28:29], v[30:31] offset:128
	s_wait_xcnt 0x0
	s_or_b32 exec_lo, exec_lo, s31
	s_and_b32 exec_lo, exec_lo, s5
	s_cbranch_execz .LBB242_23
.LBB242_19:                             ;   in Loop: Header=BB242_4 Depth=1
	v_lshl_add_u64 v[26:27], s[6:7], 3, v[26:27]
	s_delay_alu instid0(VALU_DEP_1)
	v_lshl_add_u64 v[26:27], v[4:5], 3, v[26:27]
	s_and_saveexec_b32 s31, s3
	s_cbranch_execz .LBB242_21
; %bb.20:                               ;   in Loop: Header=BB242_4 Depth=1
	v_mov_b64_e32 v[28:29], s[14:15]
	v_mov_b64_e32 v[30:31], s[10:11]
	s_delay_alu instid0(VALU_DEP_2) | instskip(NEXT) | instid1(VALU_DEP_1)
	v_pk_mul_f32 v[28:29], v[18:19], v[28:29] op_sel:[1,0] op_sel_hi:[0,1]
	v_pk_fma_f32 v[32:33], v[18:19], v[30:31], v[28:29]
	v_pk_fma_f32 v[28:29], v[18:19], v[30:31], v[28:29] neg_lo:[0,0,1] neg_hi:[0,0,1]
	s_delay_alu instid0(VALU_DEP_2)
	v_mov_b32_e32 v29, v33
	flat_store_b64 v[26:27], v[28:29]
.LBB242_21:                             ;   in Loop: Header=BB242_4 Depth=1
	s_wait_xcnt 0x0
	s_or_b32 exec_lo, exec_lo, s31
	s_delay_alu instid0(SALU_CYCLE_1)
	s_and_b32 exec_lo, exec_lo, s4
	s_cbranch_execz .LBB242_23
; %bb.22:                               ;   in Loop: Header=BB242_4 Depth=1
	v_mov_b64_e32 v[28:29], s[14:15]
	v_mov_b64_e32 v[30:31], s[10:11]
	s_delay_alu instid0(VALU_DEP_2) | instskip(NEXT) | instid1(VALU_DEP_1)
	v_pk_mul_f32 v[28:29], v[14:15], v[28:29] op_sel:[1,0] op_sel_hi:[0,1]
	v_pk_fma_f32 v[32:33], v[14:15], v[30:31], v[28:29]
	v_pk_fma_f32 v[28:29], v[14:15], v[30:31], v[28:29] neg_lo:[0,0,1] neg_hi:[0,0,1]
	s_delay_alu instid0(VALU_DEP_2)
	v_mov_b32_e32 v29, v33
	flat_store_b64 v[26:27], v[28:29] offset:128
.LBB242_23:                             ;   in Loop: Header=BB242_4 Depth=1
	s_wait_xcnt 0x0
	s_or_b32 exec_lo, exec_lo, s30
	s_cbranch_execnz .LBB242_3
.LBB242_24:                             ;   in Loop: Header=BB242_4 Depth=1
	s_and_saveexec_b32 s30, s2
	s_cbranch_execz .LBB242_2
; %bb.25:                               ;   in Loop: Header=BB242_4 Depth=1
	v_add_nc_u64_e32 v[26:27], s[24:25], v[16:17]
	v_lshlrev_b64_e32 v[16:17], 3, v[4:5]
	v_lshl_add_u64 v[22:23], v[6:7], 3, v[22:23]
	s_delay_alu instid0(VALU_DEP_3) | instskip(NEXT) | instid1(VALU_DEP_2)
	v_lshl_add_u64 v[26:27], v[8:9], 3, v[26:27]
	v_add_nc_u64_e32 v[28:29], v[22:23], v[16:17]
	s_delay_alu instid0(VALU_DEP_2)
	v_add_nc_u64_e32 v[30:31], v[26:27], v[16:17]
	s_and_saveexec_b32 s31, s3
	s_cbranch_execnz .LBB242_28
; %bb.26:                               ;   in Loop: Header=BB242_4 Depth=1
	s_or_b32 exec_lo, exec_lo, s31
	s_and_saveexec_b32 s31, s4
	s_cbranch_execnz .LBB242_29
.LBB242_27:                             ;   in Loop: Header=BB242_4 Depth=1
	s_or_b32 exec_lo, exec_lo, s31
	s_delay_alu instid0(SALU_CYCLE_1)
	s_and_b32 exec_lo, exec_lo, s5
	s_cbranch_execz .LBB242_2
	s_branch .LBB242_30
.LBB242_28:                             ;   in Loop: Header=BB242_4 Depth=1
	flat_load_b64 v[32:33], v[30:31]
	v_mov_b64_e32 v[38:39], s[14:15]
	v_mov_b64_e32 v[40:41], s[16:17]
	;; [unrolled: 1-line block ×4, first 2 shown]
	s_delay_alu instid0(VALU_DEP_4) | instskip(NEXT) | instid1(VALU_DEP_1)
	v_pk_mul_f32 v[38:39], v[20:21], v[38:39] op_sel:[1,0] op_sel_hi:[0,1]
	v_pk_fma_f32 v[46:47], v[20:21], v[42:43], v[38:39]
	v_pk_fma_f32 v[20:21], v[20:21], v[42:43], v[38:39] neg_lo:[0,0,1] neg_hi:[0,0,1]
	s_wait_loadcnt_dscnt 0x0
	v_pk_mul_f32 v[40:41], v[32:33], v[40:41] op_sel:[1,0] op_sel_hi:[0,1]
	s_delay_alu instid0(VALU_DEP_1) | instskip(SKIP_1) | instid1(VALU_DEP_2)
	v_pk_fma_f32 v[48:49], v[32:33], v[44:45], v[40:41]
	v_pk_fma_f32 v[32:33], v[32:33], v[44:45], v[40:41] neg_lo:[0,0,1] neg_hi:[0,0,1]
	v_dual_mov_b32 v21, v47 :: v_dual_mov_b32 v33, v49
	s_delay_alu instid0(VALU_DEP_1)
	v_pk_add_f32 v[20:21], v[20:21], v[32:33]
	flat_store_b64 v[28:29], v[20:21]
	s_wait_xcnt 0x0
	s_or_b32 exec_lo, exec_lo, s31
	s_and_saveexec_b32 s31, s4
	s_cbranch_execz .LBB242_27
.LBB242_29:                             ;   in Loop: Header=BB242_4 Depth=1
	flat_load_b64 v[20:21], v[30:31] offset:128
	s_wait_xcnt 0x0
	v_mov_b64_e32 v[30:31], s[14:15]
	v_mov_b64_e32 v[32:33], s[16:17]
	;; [unrolled: 1-line block ×4, first 2 shown]
	s_delay_alu instid0(VALU_DEP_4) | instskip(NEXT) | instid1(VALU_DEP_1)
	v_pk_mul_f32 v[30:31], v[24:25], v[30:31] op_sel:[1,0] op_sel_hi:[0,1]
	v_pk_fma_f32 v[42:43], v[24:25], v[38:39], v[30:31]
	v_pk_fma_f32 v[24:25], v[24:25], v[38:39], v[30:31] neg_lo:[0,0,1] neg_hi:[0,0,1]
	s_wait_loadcnt_dscnt 0x0
	v_pk_mul_f32 v[32:33], v[20:21], v[32:33] op_sel:[1,0] op_sel_hi:[0,1]
	s_delay_alu instid0(VALU_DEP_1) | instskip(SKIP_1) | instid1(VALU_DEP_2)
	v_pk_fma_f32 v[44:45], v[20:21], v[40:41], v[32:33]
	v_pk_fma_f32 v[20:21], v[20:21], v[40:41], v[32:33] neg_lo:[0,0,1] neg_hi:[0,0,1]
	v_dual_mov_b32 v25, v43 :: v_dual_mov_b32 v21, v45
	s_delay_alu instid0(VALU_DEP_1) | instskip(SKIP_3) | instid1(SALU_CYCLE_1)
	v_pk_add_f32 v[20:21], v[24:25], v[20:21]
	flat_store_b64 v[28:29], v[20:21] offset:128
	s_wait_xcnt 0x0
	s_or_b32 exec_lo, exec_lo, s31
	s_and_b32 exec_lo, exec_lo, s5
	s_cbranch_execz .LBB242_2
.LBB242_30:                             ;   in Loop: Header=BB242_4 Depth=1
	v_lshl_add_u64 v[20:21], s[22:23], 3, v[26:27]
	v_lshl_add_u64 v[22:23], s[6:7], 3, v[22:23]
	s_delay_alu instid0(VALU_DEP_2) | instskip(NEXT) | instid1(VALU_DEP_2)
	v_add_nc_u64_e32 v[20:21], v[20:21], v[16:17]
	v_add_nc_u64_e32 v[16:17], v[22:23], v[16:17]
	s_and_saveexec_b32 s31, s3
	s_cbranch_execz .LBB242_32
; %bb.31:                               ;   in Loop: Header=BB242_4 Depth=1
	flat_load_b64 v[22:23], v[20:21]
	v_mov_b64_e32 v[24:25], s[14:15]
	v_mov_b64_e32 v[26:27], s[16:17]
	;; [unrolled: 1-line block ×4, first 2 shown]
	s_delay_alu instid0(VALU_DEP_4) | instskip(NEXT) | instid1(VALU_DEP_1)
	v_pk_mul_f32 v[24:25], v[18:19], v[24:25] op_sel:[1,0] op_sel_hi:[0,1]
	v_pk_fma_f32 v[32:33], v[18:19], v[28:29], v[24:25]
	v_pk_fma_f32 v[18:19], v[18:19], v[28:29], v[24:25] neg_lo:[0,0,1] neg_hi:[0,0,1]
	s_wait_loadcnt_dscnt 0x0
	v_pk_mul_f32 v[26:27], v[22:23], v[26:27] op_sel:[1,0] op_sel_hi:[0,1]
	s_delay_alu instid0(VALU_DEP_1) | instskip(SKIP_1) | instid1(VALU_DEP_2)
	v_pk_fma_f32 v[38:39], v[22:23], v[30:31], v[26:27]
	v_pk_fma_f32 v[22:23], v[22:23], v[30:31], v[26:27] neg_lo:[0,0,1] neg_hi:[0,0,1]
	v_dual_mov_b32 v19, v33 :: v_dual_mov_b32 v23, v39
	s_delay_alu instid0(VALU_DEP_1)
	v_pk_add_f32 v[18:19], v[18:19], v[22:23]
	flat_store_b64 v[16:17], v[18:19]
.LBB242_32:                             ;   in Loop: Header=BB242_4 Depth=1
	s_wait_xcnt 0x0
	s_or_b32 exec_lo, exec_lo, s31
	s_delay_alu instid0(SALU_CYCLE_1)
	s_and_b32 exec_lo, exec_lo, s4
	s_cbranch_execz .LBB242_2
; %bb.33:                               ;   in Loop: Header=BB242_4 Depth=1
	flat_load_b64 v[18:19], v[20:21] offset:128
	s_wait_xcnt 0x0
	v_mov_b64_e32 v[20:21], s[14:15]
	v_mov_b64_e32 v[22:23], s[16:17]
	;; [unrolled: 1-line block ×4, first 2 shown]
	s_delay_alu instid0(VALU_DEP_4) | instskip(NEXT) | instid1(VALU_DEP_1)
	v_pk_mul_f32 v[20:21], v[14:15], v[20:21] op_sel:[1,0] op_sel_hi:[0,1]
	v_pk_fma_f32 v[28:29], v[14:15], v[24:25], v[20:21]
	v_pk_fma_f32 v[14:15], v[14:15], v[24:25], v[20:21] neg_lo:[0,0,1] neg_hi:[0,0,1]
	s_wait_loadcnt_dscnt 0x0
	v_pk_mul_f32 v[22:23], v[18:19], v[22:23] op_sel:[1,0] op_sel_hi:[0,1]
	s_delay_alu instid0(VALU_DEP_1) | instskip(SKIP_1) | instid1(VALU_DEP_2)
	v_pk_fma_f32 v[30:31], v[18:19], v[26:27], v[22:23]
	v_pk_fma_f32 v[18:19], v[18:19], v[26:27], v[22:23] neg_lo:[0,0,1] neg_hi:[0,0,1]
	v_dual_mov_b32 v15, v29 :: v_dual_mov_b32 v19, v31
	s_delay_alu instid0(VALU_DEP_1)
	v_pk_add_f32 v[14:15], v[14:15], v[18:19]
	flat_store_b64 v[16:17], v[14:15] offset:128
	s_branch .LBB242_2
.LBB242_34:
	s_sendmsg sendmsg(MSG_DEALLOC_VGPRS)
	s_endpgm
	.section	.rodata,"a",@progbits
	.p2align	6, 0x0
	.amdhsa_kernel _ZN12_GLOBAL__N_135rocblas_gemm_batched_general_kernelI19rocblas_complex_numIfELi16ELi16ELi32ELi32ELi8ELi32ELi8ELi8ELi32ELc84ELc78EKPKS2_S5_KPS2_EEvlllT_PT11_llSA_llS8_PT12_llPT13_lli
		.amdhsa_group_segment_fixed_size 4096
		.amdhsa_private_segment_fixed_size 0
		.amdhsa_kernarg_size 140
		.amdhsa_user_sgpr_count 2
		.amdhsa_user_sgpr_dispatch_ptr 0
		.amdhsa_user_sgpr_queue_ptr 0
		.amdhsa_user_sgpr_kernarg_segment_ptr 1
		.amdhsa_user_sgpr_dispatch_id 0
		.amdhsa_user_sgpr_kernarg_preload_length 0
		.amdhsa_user_sgpr_kernarg_preload_offset 0
		.amdhsa_user_sgpr_private_segment_size 0
		.amdhsa_wavefront_size32 1
		.amdhsa_uses_dynamic_stack 0
		.amdhsa_enable_private_segment 0
		.amdhsa_system_sgpr_workgroup_id_x 1
		.amdhsa_system_sgpr_workgroup_id_y 1
		.amdhsa_system_sgpr_workgroup_id_z 1
		.amdhsa_system_sgpr_workgroup_info 0
		.amdhsa_system_vgpr_workitem_id 1
		.amdhsa_next_free_vgpr 112
		.amdhsa_next_free_sgpr 44
		.amdhsa_named_barrier_count 0
		.amdhsa_reserve_vcc 1
		.amdhsa_float_round_mode_32 0
		.amdhsa_float_round_mode_16_64 0
		.amdhsa_float_denorm_mode_32 3
		.amdhsa_float_denorm_mode_16_64 3
		.amdhsa_fp16_overflow 0
		.amdhsa_memory_ordered 1
		.amdhsa_forward_progress 1
		.amdhsa_inst_pref_size 27
		.amdhsa_round_robin_scheduling 0
		.amdhsa_exception_fp_ieee_invalid_op 0
		.amdhsa_exception_fp_denorm_src 0
		.amdhsa_exception_fp_ieee_div_zero 0
		.amdhsa_exception_fp_ieee_overflow 0
		.amdhsa_exception_fp_ieee_underflow 0
		.amdhsa_exception_fp_ieee_inexact 0
		.amdhsa_exception_int_div_zero 0
	.end_amdhsa_kernel
	.section	.text._ZN12_GLOBAL__N_135rocblas_gemm_batched_general_kernelI19rocblas_complex_numIfELi16ELi16ELi32ELi32ELi8ELi32ELi8ELi8ELi32ELc84ELc78EKPKS2_S5_KPS2_EEvlllT_PT11_llSA_llS8_PT12_llPT13_lli,"axG",@progbits,_ZN12_GLOBAL__N_135rocblas_gemm_batched_general_kernelI19rocblas_complex_numIfELi16ELi16ELi32ELi32ELi8ELi32ELi8ELi8ELi32ELc84ELc78EKPKS2_S5_KPS2_EEvlllT_PT11_llSA_llS8_PT12_llPT13_lli,comdat
.Lfunc_end242:
	.size	_ZN12_GLOBAL__N_135rocblas_gemm_batched_general_kernelI19rocblas_complex_numIfELi16ELi16ELi32ELi32ELi8ELi32ELi8ELi8ELi32ELc84ELc78EKPKS2_S5_KPS2_EEvlllT_PT11_llSA_llS8_PT12_llPT13_lli, .Lfunc_end242-_ZN12_GLOBAL__N_135rocblas_gemm_batched_general_kernelI19rocblas_complex_numIfELi16ELi16ELi32ELi32ELi8ELi32ELi8ELi8ELi32ELc84ELc78EKPKS2_S5_KPS2_EEvlllT_PT11_llSA_llS8_PT12_llPT13_lli
                                        ; -- End function
	.set _ZN12_GLOBAL__N_135rocblas_gemm_batched_general_kernelI19rocblas_complex_numIfELi16ELi16ELi32ELi32ELi8ELi32ELi8ELi8ELi32ELc84ELc78EKPKS2_S5_KPS2_EEvlllT_PT11_llSA_llS8_PT12_llPT13_lli.num_vgpr, 112
	.set _ZN12_GLOBAL__N_135rocblas_gemm_batched_general_kernelI19rocblas_complex_numIfELi16ELi16ELi32ELi32ELi8ELi32ELi8ELi8ELi32ELc84ELc78EKPKS2_S5_KPS2_EEvlllT_PT11_llSA_llS8_PT12_llPT13_lli.num_agpr, 0
	.set _ZN12_GLOBAL__N_135rocblas_gemm_batched_general_kernelI19rocblas_complex_numIfELi16ELi16ELi32ELi32ELi8ELi32ELi8ELi8ELi32ELc84ELc78EKPKS2_S5_KPS2_EEvlllT_PT11_llSA_llS8_PT12_llPT13_lli.numbered_sgpr, 44
	.set _ZN12_GLOBAL__N_135rocblas_gemm_batched_general_kernelI19rocblas_complex_numIfELi16ELi16ELi32ELi32ELi8ELi32ELi8ELi8ELi32ELc84ELc78EKPKS2_S5_KPS2_EEvlllT_PT11_llSA_llS8_PT12_llPT13_lli.num_named_barrier, 0
	.set _ZN12_GLOBAL__N_135rocblas_gemm_batched_general_kernelI19rocblas_complex_numIfELi16ELi16ELi32ELi32ELi8ELi32ELi8ELi8ELi32ELc84ELc78EKPKS2_S5_KPS2_EEvlllT_PT11_llSA_llS8_PT12_llPT13_lli.private_seg_size, 0
	.set _ZN12_GLOBAL__N_135rocblas_gemm_batched_general_kernelI19rocblas_complex_numIfELi16ELi16ELi32ELi32ELi8ELi32ELi8ELi8ELi32ELc84ELc78EKPKS2_S5_KPS2_EEvlllT_PT11_llSA_llS8_PT12_llPT13_lli.uses_vcc, 1
	.set _ZN12_GLOBAL__N_135rocblas_gemm_batched_general_kernelI19rocblas_complex_numIfELi16ELi16ELi32ELi32ELi8ELi32ELi8ELi8ELi32ELc84ELc78EKPKS2_S5_KPS2_EEvlllT_PT11_llSA_llS8_PT12_llPT13_lli.uses_flat_scratch, 0
	.set _ZN12_GLOBAL__N_135rocblas_gemm_batched_general_kernelI19rocblas_complex_numIfELi16ELi16ELi32ELi32ELi8ELi32ELi8ELi8ELi32ELc84ELc78EKPKS2_S5_KPS2_EEvlllT_PT11_llSA_llS8_PT12_llPT13_lli.has_dyn_sized_stack, 0
	.set _ZN12_GLOBAL__N_135rocblas_gemm_batched_general_kernelI19rocblas_complex_numIfELi16ELi16ELi32ELi32ELi8ELi32ELi8ELi8ELi32ELc84ELc78EKPKS2_S5_KPS2_EEvlllT_PT11_llSA_llS8_PT12_llPT13_lli.has_recursion, 0
	.set _ZN12_GLOBAL__N_135rocblas_gemm_batched_general_kernelI19rocblas_complex_numIfELi16ELi16ELi32ELi32ELi8ELi32ELi8ELi8ELi32ELc84ELc78EKPKS2_S5_KPS2_EEvlllT_PT11_llSA_llS8_PT12_llPT13_lli.has_indirect_call, 0
	.section	.AMDGPU.csdata,"",@progbits
; Kernel info:
; codeLenInByte = 3436
; TotalNumSgprs: 46
; NumVgprs: 112
; ScratchSize: 0
; MemoryBound: 0
; FloatMode: 240
; IeeeMode: 1
; LDSByteSize: 4096 bytes/workgroup (compile time only)
; SGPRBlocks: 0
; VGPRBlocks: 6
; NumSGPRsForWavesPerEU: 46
; NumVGPRsForWavesPerEU: 112
; NamedBarCnt: 0
; Occupancy: 9
; WaveLimiterHint : 1
; COMPUTE_PGM_RSRC2:SCRATCH_EN: 0
; COMPUTE_PGM_RSRC2:USER_SGPR: 2
; COMPUTE_PGM_RSRC2:TRAP_HANDLER: 0
; COMPUTE_PGM_RSRC2:TGID_X_EN: 1
; COMPUTE_PGM_RSRC2:TGID_Y_EN: 1
; COMPUTE_PGM_RSRC2:TGID_Z_EN: 1
; COMPUTE_PGM_RSRC2:TIDIG_COMP_CNT: 1
	.section	.text._ZN12_GLOBAL__N_135rocblas_gemm_batched_general_kernelI19rocblas_complex_numIfELi16ELi16ELi32ELi32ELi8ELi32ELi8ELi8ELi32ELc78ELc84EKPKS2_S5_KPS2_EEvlllT_PT11_llSA_llS8_PT12_llPT13_lli,"axG",@progbits,_ZN12_GLOBAL__N_135rocblas_gemm_batched_general_kernelI19rocblas_complex_numIfELi16ELi16ELi32ELi32ELi8ELi32ELi8ELi8ELi32ELc78ELc84EKPKS2_S5_KPS2_EEvlllT_PT11_llSA_llS8_PT12_llPT13_lli,comdat
	.globl	_ZN12_GLOBAL__N_135rocblas_gemm_batched_general_kernelI19rocblas_complex_numIfELi16ELi16ELi32ELi32ELi8ELi32ELi8ELi8ELi32ELc78ELc84EKPKS2_S5_KPS2_EEvlllT_PT11_llSA_llS8_PT12_llPT13_lli ; -- Begin function _ZN12_GLOBAL__N_135rocblas_gemm_batched_general_kernelI19rocblas_complex_numIfELi16ELi16ELi32ELi32ELi8ELi32ELi8ELi8ELi32ELc78ELc84EKPKS2_S5_KPS2_EEvlllT_PT11_llSA_llS8_PT12_llPT13_lli
	.p2align	8
	.type	_ZN12_GLOBAL__N_135rocblas_gemm_batched_general_kernelI19rocblas_complex_numIfELi16ELi16ELi32ELi32ELi8ELi32ELi8ELi8ELi32ELc78ELc84EKPKS2_S5_KPS2_EEvlllT_PT11_llSA_llS8_PT12_llPT13_lli,@function
_ZN12_GLOBAL__N_135rocblas_gemm_batched_general_kernelI19rocblas_complex_numIfELi16ELi16ELi32ELi32ELi8ELi32ELi8ELi8ELi32ELc78ELc84EKPKS2_S5_KPS2_EEvlllT_PT11_llSA_llS8_PT12_llPT13_lli: ; @_ZN12_GLOBAL__N_135rocblas_gemm_batched_general_kernelI19rocblas_complex_numIfELi16ELi16ELi32ELi32ELi8ELi32ELi8ELi8ELi32ELc78ELc84EKPKS2_S5_KPS2_EEvlllT_PT11_llSA_llS8_PT12_llPT13_lli
; %bb.0:
	s_load_b32 s33, s[0:1], 0x88
	s_bfe_u32 s2, ttmp6, 0x40014
	s_lshr_b32 s3, ttmp7, 16
	s_add_co_i32 s2, s2, 1
	s_bfe_u32 s5, ttmp6, 0x40008
	s_mul_i32 s4, s3, s2
	s_getreg_b32 s2, hwreg(HW_REG_IB_STS2, 6, 4)
	s_add_co_i32 s5, s5, s4
	s_cmp_eq_u32 s2, 0
	s_mov_b32 s35, 0
	s_cselect_b32 s34, s3, s5
	s_wait_kmcnt 0x0
	s_cmp_ge_i32 s34, s33
	s_cbranch_scc1 .LBB243_34
; %bb.1:
	s_clause 0x5
	s_load_b256 s[4:11], s[0:1], 0x0
	s_load_b256 s[12:19], s[0:1], 0x20
	s_load_b128 s[28:31], s[0:1], 0x78
	s_load_b256 s[20:27], s[0:1], 0x58
	s_load_b128 s[36:39], s[0:1], 0x40
	s_load_b64 s[40:41], s[0:1], 0x50
	s_wait_xcnt 0x0
	s_bfe_u32 s0, ttmp6, 0x4000c
	s_bfe_u32 s3, ttmp6, 0x40010
	s_add_co_i32 s0, s0, 1
	s_and_b32 s42, ttmp7, 0xffff
	s_add_co_i32 s3, s3, 1
	v_bfe_u32 v6, v0, 10, 10
	v_and_b32_e32 v8, 0x3ff, v0
	s_and_b32 s1, ttmp6, 15
	s_mul_i32 s0, ttmp9, s0
	s_mul_i32 s3, s42, s3
	s_bfe_u32 s43, ttmp6, 0x40004
	s_add_co_i32 s1, s1, s0
	s_add_co_i32 s43, s43, s3
	s_cmp_eq_u32 s2, 0
	v_lshl_add_u32 v15, v6, 4, v8
	s_cselect_b32 s46, ttmp9, s1
	v_dual_mov_b32 v3, 0 :: v_dual_bitop2_b32 v0, 7, v0 bitop3:0x40
	s_cselect_b32 s45, s42, s43
	s_ashr_i32 s47, s46, 31
	v_and_b32_e32 v9, 31, v15
	s_lshl_b64 s[2:3], s[46:47], 5
	v_dual_mov_b32 v5, v3 :: v_dual_lshrrev_b32 v4, 3, v15
	v_dual_mov_b32 v11, s3 :: v_dual_lshlrev_b32 v16, 3, v0
	s_delay_alu instid0(VALU_DEP_3)
	v_dual_mov_b32 v1, v3 :: v_dual_lshlrev_b32 v14, 3, v9
	s_lshl_b32 s42, s45, 5
	s_mov_b32 s43, s35
	v_dual_mov_b32 v7, v3 :: v_dual_lshrrev_b32 v2, 5, v15
	v_or_b32_e32 v10, s2, v9
	v_add_nc_u64_e32 v[12:13], s[42:43], v[4:5]
	v_lshl_or_b32 v4, v4, 6, v16
	s_wait_kmcnt 0x0
	v_mul_u64_e32 v[16:17], s[36:37], v[0:1]
	v_dual_mov_b32 v9, v3 :: v_dual_lshlrev_b32 v36, 3, v8
	v_cmp_gt_i64_e64 s0, s[4:5], v[10:11]
	v_mul_u64_e32 v[10:11], s[14:15], v[2:3]
	v_cmp_gt_i64_e64 s1, s[6:7], v[12:13]
	v_add_nc_u64_e32 v[12:13], s[42:43], v[6:7]
	v_add_nc_u32_e32 v35, 0x800, v4
	v_add_nc_u64_e32 v[4:5], s[2:3], v[8:9]
	v_lshl_add_u32 v37, v6, 6, 0x800
	s_or_b32 s2, s40, s41
	s_mov_b32 s49, s35
	s_bitset0_b32 s2, 31
	v_mul_u64_e32 v[6:7], s[28:29], v[12:13]
	v_mul_u64_e32 v[8:9], s[22:23], v[12:13]
	s_cmp_eq_u32 s2, 0
	v_add_nc_u64_e32 v[18:19], 16, v[4:5]
	s_cselect_b32 s44, -1, 0
	s_lshl_b32 s48, s45, 8
	s_lshl_b64 s[38:39], s[38:39], 3
	v_cmp_gt_i64_e64 s2, s[6:7], v[12:13]
	s_add_nc_u64 s[38:39], s[38:39], s[48:49]
	v_add_nc_u64_e32 v[20:21], 16, v[12:13]
	s_lshl_b64 s[16:17], s[16:17], 3
	v_cmp_gt_i64_e64 s3, s[4:5], v[4:5]
	v_cmp_gt_i64_e64 s4, s[4:5], v[18:19]
	v_lshl_or_b32 v34, v2, 8, v14
	s_mov_b32 s42, s11
	s_mov_b32 s43, s11
	v_cmp_gt_i64_e64 s5, s[6:7], v[20:21]
	s_mov_b32 s11, s10
	s_lshl_b64 s[6:7], s[28:29], 4
	v_lshl_add_u64 v[12:13], v[16:17], 3, s[38:39]
	s_lshl_b64 s[38:39], s[46:47], 8
	v_and_b32_e32 v16, 0x1ff8, v15
	s_add_nc_u64 s[16:17], s[16:17], s[38:39]
	v_dual_mov_b32 v17, v3 :: v_dual_mov_b32 v15, v3
	v_lshl_add_u64 v[18:19], v[10:11], 3, s[16:17]
	v_cmp_gt_i64_e64 s38, s[8:9], 0
	s_mov_b32 s28, s41
	v_add_nc_u64_e32 v[10:11], v[12:13], v[16:17]
	s_mov_b32 s29, s41
	v_add_nc_u64_e32 v[12:13], v[18:19], v[14:15]
	s_mov_b32 s41, s40
	s_lshl_b64 s[16:17], s[22:23], 4
	s_lshl_b64 s[22:23], s[36:37], 6
	;; [unrolled: 1-line block ×5, first 2 shown]
	s_branch .LBB243_4
.LBB243_2:                              ;   in Loop: Header=BB243_4 Depth=1
	s_wait_xcnt 0x0
	s_or_b32 exec_lo, exec_lo, s36
.LBB243_3:                              ;   in Loop: Header=BB243_4 Depth=1
	s_add_co_i32 s34, s34, 0x10000
	s_delay_alu instid0(SALU_CYCLE_1)
	s_cmp_lt_i32 s34, s33
	s_cbranch_scc0 .LBB243_34
.LBB243_4:                              ; =>This Loop Header: Depth=1
                                        ;     Child Loop BB243_7 Depth 2
	v_dual_mov_b32 v14, s34 :: v_dual_mov_b32 v21, 0
	v_dual_mov_b32 v20, 0 :: v_dual_mov_b32 v25, 0
	;; [unrolled: 1-line block ×3, first 2 shown]
	s_clause 0x1
	global_load_b64 v[16:17], v14, s[20:21] scale_offset
	global_load_b64 v[22:23], v14, s[26:27] scale_offset
	v_dual_mov_b32 v18, 0 :: v_dual_mov_b32 v15, 0
	s_wait_xcnt 0x0
	v_mov_b32_e32 v14, 0
	s_and_not1_b32 vcc_lo, exec_lo, s38
	s_cbranch_vccnz .LBB243_11
; %bb.5:                                ;   in Loop: Header=BB243_4 Depth=1
	s_lshl_b64 s[36:37], s[34:35], 3
	v_mov_b32_e32 v14, 0
	s_add_nc_u64 s[46:47], s[18:19], s[36:37]
	s_add_nc_u64 s[36:37], s[12:13], s[36:37]
	s_clause 0x1
	global_load_b64 v[20:21], v3, s[46:47]
	global_load_b64 v[28:29], v3, s[36:37]
	s_wait_xcnt 0x0
	s_mov_b64 s[36:37], 0
	v_dual_mov_b32 v15, v14 :: v_dual_mov_b32 v18, v14
	v_dual_mov_b32 v19, v14 :: v_dual_mov_b32 v24, v14
	v_mov_b32_e32 v25, v14
	s_wait_loadcnt 0x1
	v_add_nc_u64_e32 v[26:27], v[20:21], v[10:11]
	s_wait_loadcnt 0x0
	v_add_nc_u64_e32 v[28:29], v[28:29], v[12:13]
	v_dual_mov_b32 v20, v14 :: v_dual_mov_b32 v21, v14
	s_branch .LBB243_7
.LBB243_6:                              ;   in Loop: Header=BB243_7 Depth=2
	s_wait_xcnt 0x0
	s_or_b32 exec_lo, exec_lo, s39
	s_wait_loadcnt_dscnt 0x0
	ds_store_b64 v35, v[30:31]
	s_wait_dscnt 0x0
	s_barrier_signal -1
	s_barrier_wait -1
	ds_load_2addr_b64 v[30:33], v36 offset1:16
	ds_load_b128 v[38:41], v37
	ds_load_2addr_b64 v[42:45], v36 offset0:32 offset1:48
	ds_load_b128 v[46:49], v37 offset:1024
	ds_load_b128 v[50:53], v37 offset:16
	ds_load_2addr_b64 v[54:57], v36 offset0:64 offset1:80
	ds_load_2addr_b64 v[58:61], v36 offset0:96 offset1:112
	;; [unrolled: 1-line block ×3, first 2 shown]
	ds_load_b128 v[66:69], v37 offset:1040
	s_add_nc_u64 s[36:37], s[36:37], 8
	v_add_nc_u64_e32 v[26:27], s[22:23], v[26:27]
	v_cmp_lt_i64_e64 s39, s[36:37], s[8:9]
	v_add_nc_u64_e32 v[28:29], s[14:15], v[28:29]
	s_and_b32 vcc_lo, exec_lo, s39
	s_wait_dscnt 0x7
	v_pk_mul_f32 v[70:71], v[38:39], v[30:31] op_sel:[0,1]
	s_wait_dscnt 0x6
	v_pk_mul_f32 v[72:73], v[40:41], v[42:43] op_sel:[0,1]
	v_pk_mul_f32 v[74:75], v[38:39], v[32:33] op_sel:[0,1]
	;; [unrolled: 1-line block ×3, first 2 shown]
	s_wait_dscnt 0x5
	v_pk_mul_f32 v[78:79], v[46:47], v[30:31] op_sel:[0,1]
	v_pk_mul_f32 v[80:81], v[46:47], v[32:33] op_sel:[0,1]
	v_pk_fma_f32 v[82:83], v[38:39], v[30:31], v[70:71] op_sel:[0,0,1] op_sel_hi:[1,1,0] neg_lo:[0,0,1] neg_hi:[0,0,1]
	v_pk_fma_f32 v[84:85], v[38:39], v[30:31], v[70:71] op_sel:[0,0,1] op_sel_hi:[1,0,0]
	v_pk_fma_f32 v[86:87], v[40:41], v[42:43], v[72:73] op_sel:[0,0,1] op_sel_hi:[1,1,0] neg_lo:[0,0,1] neg_hi:[0,0,1]
	v_pk_fma_f32 v[88:89], v[40:41], v[42:43], v[72:73] op_sel:[0,0,1] op_sel_hi:[1,0,0]
	;; [unrolled: 2-line block ×3, first 2 shown]
	v_pk_fma_f32 v[92:93], v[40:41], v[44:45], v[76:77] op_sel:[0,0,1] op_sel_hi:[1,1,0] neg_lo:[0,0,1] neg_hi:[0,0,1]
	ds_load_b128 v[70:73], v37 offset:32
	v_pk_fma_f32 v[76:77], v[40:41], v[44:45], v[76:77] op_sel:[0,0,1] op_sel_hi:[1,0,0]
	v_pk_mul_f32 v[38:39], v[48:49], v[42:43] op_sel:[0,1]
	v_pk_mul_f32 v[40:41], v[48:49], v[44:45] op_sel:[0,1]
	v_pk_fma_f32 v[94:95], v[46:47], v[30:31], v[78:79] op_sel:[0,0,1] op_sel_hi:[1,1,0] neg_lo:[0,0,1] neg_hi:[0,0,1]
	v_pk_fma_f32 v[78:79], v[46:47], v[30:31], v[78:79] op_sel:[0,0,1] op_sel_hi:[1,0,0]
	v_pk_fma_f32 v[96:97], v[46:47], v[32:33], v[80:81] op_sel:[0,0,1] op_sel_hi:[1,1,0] neg_lo:[0,0,1] neg_hi:[0,0,1]
	v_pk_fma_f32 v[80:81], v[46:47], v[32:33], v[80:81] op_sel:[0,0,1] op_sel_hi:[1,0,0]
	v_pk_fma_f32 v[98:99], v[48:49], v[42:43], v[38:39] op_sel:[0,0,1] op_sel_hi:[1,1,0] neg_lo:[0,0,1] neg_hi:[0,0,1]
	s_wait_dscnt 0x4
	v_pk_mul_f32 v[46:47], v[50:51], v[54:55] op_sel:[0,1]
	v_pk_fma_f32 v[100:101], v[48:49], v[42:43], v[38:39] op_sel:[0,0,1] op_sel_hi:[1,0,0]
	ds_load_2addr_b64 v[30:33], v36 offset0:160 offset1:176
	v_pk_fma_f32 v[102:103], v[48:49], v[44:45], v[40:41] op_sel:[0,0,1] op_sel_hi:[1,1,0] neg_lo:[0,0,1] neg_hi:[0,0,1]
	s_wait_dscnt 0x4
	v_pk_mul_f32 v[38:39], v[52:53], v[58:59] op_sel:[0,1]
	v_pk_fma_f32 v[104:105], v[48:49], v[44:45], v[40:41] op_sel:[0,0,1] op_sel_hi:[1,0,0]
	v_pk_mul_f32 v[42:43], v[50:51], v[56:57] op_sel:[0,1]
	v_dual_mov_b32 v83, v85 :: v_dual_mov_b32 v87, v89
	v_pk_mul_f32 v[44:45], v[52:53], v[60:61] op_sel:[0,1]
	v_pk_fma_f32 v[106:107], v[50:51], v[54:55], v[46:47] op_sel:[0,0,1] op_sel_hi:[1,1,0] neg_lo:[0,0,1] neg_hi:[0,0,1]
	v_pk_fma_f32 v[46:47], v[50:51], v[54:55], v[46:47] op_sel:[0,0,1] op_sel_hi:[1,0,0]
	v_pk_fma_f32 v[108:109], v[52:53], v[58:59], v[38:39] op_sel:[0,0,1] op_sel_hi:[1,1,0] neg_lo:[0,0,1] neg_hi:[0,0,1]
	v_pk_fma_f32 v[84:85], v[52:53], v[58:59], v[38:39] op_sel:[0,0,1] op_sel_hi:[1,0,0]
	ds_load_b128 v[38:41], v37 offset:48
	v_pk_add_f32 v[20:21], v[20:21], v[82:83]
	v_pk_fma_f32 v[82:83], v[50:51], v[56:57], v[42:43] op_sel:[0,0,1] op_sel_hi:[1,1,0] neg_lo:[0,0,1] neg_hi:[0,0,1]
	v_pk_fma_f32 v[50:51], v[50:51], v[56:57], v[42:43] op_sel:[0,0,1] op_sel_hi:[1,0,0]
	v_pk_fma_f32 v[88:89], v[52:53], v[60:61], v[44:45] op_sel:[0,0,1] op_sel_hi:[1,1,0] neg_lo:[0,0,1] neg_hi:[0,0,1]
	v_pk_fma_f32 v[52:53], v[52:53], v[60:61], v[44:45] op_sel:[0,0,1] op_sel_hi:[1,0,0]
	ds_load_2addr_b64 v[42:45], v36 offset0:192 offset1:208
	s_wait_dscnt 0x3
	v_pk_mul_f32 v[110:111], v[70:71], v[62:63] op_sel:[0,1]
	v_dual_mov_b32 v91, v75 :: v_dual_mov_b32 v107, v47
	v_pk_add_f32 v[20:21], v[20:21], v[86:87]
	ds_load_2addr_b64 v[46:49], v36 offset0:224 offset1:240
	s_wait_dscnt 0x3
	v_pk_mul_f32 v[74:75], v[72:73], v[30:31] op_sel:[0,1]
	v_pk_add_f32 v[24:25], v[24:25], v[90:91]
	v_pk_fma_f32 v[90:91], v[70:71], v[62:63], v[110:111] op_sel:[0,0,1] op_sel_hi:[1,0,0]
	v_dual_mov_b32 v93, v77 :: v_dual_mov_b32 v109, v85
	v_pk_add_f32 v[20:21], v[20:21], v[106:107]
	v_pk_mul_f32 v[106:107], v[70:71], v[64:65] op_sel:[0,1]
	v_pk_mul_f32 v[84:85], v[72:73], v[32:33] op_sel:[0,1]
	v_pk_fma_f32 v[86:87], v[70:71], v[62:63], v[110:111] op_sel:[0,0,1] op_sel_hi:[1,1,0] neg_lo:[0,0,1] neg_hi:[0,0,1]
	v_pk_fma_f32 v[76:77], v[72:73], v[30:31], v[74:75] op_sel:[0,0,1] op_sel_hi:[1,1,0] neg_lo:[0,0,1] neg_hi:[0,0,1]
	v_pk_fma_f32 v[74:75], v[72:73], v[30:31], v[74:75] op_sel:[0,0,1] op_sel_hi:[1,0,0]
	v_pk_add_f32 v[24:25], v[24:25], v[92:93]
	v_pk_fma_f32 v[92:93], v[70:71], v[64:65], v[106:107] op_sel:[0,0,1] op_sel_hi:[1,1,0] neg_lo:[0,0,1] neg_hi:[0,0,1]
	v_pk_fma_f32 v[70:71], v[70:71], v[64:65], v[106:107] op_sel:[0,0,1] op_sel_hi:[1,0,0]
	v_dual_mov_b32 v83, v51 :: v_dual_mov_b32 v87, v91
	v_pk_fma_f32 v[106:107], v[72:73], v[32:33], v[84:85] op_sel:[0,0,1] op_sel_hi:[1,1,0] neg_lo:[0,0,1] neg_hi:[0,0,1]
	v_pk_fma_f32 v[50:51], v[72:73], v[32:33], v[84:85] op_sel:[0,0,1] op_sel_hi:[1,0,0]
	s_wait_dscnt 0x1
	v_pk_mul_f32 v[72:73], v[38:39], v[42:43] op_sel:[0,1]
	v_pk_add_f32 v[20:21], v[20:21], v[108:109]
	v_dual_mov_b32 v89, v53 :: v_dual_mov_b32 v77, v75
	v_pk_add_f32 v[24:25], v[24:25], v[82:83]
	s_delay_alu instid0(VALU_DEP_4)
	v_pk_fma_f32 v[52:53], v[38:39], v[42:43], v[72:73] op_sel:[0,0,1] op_sel_hi:[1,1,0] neg_lo:[0,0,1] neg_hi:[0,0,1]
	v_pk_fma_f32 v[72:73], v[38:39], v[42:43], v[72:73] op_sel:[0,0,1] op_sel_hi:[1,0,0]
	v_pk_add_f32 v[20:21], v[20:21], v[86:87]
	v_mov_b32_e32 v93, v71
	s_wait_dscnt 0x0
	v_pk_mul_f32 v[82:83], v[40:41], v[46:47] op_sel:[0,1]
	v_pk_mul_f32 v[74:75], v[38:39], v[44:45] op_sel:[0,1]
	v_mov_b32_e32 v53, v73
	v_pk_add_f32 v[20:21], v[20:21], v[76:77]
	v_dual_mov_b32 v107, v51 :: v_dual_mov_b32 v95, v79
	v_pk_fma_f32 v[84:85], v[40:41], v[46:47], v[82:83] op_sel:[0,0,1] op_sel_hi:[1,1,0] neg_lo:[0,0,1] neg_hi:[0,0,1]
	v_pk_fma_f32 v[82:83], v[40:41], v[46:47], v[82:83] op_sel:[0,0,1] op_sel_hi:[1,0,0]
	s_delay_alu instid0(VALU_DEP_4)
	v_pk_add_f32 v[20:21], v[20:21], v[52:53]
	ds_load_b128 v[50:53], v37 offset:1056
	v_pk_fma_f32 v[70:71], v[38:39], v[44:45], v[74:75] op_sel:[0,0,1] op_sel_hi:[1,1,0] neg_lo:[0,0,1] neg_hi:[0,0,1]
	v_pk_fma_f32 v[38:39], v[38:39], v[44:45], v[74:75] op_sel:[0,0,1] op_sel_hi:[1,0,0]
	v_pk_mul_f32 v[74:75], v[66:67], v[54:55] op_sel:[0,1]
	v_pk_add_f32 v[24:25], v[24:25], v[88:89]
	v_dual_mov_b32 v85, v83 :: v_dual_mov_b32 v99, v101
	v_pk_add_f32 v[18:19], v[18:19], v[94:95]
	s_delay_alu instid0(VALU_DEP_4)
	v_pk_fma_f32 v[76:77], v[66:67], v[54:55], v[74:75] op_sel:[0,0,1] op_sel_hi:[1,0,0]
	v_pk_mul_f32 v[86:87], v[40:41], v[48:49] op_sel:[0,1]
	v_pk_add_f32 v[24:25], v[24:25], v[92:93]
	v_mov_b32_e32 v71, v39
	v_pk_mul_f32 v[38:39], v[68:69], v[58:59] op_sel:[0,1]
	v_pk_fma_f32 v[54:55], v[66:67], v[54:55], v[74:75] op_sel:[0,0,1] op_sel_hi:[1,1,0] neg_lo:[0,0,1] neg_hi:[0,0,1]
	v_pk_add_f32 v[18:19], v[18:19], v[98:99]
	v_mov_b32_e32 v55, v77
	v_pk_fma_f32 v[72:73], v[40:41], v[48:49], v[86:87] op_sel:[0,0,1] op_sel_hi:[1,1,0] neg_lo:[0,0,1] neg_hi:[0,0,1]
	v_pk_add_f32 v[24:25], v[24:25], v[106:107]
	v_pk_fma_f32 v[74:75], v[40:41], v[48:49], v[86:87] op_sel:[0,0,1] op_sel_hi:[1,0,0]
	v_pk_fma_f32 v[40:41], v[68:69], v[58:59], v[38:39] op_sel:[0,0,1] op_sel_hi:[1,0,0]
	v_pk_add_f32 v[18:19], v[18:19], v[54:55]
	v_pk_fma_f32 v[54:55], v[68:69], v[58:59], v[38:39] op_sel:[0,0,1] op_sel_hi:[1,1,0] neg_lo:[0,0,1] neg_hi:[0,0,1]
	v_pk_add_f32 v[24:25], v[24:25], v[70:71]
	v_pk_mul_f32 v[58:59], v[66:67], v[56:57] op_sel:[0,1]
	v_dual_mov_b32 v55, v41 :: v_dual_mov_b32 v97, v81
	ds_load_b128 v[38:41], v37 offset:1072
	s_wait_dscnt 0x1
	v_pk_mul_f32 v[70:71], v[50:51], v[62:63] op_sel:[0,1]
	v_dual_mov_b32 v73, v75 :: v_dual_mov_b32 v103, v105
	v_pk_add_f32 v[18:19], v[18:19], v[54:55]
	v_pk_fma_f32 v[54:55], v[66:67], v[56:57], v[58:59] op_sel:[0,0,1] op_sel_hi:[1,1,0] neg_lo:[0,0,1] neg_hi:[0,0,1]
	s_delay_alu instid0(VALU_DEP_4)
	v_pk_fma_f32 v[74:75], v[50:51], v[62:63], v[70:71] op_sel:[0,0,1] op_sel_hi:[1,0,0]
	v_pk_add_f32 v[14:15], v[14:15], v[96:97]
	v_pk_mul_f32 v[76:77], v[52:53], v[30:31] op_sel:[0,1]
	v_pk_fma_f32 v[56:57], v[66:67], v[56:57], v[58:59] op_sel:[0,0,1] op_sel_hi:[1,0,0]
	v_pk_fma_f32 v[58:59], v[50:51], v[62:63], v[70:71] op_sel:[0,0,1] op_sel_hi:[1,1,0] neg_lo:[0,0,1] neg_hi:[0,0,1]
	v_mov_b32_e32 v59, v75
	v_pk_add_f32 v[14:15], v[14:15], v[102:103]
	v_pk_fma_f32 v[62:63], v[52:53], v[30:31], v[76:77] op_sel:[0,0,1] op_sel_hi:[1,0,0]
	v_pk_mul_f32 v[66:67], v[68:69], v[60:61] op_sel:[0,1]
	v_mov_b32_e32 v55, v57
	v_pk_fma_f32 v[30:31], v[52:53], v[30:31], v[76:77] op_sel:[0,0,1] op_sel_hi:[1,1,0] neg_lo:[0,0,1] neg_hi:[0,0,1]
	v_pk_add_f32 v[18:19], v[18:19], v[58:59]
	v_pk_add_f32 v[20:21], v[20:21], v[84:85]
	v_pk_fma_f32 v[56:57], v[68:69], v[60:61], v[66:67] op_sel:[0,0,1] op_sel_hi:[1,0,0]
	v_mov_b32_e32 v31, v63
	v_pk_add_f32 v[14:15], v[14:15], v[54:55]
	v_pk_mul_f32 v[54:55], v[50:51], v[64:65] op_sel:[0,1]
	v_pk_fma_f32 v[60:61], v[68:69], v[60:61], v[66:67] op_sel:[0,0,1] op_sel_hi:[1,1,0] neg_lo:[0,0,1] neg_hi:[0,0,1]
	s_wait_dscnt 0x0
	v_pk_mul_f32 v[58:59], v[38:39], v[42:43] op_sel:[0,1]
	v_mov_b32_e32 v61, v57
	v_pk_add_f32 v[18:19], v[18:19], v[30:31]
	v_pk_fma_f32 v[30:31], v[50:51], v[64:65], v[54:55] op_sel:[0,0,1] op_sel_hi:[1,0,0]
	v_pk_mul_f32 v[62:63], v[52:53], v[32:33] op_sel:[0,1]
	v_pk_fma_f32 v[50:51], v[50:51], v[64:65], v[54:55] op_sel:[0,0,1] op_sel_hi:[1,1,0] neg_lo:[0,0,1] neg_hi:[0,0,1]
	v_pk_fma_f32 v[56:57], v[38:39], v[42:43], v[58:59] op_sel:[0,0,1] op_sel_hi:[1,1,0] neg_lo:[0,0,1] neg_hi:[0,0,1]
	v_pk_add_f32 v[14:15], v[14:15], v[60:61]
	v_mov_b32_e32 v51, v31
	v_pk_fma_f32 v[30:31], v[38:39], v[42:43], v[58:59] op_sel:[0,0,1] op_sel_hi:[1,0,0]
	v_pk_fma_f32 v[42:43], v[52:53], v[32:33], v[62:63] op_sel:[0,0,1] op_sel_hi:[1,0,0]
	v_pk_mul_f32 v[58:59], v[38:39], v[44:45] op_sel:[0,1]
	v_pk_fma_f32 v[32:33], v[52:53], v[32:33], v[62:63] op_sel:[0,0,1] op_sel_hi:[1,1,0] neg_lo:[0,0,1] neg_hi:[0,0,1]
	v_pk_mul_f32 v[54:55], v[40:41], v[46:47] op_sel:[0,1]
	s_delay_alu instid0(VALU_DEP_4)
	v_dual_mov_b32 v57, v31 :: v_dual_mov_b32 v33, v43
	v_pk_add_f32 v[14:15], v[14:15], v[50:51]
	v_pk_fma_f32 v[30:31], v[38:39], v[44:45], v[58:59] op_sel:[0,0,1] op_sel_hi:[1,0,0]
	v_pk_mul_f32 v[50:51], v[40:41], v[48:49] op_sel:[0,1]
	v_pk_fma_f32 v[42:43], v[40:41], v[46:47], v[54:55] op_sel:[0,0,1] op_sel_hi:[1,0,0]
	v_pk_add_f32 v[24:25], v[24:25], v[72:73]
	v_pk_add_f32 v[14:15], v[14:15], v[32:33]
	v_pk_fma_f32 v[32:33], v[38:39], v[44:45], v[58:59] op_sel:[0,0,1] op_sel_hi:[1,1,0] neg_lo:[0,0,1] neg_hi:[0,0,1]
	v_mov_b32_e32 v33, v31
	v_pk_fma_f32 v[30:31], v[40:41], v[48:49], v[50:51] op_sel:[0,0,1] op_sel_hi:[1,0,0]
	v_pk_fma_f32 v[38:39], v[40:41], v[46:47], v[54:55] op_sel:[0,0,1] op_sel_hi:[1,1,0] neg_lo:[0,0,1] neg_hi:[0,0,1]
	v_pk_add_f32 v[18:19], v[18:19], v[56:57]
	v_mov_b32_e32 v39, v43
	v_pk_add_f32 v[14:15], v[14:15], v[32:33]
	v_pk_fma_f32 v[32:33], v[40:41], v[48:49], v[50:51] op_sel:[0,0,1] op_sel_hi:[1,1,0] neg_lo:[0,0,1] neg_hi:[0,0,1]
	v_mov_b32_e32 v33, v31
	s_delay_alu instid0(VALU_DEP_4) | instskip(SKIP_2) | instid1(VALU_DEP_2)
	v_pk_add_f32 v[18:19], v[18:19], v[38:39]
	s_barrier_signal -1
	s_barrier_wait -1
	v_pk_add_f32 v[14:15], v[14:15], v[32:33]
	s_cbranch_vccz .LBB243_11
.LBB243_7:                              ;   Parent Loop BB243_4 Depth=1
                                        ; =>  This Inner Loop Header: Depth=2
	v_add_nc_u64_e32 v[30:31], s[36:37], v[2:3]
	v_dual_mov_b32 v32, 0 :: v_dual_mov_b32 v33, 0
	s_delay_alu instid0(VALU_DEP_2) | instskip(SKIP_1) | instid1(SALU_CYCLE_1)
	v_cmp_gt_i64_e32 vcc_lo, s[8:9], v[30:31]
	s_and_b32 s45, s0, vcc_lo
	s_and_saveexec_b32 s39, s45
	s_cbranch_execz .LBB243_9
; %bb.8:                                ;   in Loop: Header=BB243_7 Depth=2
	flat_load_b64 v[32:33], v[28:29]
.LBB243_9:                              ;   in Loop: Header=BB243_7 Depth=2
	s_wait_xcnt 0x0
	s_or_b32 exec_lo, exec_lo, s39
	v_add_nc_u64_e32 v[30:31], s[36:37], v[0:1]
	s_wait_loadcnt_dscnt 0x0
	ds_store_b64 v34, v[32:33]
	v_cmp_gt_i64_e32 vcc_lo, s[8:9], v[30:31]
	v_dual_mov_b32 v30, 0 :: v_dual_mov_b32 v31, 0
	s_and_b32 s45, vcc_lo, s1
	s_delay_alu instid0(SALU_CYCLE_1)
	s_and_saveexec_b32 s39, s45
	s_cbranch_execz .LBB243_6
; %bb.10:                               ;   in Loop: Header=BB243_7 Depth=2
	flat_load_b64 v[30:31], v[26:27]
	s_branch .LBB243_6
.LBB243_11:                             ;   in Loop: Header=BB243_4 Depth=1
	s_wait_loadcnt 0x0
	v_add_nc_u64_e32 v[22:23], s[30:31], v[22:23]
	s_and_not1_b32 vcc_lo, exec_lo, s44
	s_mov_b32 s36, -1
	s_cbranch_vccz .LBB243_13
; %bb.12:                               ;   in Loop: Header=BB243_4 Depth=1
	s_and_not1_b32 vcc_lo, exec_lo, s36
	s_cbranch_vccnz .LBB243_3
	s_branch .LBB243_24
.LBB243_13:                             ;   in Loop: Header=BB243_4 Depth=1
	s_and_saveexec_b32 s36, s2
	s_cbranch_execz .LBB243_23
; %bb.14:                               ;   in Loop: Header=BB243_4 Depth=1
	s_delay_alu instid0(VALU_DEP_1) | instskip(NEXT) | instid1(VALU_DEP_1)
	v_lshl_add_u64 v[26:27], v[6:7], 3, v[22:23]
	v_lshl_add_u64 v[28:29], v[4:5], 3, v[26:27]
	s_and_saveexec_b32 s37, s3
	s_cbranch_execnz .LBB243_17
; %bb.15:                               ;   in Loop: Header=BB243_4 Depth=1
	s_or_b32 exec_lo, exec_lo, s37
	s_and_saveexec_b32 s37, s4
	s_cbranch_execnz .LBB243_18
.LBB243_16:                             ;   in Loop: Header=BB243_4 Depth=1
	s_or_b32 exec_lo, exec_lo, s37
	s_delay_alu instid0(SALU_CYCLE_1)
	s_and_b32 exec_lo, exec_lo, s5
	s_cbranch_execnz .LBB243_19
	s_branch .LBB243_23
.LBB243_17:                             ;   in Loop: Header=BB243_4 Depth=1
	v_mov_b64_e32 v[30:31], s[42:43]
	v_mov_b64_e32 v[32:33], s[10:11]
	s_delay_alu instid0(VALU_DEP_2) | instskip(NEXT) | instid1(VALU_DEP_1)
	v_pk_mul_f32 v[30:31], v[20:21], v[30:31] op_sel:[1,0] op_sel_hi:[0,1]
	v_pk_fma_f32 v[38:39], v[20:21], v[32:33], v[30:31]
	v_pk_fma_f32 v[30:31], v[20:21], v[32:33], v[30:31] neg_lo:[0,0,1] neg_hi:[0,0,1]
	s_delay_alu instid0(VALU_DEP_2)
	v_mov_b32_e32 v31, v39
	flat_store_b64 v[28:29], v[30:31]
	s_wait_xcnt 0x0
	s_or_b32 exec_lo, exec_lo, s37
	s_and_saveexec_b32 s37, s4
	s_cbranch_execz .LBB243_16
.LBB243_18:                             ;   in Loop: Header=BB243_4 Depth=1
	v_mov_b64_e32 v[30:31], s[42:43]
	v_mov_b64_e32 v[32:33], s[10:11]
	s_delay_alu instid0(VALU_DEP_2) | instskip(NEXT) | instid1(VALU_DEP_1)
	v_pk_mul_f32 v[30:31], v[24:25], v[30:31] op_sel:[1,0] op_sel_hi:[0,1]
	v_pk_fma_f32 v[38:39], v[24:25], v[32:33], v[30:31]
	v_pk_fma_f32 v[30:31], v[24:25], v[32:33], v[30:31] neg_lo:[0,0,1] neg_hi:[0,0,1]
	s_delay_alu instid0(VALU_DEP_2) | instskip(SKIP_3) | instid1(SALU_CYCLE_1)
	v_mov_b32_e32 v31, v39
	flat_store_b64 v[28:29], v[30:31] offset:128
	s_wait_xcnt 0x0
	s_or_b32 exec_lo, exec_lo, s37
	s_and_b32 exec_lo, exec_lo, s5
	s_cbranch_execz .LBB243_23
.LBB243_19:                             ;   in Loop: Header=BB243_4 Depth=1
	v_lshl_add_u64 v[26:27], s[6:7], 3, v[26:27]
	s_delay_alu instid0(VALU_DEP_1)
	v_lshl_add_u64 v[26:27], v[4:5], 3, v[26:27]
	s_and_saveexec_b32 s37, s3
	s_cbranch_execz .LBB243_21
; %bb.20:                               ;   in Loop: Header=BB243_4 Depth=1
	v_mov_b64_e32 v[28:29], s[42:43]
	v_mov_b64_e32 v[30:31], s[10:11]
	s_delay_alu instid0(VALU_DEP_2) | instskip(NEXT) | instid1(VALU_DEP_1)
	v_pk_mul_f32 v[28:29], v[18:19], v[28:29] op_sel:[1,0] op_sel_hi:[0,1]
	v_pk_fma_f32 v[32:33], v[18:19], v[30:31], v[28:29]
	v_pk_fma_f32 v[28:29], v[18:19], v[30:31], v[28:29] neg_lo:[0,0,1] neg_hi:[0,0,1]
	s_delay_alu instid0(VALU_DEP_2)
	v_mov_b32_e32 v29, v33
	flat_store_b64 v[26:27], v[28:29]
.LBB243_21:                             ;   in Loop: Header=BB243_4 Depth=1
	s_wait_xcnt 0x0
	s_or_b32 exec_lo, exec_lo, s37
	s_delay_alu instid0(SALU_CYCLE_1)
	s_and_b32 exec_lo, exec_lo, s4
	s_cbranch_execz .LBB243_23
; %bb.22:                               ;   in Loop: Header=BB243_4 Depth=1
	v_mov_b64_e32 v[28:29], s[42:43]
	v_mov_b64_e32 v[30:31], s[10:11]
	s_delay_alu instid0(VALU_DEP_2) | instskip(NEXT) | instid1(VALU_DEP_1)
	v_pk_mul_f32 v[28:29], v[14:15], v[28:29] op_sel:[1,0] op_sel_hi:[0,1]
	v_pk_fma_f32 v[32:33], v[14:15], v[30:31], v[28:29]
	v_pk_fma_f32 v[28:29], v[14:15], v[30:31], v[28:29] neg_lo:[0,0,1] neg_hi:[0,0,1]
	s_delay_alu instid0(VALU_DEP_2)
	v_mov_b32_e32 v29, v33
	flat_store_b64 v[26:27], v[28:29] offset:128
.LBB243_23:                             ;   in Loop: Header=BB243_4 Depth=1
	s_wait_xcnt 0x0
	s_or_b32 exec_lo, exec_lo, s36
	s_cbranch_execnz .LBB243_3
.LBB243_24:                             ;   in Loop: Header=BB243_4 Depth=1
	s_and_saveexec_b32 s36, s2
	s_cbranch_execz .LBB243_2
; %bb.25:                               ;   in Loop: Header=BB243_4 Depth=1
	v_add_nc_u64_e32 v[26:27], s[24:25], v[16:17]
	v_lshlrev_b64_e32 v[16:17], 3, v[4:5]
	v_lshl_add_u64 v[22:23], v[6:7], 3, v[22:23]
	s_delay_alu instid0(VALU_DEP_3) | instskip(NEXT) | instid1(VALU_DEP_2)
	v_lshl_add_u64 v[26:27], v[8:9], 3, v[26:27]
	v_add_nc_u64_e32 v[28:29], v[22:23], v[16:17]
	s_delay_alu instid0(VALU_DEP_2)
	v_add_nc_u64_e32 v[30:31], v[26:27], v[16:17]
	s_and_saveexec_b32 s37, s3
	s_cbranch_execnz .LBB243_28
; %bb.26:                               ;   in Loop: Header=BB243_4 Depth=1
	s_or_b32 exec_lo, exec_lo, s37
	s_and_saveexec_b32 s37, s4
	s_cbranch_execnz .LBB243_29
.LBB243_27:                             ;   in Loop: Header=BB243_4 Depth=1
	s_or_b32 exec_lo, exec_lo, s37
	s_delay_alu instid0(SALU_CYCLE_1)
	s_and_b32 exec_lo, exec_lo, s5
	s_cbranch_execz .LBB243_2
	s_branch .LBB243_30
.LBB243_28:                             ;   in Loop: Header=BB243_4 Depth=1
	flat_load_b64 v[32:33], v[30:31]
	v_mov_b64_e32 v[38:39], s[42:43]
	v_mov_b64_e32 v[40:41], s[28:29]
	;; [unrolled: 1-line block ×4, first 2 shown]
	s_delay_alu instid0(VALU_DEP_4) | instskip(NEXT) | instid1(VALU_DEP_1)
	v_pk_mul_f32 v[38:39], v[20:21], v[38:39] op_sel:[1,0] op_sel_hi:[0,1]
	v_pk_fma_f32 v[46:47], v[20:21], v[42:43], v[38:39]
	v_pk_fma_f32 v[20:21], v[20:21], v[42:43], v[38:39] neg_lo:[0,0,1] neg_hi:[0,0,1]
	s_wait_loadcnt_dscnt 0x0
	v_pk_mul_f32 v[40:41], v[32:33], v[40:41] op_sel:[1,0] op_sel_hi:[0,1]
	s_delay_alu instid0(VALU_DEP_1) | instskip(SKIP_1) | instid1(VALU_DEP_2)
	v_pk_fma_f32 v[48:49], v[32:33], v[44:45], v[40:41]
	v_pk_fma_f32 v[32:33], v[32:33], v[44:45], v[40:41] neg_lo:[0,0,1] neg_hi:[0,0,1]
	v_dual_mov_b32 v21, v47 :: v_dual_mov_b32 v33, v49
	s_delay_alu instid0(VALU_DEP_1)
	v_pk_add_f32 v[20:21], v[20:21], v[32:33]
	flat_store_b64 v[28:29], v[20:21]
	s_wait_xcnt 0x0
	s_or_b32 exec_lo, exec_lo, s37
	s_and_saveexec_b32 s37, s4
	s_cbranch_execz .LBB243_27
.LBB243_29:                             ;   in Loop: Header=BB243_4 Depth=1
	flat_load_b64 v[20:21], v[30:31] offset:128
	s_wait_xcnt 0x0
	v_mov_b64_e32 v[30:31], s[42:43]
	v_mov_b64_e32 v[32:33], s[28:29]
	v_mov_b64_e32 v[38:39], s[10:11]
	v_mov_b64_e32 v[40:41], s[40:41]
	s_delay_alu instid0(VALU_DEP_4) | instskip(NEXT) | instid1(VALU_DEP_1)
	v_pk_mul_f32 v[30:31], v[24:25], v[30:31] op_sel:[1,0] op_sel_hi:[0,1]
	v_pk_fma_f32 v[42:43], v[24:25], v[38:39], v[30:31]
	v_pk_fma_f32 v[24:25], v[24:25], v[38:39], v[30:31] neg_lo:[0,0,1] neg_hi:[0,0,1]
	s_wait_loadcnt_dscnt 0x0
	v_pk_mul_f32 v[32:33], v[20:21], v[32:33] op_sel:[1,0] op_sel_hi:[0,1]
	s_delay_alu instid0(VALU_DEP_1) | instskip(SKIP_1) | instid1(VALU_DEP_2)
	v_pk_fma_f32 v[44:45], v[20:21], v[40:41], v[32:33]
	v_pk_fma_f32 v[20:21], v[20:21], v[40:41], v[32:33] neg_lo:[0,0,1] neg_hi:[0,0,1]
	v_dual_mov_b32 v25, v43 :: v_dual_mov_b32 v21, v45
	s_delay_alu instid0(VALU_DEP_1) | instskip(SKIP_3) | instid1(SALU_CYCLE_1)
	v_pk_add_f32 v[20:21], v[24:25], v[20:21]
	flat_store_b64 v[28:29], v[20:21] offset:128
	s_wait_xcnt 0x0
	s_or_b32 exec_lo, exec_lo, s37
	s_and_b32 exec_lo, exec_lo, s5
	s_cbranch_execz .LBB243_2
.LBB243_30:                             ;   in Loop: Header=BB243_4 Depth=1
	v_lshl_add_u64 v[20:21], s[16:17], 3, v[26:27]
	v_lshl_add_u64 v[22:23], s[6:7], 3, v[22:23]
	s_delay_alu instid0(VALU_DEP_2) | instskip(NEXT) | instid1(VALU_DEP_2)
	v_add_nc_u64_e32 v[20:21], v[20:21], v[16:17]
	v_add_nc_u64_e32 v[16:17], v[22:23], v[16:17]
	s_and_saveexec_b32 s37, s3
	s_cbranch_execz .LBB243_32
; %bb.31:                               ;   in Loop: Header=BB243_4 Depth=1
	flat_load_b64 v[22:23], v[20:21]
	v_mov_b64_e32 v[24:25], s[42:43]
	v_mov_b64_e32 v[26:27], s[28:29]
	;; [unrolled: 1-line block ×4, first 2 shown]
	s_delay_alu instid0(VALU_DEP_4) | instskip(NEXT) | instid1(VALU_DEP_1)
	v_pk_mul_f32 v[24:25], v[18:19], v[24:25] op_sel:[1,0] op_sel_hi:[0,1]
	v_pk_fma_f32 v[32:33], v[18:19], v[28:29], v[24:25]
	v_pk_fma_f32 v[18:19], v[18:19], v[28:29], v[24:25] neg_lo:[0,0,1] neg_hi:[0,0,1]
	s_wait_loadcnt_dscnt 0x0
	v_pk_mul_f32 v[26:27], v[22:23], v[26:27] op_sel:[1,0] op_sel_hi:[0,1]
	s_delay_alu instid0(VALU_DEP_1) | instskip(SKIP_1) | instid1(VALU_DEP_2)
	v_pk_fma_f32 v[38:39], v[22:23], v[30:31], v[26:27]
	v_pk_fma_f32 v[22:23], v[22:23], v[30:31], v[26:27] neg_lo:[0,0,1] neg_hi:[0,0,1]
	v_dual_mov_b32 v19, v33 :: v_dual_mov_b32 v23, v39
	s_delay_alu instid0(VALU_DEP_1)
	v_pk_add_f32 v[18:19], v[18:19], v[22:23]
	flat_store_b64 v[16:17], v[18:19]
.LBB243_32:                             ;   in Loop: Header=BB243_4 Depth=1
	s_wait_xcnt 0x0
	s_or_b32 exec_lo, exec_lo, s37
	s_delay_alu instid0(SALU_CYCLE_1)
	s_and_b32 exec_lo, exec_lo, s4
	s_cbranch_execz .LBB243_2
; %bb.33:                               ;   in Loop: Header=BB243_4 Depth=1
	flat_load_b64 v[18:19], v[20:21] offset:128
	s_wait_xcnt 0x0
	v_mov_b64_e32 v[20:21], s[42:43]
	v_mov_b64_e32 v[22:23], s[28:29]
	;; [unrolled: 1-line block ×4, first 2 shown]
	s_delay_alu instid0(VALU_DEP_4) | instskip(NEXT) | instid1(VALU_DEP_1)
	v_pk_mul_f32 v[20:21], v[14:15], v[20:21] op_sel:[1,0] op_sel_hi:[0,1]
	v_pk_fma_f32 v[28:29], v[14:15], v[24:25], v[20:21]
	v_pk_fma_f32 v[14:15], v[14:15], v[24:25], v[20:21] neg_lo:[0,0,1] neg_hi:[0,0,1]
	s_wait_loadcnt_dscnt 0x0
	v_pk_mul_f32 v[22:23], v[18:19], v[22:23] op_sel:[1,0] op_sel_hi:[0,1]
	s_delay_alu instid0(VALU_DEP_1) | instskip(SKIP_1) | instid1(VALU_DEP_2)
	v_pk_fma_f32 v[30:31], v[18:19], v[26:27], v[22:23]
	v_pk_fma_f32 v[18:19], v[18:19], v[26:27], v[22:23] neg_lo:[0,0,1] neg_hi:[0,0,1]
	v_dual_mov_b32 v15, v29 :: v_dual_mov_b32 v19, v31
	s_delay_alu instid0(VALU_DEP_1)
	v_pk_add_f32 v[14:15], v[14:15], v[18:19]
	flat_store_b64 v[16:17], v[14:15] offset:128
	s_branch .LBB243_2
.LBB243_34:
	s_sendmsg sendmsg(MSG_DEALLOC_VGPRS)
	s_endpgm
	.section	.rodata,"a",@progbits
	.p2align	6, 0x0
	.amdhsa_kernel _ZN12_GLOBAL__N_135rocblas_gemm_batched_general_kernelI19rocblas_complex_numIfELi16ELi16ELi32ELi32ELi8ELi32ELi8ELi8ELi32ELc78ELc84EKPKS2_S5_KPS2_EEvlllT_PT11_llSA_llS8_PT12_llPT13_lli
		.amdhsa_group_segment_fixed_size 4096
		.amdhsa_private_segment_fixed_size 0
		.amdhsa_kernarg_size 140
		.amdhsa_user_sgpr_count 2
		.amdhsa_user_sgpr_dispatch_ptr 0
		.amdhsa_user_sgpr_queue_ptr 0
		.amdhsa_user_sgpr_kernarg_segment_ptr 1
		.amdhsa_user_sgpr_dispatch_id 0
		.amdhsa_user_sgpr_kernarg_preload_length 0
		.amdhsa_user_sgpr_kernarg_preload_offset 0
		.amdhsa_user_sgpr_private_segment_size 0
		.amdhsa_wavefront_size32 1
		.amdhsa_uses_dynamic_stack 0
		.amdhsa_enable_private_segment 0
		.amdhsa_system_sgpr_workgroup_id_x 1
		.amdhsa_system_sgpr_workgroup_id_y 1
		.amdhsa_system_sgpr_workgroup_id_z 1
		.amdhsa_system_sgpr_workgroup_info 0
		.amdhsa_system_vgpr_workitem_id 1
		.amdhsa_next_free_vgpr 112
		.amdhsa_next_free_sgpr 50
		.amdhsa_named_barrier_count 0
		.amdhsa_reserve_vcc 1
		.amdhsa_float_round_mode_32 0
		.amdhsa_float_round_mode_16_64 0
		.amdhsa_float_denorm_mode_32 3
		.amdhsa_float_denorm_mode_16_64 3
		.amdhsa_fp16_overflow 0
		.amdhsa_memory_ordered 1
		.amdhsa_forward_progress 1
		.amdhsa_inst_pref_size 27
		.amdhsa_round_robin_scheduling 0
		.amdhsa_exception_fp_ieee_invalid_op 0
		.amdhsa_exception_fp_denorm_src 0
		.amdhsa_exception_fp_ieee_div_zero 0
		.amdhsa_exception_fp_ieee_overflow 0
		.amdhsa_exception_fp_ieee_underflow 0
		.amdhsa_exception_fp_ieee_inexact 0
		.amdhsa_exception_int_div_zero 0
	.end_amdhsa_kernel
	.section	.text._ZN12_GLOBAL__N_135rocblas_gemm_batched_general_kernelI19rocblas_complex_numIfELi16ELi16ELi32ELi32ELi8ELi32ELi8ELi8ELi32ELc78ELc84EKPKS2_S5_KPS2_EEvlllT_PT11_llSA_llS8_PT12_llPT13_lli,"axG",@progbits,_ZN12_GLOBAL__N_135rocblas_gemm_batched_general_kernelI19rocblas_complex_numIfELi16ELi16ELi32ELi32ELi8ELi32ELi8ELi8ELi32ELc78ELc84EKPKS2_S5_KPS2_EEvlllT_PT11_llSA_llS8_PT12_llPT13_lli,comdat
.Lfunc_end243:
	.size	_ZN12_GLOBAL__N_135rocblas_gemm_batched_general_kernelI19rocblas_complex_numIfELi16ELi16ELi32ELi32ELi8ELi32ELi8ELi8ELi32ELc78ELc84EKPKS2_S5_KPS2_EEvlllT_PT11_llSA_llS8_PT12_llPT13_lli, .Lfunc_end243-_ZN12_GLOBAL__N_135rocblas_gemm_batched_general_kernelI19rocblas_complex_numIfELi16ELi16ELi32ELi32ELi8ELi32ELi8ELi8ELi32ELc78ELc84EKPKS2_S5_KPS2_EEvlllT_PT11_llSA_llS8_PT12_llPT13_lli
                                        ; -- End function
	.set _ZN12_GLOBAL__N_135rocblas_gemm_batched_general_kernelI19rocblas_complex_numIfELi16ELi16ELi32ELi32ELi8ELi32ELi8ELi8ELi32ELc78ELc84EKPKS2_S5_KPS2_EEvlllT_PT11_llSA_llS8_PT12_llPT13_lli.num_vgpr, 112
	.set _ZN12_GLOBAL__N_135rocblas_gemm_batched_general_kernelI19rocblas_complex_numIfELi16ELi16ELi32ELi32ELi8ELi32ELi8ELi8ELi32ELc78ELc84EKPKS2_S5_KPS2_EEvlllT_PT11_llSA_llS8_PT12_llPT13_lli.num_agpr, 0
	.set _ZN12_GLOBAL__N_135rocblas_gemm_batched_general_kernelI19rocblas_complex_numIfELi16ELi16ELi32ELi32ELi8ELi32ELi8ELi8ELi32ELc78ELc84EKPKS2_S5_KPS2_EEvlllT_PT11_llSA_llS8_PT12_llPT13_lli.numbered_sgpr, 50
	.set _ZN12_GLOBAL__N_135rocblas_gemm_batched_general_kernelI19rocblas_complex_numIfELi16ELi16ELi32ELi32ELi8ELi32ELi8ELi8ELi32ELc78ELc84EKPKS2_S5_KPS2_EEvlllT_PT11_llSA_llS8_PT12_llPT13_lli.num_named_barrier, 0
	.set _ZN12_GLOBAL__N_135rocblas_gemm_batched_general_kernelI19rocblas_complex_numIfELi16ELi16ELi32ELi32ELi8ELi32ELi8ELi8ELi32ELc78ELc84EKPKS2_S5_KPS2_EEvlllT_PT11_llSA_llS8_PT12_llPT13_lli.private_seg_size, 0
	.set _ZN12_GLOBAL__N_135rocblas_gemm_batched_general_kernelI19rocblas_complex_numIfELi16ELi16ELi32ELi32ELi8ELi32ELi8ELi8ELi32ELc78ELc84EKPKS2_S5_KPS2_EEvlllT_PT11_llSA_llS8_PT12_llPT13_lli.uses_vcc, 1
	.set _ZN12_GLOBAL__N_135rocblas_gemm_batched_general_kernelI19rocblas_complex_numIfELi16ELi16ELi32ELi32ELi8ELi32ELi8ELi8ELi32ELc78ELc84EKPKS2_S5_KPS2_EEvlllT_PT11_llSA_llS8_PT12_llPT13_lli.uses_flat_scratch, 0
	.set _ZN12_GLOBAL__N_135rocblas_gemm_batched_general_kernelI19rocblas_complex_numIfELi16ELi16ELi32ELi32ELi8ELi32ELi8ELi8ELi32ELc78ELc84EKPKS2_S5_KPS2_EEvlllT_PT11_llSA_llS8_PT12_llPT13_lli.has_dyn_sized_stack, 0
	.set _ZN12_GLOBAL__N_135rocblas_gemm_batched_general_kernelI19rocblas_complex_numIfELi16ELi16ELi32ELi32ELi8ELi32ELi8ELi8ELi32ELc78ELc84EKPKS2_S5_KPS2_EEvlllT_PT11_llSA_llS8_PT12_llPT13_lli.has_recursion, 0
	.set _ZN12_GLOBAL__N_135rocblas_gemm_batched_general_kernelI19rocblas_complex_numIfELi16ELi16ELi32ELi32ELi8ELi32ELi8ELi8ELi32ELc78ELc84EKPKS2_S5_KPS2_EEvlllT_PT11_llSA_llS8_PT12_llPT13_lli.has_indirect_call, 0
	.section	.AMDGPU.csdata,"",@progbits
; Kernel info:
; codeLenInByte = 3452
; TotalNumSgprs: 52
; NumVgprs: 112
; ScratchSize: 0
; MemoryBound: 0
; FloatMode: 240
; IeeeMode: 1
; LDSByteSize: 4096 bytes/workgroup (compile time only)
; SGPRBlocks: 0
; VGPRBlocks: 6
; NumSGPRsForWavesPerEU: 52
; NumVGPRsForWavesPerEU: 112
; NamedBarCnt: 0
; Occupancy: 9
; WaveLimiterHint : 1
; COMPUTE_PGM_RSRC2:SCRATCH_EN: 0
; COMPUTE_PGM_RSRC2:USER_SGPR: 2
; COMPUTE_PGM_RSRC2:TRAP_HANDLER: 0
; COMPUTE_PGM_RSRC2:TGID_X_EN: 1
; COMPUTE_PGM_RSRC2:TGID_Y_EN: 1
; COMPUTE_PGM_RSRC2:TGID_Z_EN: 1
; COMPUTE_PGM_RSRC2:TIDIG_COMP_CNT: 1
	.section	.text._ZN12_GLOBAL__N_135rocblas_gemm_batched_general_kernelI19rocblas_complex_numIfELi16ELi16ELi32ELi32ELi8ELi32ELi8ELi8ELi32ELc84ELc84EKPKS2_S5_KPS2_EEvlllT_PT11_llSA_llS8_PT12_llPT13_lli,"axG",@progbits,_ZN12_GLOBAL__N_135rocblas_gemm_batched_general_kernelI19rocblas_complex_numIfELi16ELi16ELi32ELi32ELi8ELi32ELi8ELi8ELi32ELc84ELc84EKPKS2_S5_KPS2_EEvlllT_PT11_llSA_llS8_PT12_llPT13_lli,comdat
	.globl	_ZN12_GLOBAL__N_135rocblas_gemm_batched_general_kernelI19rocblas_complex_numIfELi16ELi16ELi32ELi32ELi8ELi32ELi8ELi8ELi32ELc84ELc84EKPKS2_S5_KPS2_EEvlllT_PT11_llSA_llS8_PT12_llPT13_lli ; -- Begin function _ZN12_GLOBAL__N_135rocblas_gemm_batched_general_kernelI19rocblas_complex_numIfELi16ELi16ELi32ELi32ELi8ELi32ELi8ELi8ELi32ELc84ELc84EKPKS2_S5_KPS2_EEvlllT_PT11_llSA_llS8_PT12_llPT13_lli
	.p2align	8
	.type	_ZN12_GLOBAL__N_135rocblas_gemm_batched_general_kernelI19rocblas_complex_numIfELi16ELi16ELi32ELi32ELi8ELi32ELi8ELi8ELi32ELc84ELc84EKPKS2_S5_KPS2_EEvlllT_PT11_llSA_llS8_PT12_llPT13_lli,@function
_ZN12_GLOBAL__N_135rocblas_gemm_batched_general_kernelI19rocblas_complex_numIfELi16ELi16ELi32ELi32ELi8ELi32ELi8ELi8ELi32ELc84ELc84EKPKS2_S5_KPS2_EEvlllT_PT11_llSA_llS8_PT12_llPT13_lli: ; @_ZN12_GLOBAL__N_135rocblas_gemm_batched_general_kernelI19rocblas_complex_numIfELi16ELi16ELi32ELi32ELi8ELi32ELi8ELi8ELi32ELc84ELc84EKPKS2_S5_KPS2_EEvlllT_PT11_llSA_llS8_PT12_llPT13_lli
; %bb.0:
	s_load_b32 s33, s[0:1], 0x88
	s_bfe_u32 s2, ttmp6, 0x40014
	s_lshr_b32 s3, ttmp7, 16
	s_add_co_i32 s2, s2, 1
	s_bfe_u32 s5, ttmp6, 0x40008
	s_mul_i32 s4, s3, s2
	s_getreg_b32 s2, hwreg(HW_REG_IB_STS2, 6, 4)
	s_add_co_i32 s5, s5, s4
	s_cmp_eq_u32 s2, 0
	s_mov_b32 s35, 0
	s_cselect_b32 s34, s3, s5
	s_wait_kmcnt 0x0
	s_cmp_ge_i32 s34, s33
	s_cbranch_scc1 .LBB244_34
; %bb.1:
	v_bfe_u32 v6, v0, 10, 10
	v_and_b32_e32 v8, 0x3ff, v0
	s_clause 0x5
	s_load_b256 s[4:11], s[0:1], 0x0
	s_load_b256 s[12:19], s[0:1], 0x20
	s_load_b128 s[28:31], s[0:1], 0x78
	s_load_b256 s[20:27], s[0:1], 0x58
	s_load_b128 s[36:39], s[0:1], 0x40
	s_load_b64 s[40:41], s[0:1], 0x50
	s_wait_xcnt 0x0
	s_bfe_u32 s0, ttmp6, 0x4000c
	s_bfe_u32 s3, ttmp6, 0x40010
	s_add_co_i32 s0, s0, 1
	s_and_b32 s42, ttmp7, 0xffff
	s_add_co_i32 s3, s3, 1
	s_and_b32 s1, ttmp6, 15
	s_mul_i32 s0, ttmp9, s0
	s_mul_i32 s3, s42, s3
	s_bfe_u32 s43, ttmp6, 0x40004
	v_lshl_add_u32 v20, v6, 4, v8
	s_add_co_i32 s1, s1, s0
	s_add_co_i32 s43, s43, s3
	s_cmp_eq_u32 s2, 0
	s_delay_alu instid0(VALU_DEP_1) | instskip(SKIP_3) | instid1(VALU_DEP_1)
	v_dual_mov_b32 v3, 0 :: v_dual_bitop2_b32 v9, 31, v20 bitop3:0x40
	s_cselect_b32 s0, ttmp9, s1
	s_cselect_b32 s44, s42, s43
	s_ashr_i32 s1, s0, 31
	v_dual_mov_b32 v5, v3 :: v_dual_bitop2_b32 v0, 7, v0 bitop3:0x40
	s_lshl_b64 s[2:3], s[0:1], 5
	s_delay_alu instid0(SALU_CYCLE_1)
	v_dual_lshrrev_b32 v4, 3, v20 :: v_dual_bitop2_b32 v10, s2, v9 bitop3:0x54
	v_dual_mov_b32 v11, s3 :: v_dual_mov_b32 v1, v3
	s_lshl_b32 s42, s44, 5
	s_mov_b32 s43, s35
	v_dual_mov_b32 v7, v3 :: v_dual_lshrrev_b32 v2, 5, v20
	v_add_nc_u64_e32 v[12:13], s[42:43], v[4:5]
	s_wait_kmcnt 0x0
	v_mul_u64_e32 v[14:15], s[36:37], v[0:1]
	v_cmp_gt_i64_e64 s0, s[4:5], v[10:11]
	v_mul_u64_e32 v[10:11], s[14:15], v[10:11]
	v_dual_lshlrev_b32 v16, 3, v0 :: v_dual_lshlrev_b32 v5, 3, v9
	v_dual_mov_b32 v9, v3 :: v_dual_lshlrev_b32 v36, 3, v8
	v_cmp_gt_i64_e64 s1, s[6:7], v[12:13]
	v_add_nc_u64_e32 v[12:13], s[42:43], v[6:7]
	s_delay_alu instid0(VALU_DEP_4)
	v_lshl_or_b32 v4, v4, 6, v16
	v_lshl_or_b32 v34, v2, 8, v5
	v_lshl_add_u32 v37, v6, 6, 0x800
	s_mov_b32 s45, s35
	s_mov_b32 s14, s11
	v_add_nc_u32_e32 v35, 0x800, v4
	v_add_nc_u64_e32 v[4:5], s[2:3], v[8:9]
	v_mul_u64_e32 v[6:7], s[28:29], v[12:13]
	v_mul_u64_e32 v[8:9], s[22:23], v[12:13]
	s_or_b32 s2, s40, s41
	v_add_nc_u64_e32 v[18:19], 16, v[12:13]
	s_bitset0_b32 s2, 31
	s_mov_b32 s15, s11
	v_add_nc_u64_e32 v[16:17], 16, v[4:5]
	s_cmp_eq_u32 s2, 0
	v_cmp_gt_i64_e64 s2, s[6:7], v[12:13]
	s_cselect_b32 s42, -1, 0
	s_lshl_b32 s44, s44, 8
	s_lshl_b64 s[38:39], s[38:39], 3
	s_lshl_b64 s[16:17], s[16:17], 3
	s_add_nc_u64 s[38:39], s[38:39], s[44:45]
	v_cmp_gt_i64_e64 s3, s[4:5], v[4:5]
	v_cmp_gt_i64_e64 s4, s[4:5], v[16:17]
	;; [unrolled: 1-line block ×3, first 2 shown]
	v_lshl_add_u64 v[12:13], v[14:15], 3, s[38:39]
	v_and_b32_e32 v14, 0x1ff8, v20
	v_dual_mov_b32 v15, v3 :: v_dual_lshlrev_b32 v18, 3, v2
	v_lshl_add_u64 v[16:17], v[10:11], 3, s[16:17]
	v_mov_b32_e32 v19, v3
	v_cmp_gt_i64_e64 s38, s[8:9], 0
	s_delay_alu instid0(VALU_DEP_4)
	v_add_nc_u64_e32 v[10:11], v[12:13], v[14:15]
	s_mov_b32 s11, s10
	s_lshl_b64 s[6:7], s[28:29], 4
	v_add_nc_u64_e32 v[12:13], v[16:17], v[18:19]
	s_mov_b32 s28, s41
	s_mov_b32 s29, s41
	s_mov_b32 s41, s40
	s_lshl_b64 s[16:17], s[22:23], 4
	s_lshl_b64 s[22:23], s[36:37], 6
	s_lshl_b64 s[30:31], s[30:31], 3
	s_lshl_b64 s[24:25], s[24:25], 3
	s_branch .LBB244_4
.LBB244_2:                              ;   in Loop: Header=BB244_4 Depth=1
	s_wait_xcnt 0x0
	s_or_b32 exec_lo, exec_lo, s36
.LBB244_3:                              ;   in Loop: Header=BB244_4 Depth=1
	s_add_co_i32 s34, s34, 0x10000
	s_delay_alu instid0(SALU_CYCLE_1)
	s_cmp_lt_i32 s34, s33
	s_cbranch_scc0 .LBB244_34
.LBB244_4:                              ; =>This Loop Header: Depth=1
                                        ;     Child Loop BB244_7 Depth 2
	v_dual_mov_b32 v14, s34 :: v_dual_mov_b32 v21, 0
	v_dual_mov_b32 v20, 0 :: v_dual_mov_b32 v25, 0
	;; [unrolled: 1-line block ×3, first 2 shown]
	s_clause 0x1
	global_load_b64 v[16:17], v14, s[20:21] scale_offset
	global_load_b64 v[22:23], v14, s[26:27] scale_offset
	v_dual_mov_b32 v18, 0 :: v_dual_mov_b32 v15, 0
	s_wait_xcnt 0x0
	v_mov_b32_e32 v14, 0
	s_and_not1_b32 vcc_lo, exec_lo, s38
	s_cbranch_vccnz .LBB244_11
; %bb.5:                                ;   in Loop: Header=BB244_4 Depth=1
	s_lshl_b64 s[36:37], s[34:35], 3
	v_mov_b32_e32 v14, 0
	s_add_nc_u64 s[44:45], s[18:19], s[36:37]
	s_add_nc_u64 s[36:37], s[12:13], s[36:37]
	s_clause 0x1
	global_load_b64 v[20:21], v3, s[44:45]
	global_load_b64 v[28:29], v3, s[36:37]
	s_wait_xcnt 0x0
	s_mov_b64 s[36:37], 0
	v_dual_mov_b32 v15, v14 :: v_dual_mov_b32 v18, v14
	v_dual_mov_b32 v19, v14 :: v_dual_mov_b32 v24, v14
	v_mov_b32_e32 v25, v14
	s_wait_loadcnt 0x1
	v_add_nc_u64_e32 v[26:27], v[20:21], v[10:11]
	s_wait_loadcnt 0x0
	v_add_nc_u64_e32 v[28:29], v[28:29], v[12:13]
	v_dual_mov_b32 v20, v14 :: v_dual_mov_b32 v21, v14
	s_branch .LBB244_7
.LBB244_6:                              ;   in Loop: Header=BB244_7 Depth=2
	s_wait_xcnt 0x0
	s_or_b32 exec_lo, exec_lo, s39
	s_wait_loadcnt_dscnt 0x0
	ds_store_b64 v35, v[30:31]
	s_wait_dscnt 0x0
	s_barrier_signal -1
	s_barrier_wait -1
	ds_load_2addr_b64 v[30:33], v36 offset1:16
	ds_load_b128 v[38:41], v37
	ds_load_2addr_b64 v[42:45], v36 offset0:32 offset1:48
	ds_load_b128 v[46:49], v37 offset:1024
	ds_load_b128 v[50:53], v37 offset:16
	ds_load_2addr_b64 v[54:57], v36 offset0:64 offset1:80
	ds_load_2addr_b64 v[58:61], v36 offset0:96 offset1:112
	;; [unrolled: 1-line block ×3, first 2 shown]
	ds_load_b128 v[66:69], v37 offset:1040
	s_add_nc_u64 s[36:37], s[36:37], 8
	v_add_nc_u64_e32 v[26:27], s[22:23], v[26:27]
	v_cmp_lt_i64_e64 s39, s[36:37], s[8:9]
	v_add_nc_u64_e32 v[28:29], 64, v[28:29]
	s_and_b32 vcc_lo, exec_lo, s39
	s_wait_dscnt 0x7
	v_pk_mul_f32 v[70:71], v[38:39], v[30:31] op_sel:[0,1]
	s_wait_dscnt 0x6
	v_pk_mul_f32 v[72:73], v[40:41], v[42:43] op_sel:[0,1]
	v_pk_mul_f32 v[74:75], v[38:39], v[32:33] op_sel:[0,1]
	;; [unrolled: 1-line block ×3, first 2 shown]
	s_wait_dscnt 0x5
	v_pk_mul_f32 v[78:79], v[46:47], v[30:31] op_sel:[0,1]
	v_pk_mul_f32 v[80:81], v[46:47], v[32:33] op_sel:[0,1]
	v_pk_fma_f32 v[82:83], v[38:39], v[30:31], v[70:71] op_sel:[0,0,1] op_sel_hi:[1,1,0] neg_lo:[0,0,1] neg_hi:[0,0,1]
	v_pk_fma_f32 v[84:85], v[38:39], v[30:31], v[70:71] op_sel:[0,0,1] op_sel_hi:[1,0,0]
	v_pk_fma_f32 v[86:87], v[40:41], v[42:43], v[72:73] op_sel:[0,0,1] op_sel_hi:[1,1,0] neg_lo:[0,0,1] neg_hi:[0,0,1]
	v_pk_fma_f32 v[88:89], v[40:41], v[42:43], v[72:73] op_sel:[0,0,1] op_sel_hi:[1,0,0]
	;; [unrolled: 2-line block ×3, first 2 shown]
	v_pk_fma_f32 v[92:93], v[40:41], v[44:45], v[76:77] op_sel:[0,0,1] op_sel_hi:[1,1,0] neg_lo:[0,0,1] neg_hi:[0,0,1]
	ds_load_b128 v[70:73], v37 offset:32
	v_pk_fma_f32 v[76:77], v[40:41], v[44:45], v[76:77] op_sel:[0,0,1] op_sel_hi:[1,0,0]
	v_pk_mul_f32 v[38:39], v[48:49], v[42:43] op_sel:[0,1]
	v_pk_mul_f32 v[40:41], v[48:49], v[44:45] op_sel:[0,1]
	v_pk_fma_f32 v[94:95], v[46:47], v[30:31], v[78:79] op_sel:[0,0,1] op_sel_hi:[1,1,0] neg_lo:[0,0,1] neg_hi:[0,0,1]
	v_pk_fma_f32 v[78:79], v[46:47], v[30:31], v[78:79] op_sel:[0,0,1] op_sel_hi:[1,0,0]
	v_pk_fma_f32 v[96:97], v[46:47], v[32:33], v[80:81] op_sel:[0,0,1] op_sel_hi:[1,1,0] neg_lo:[0,0,1] neg_hi:[0,0,1]
	v_pk_fma_f32 v[80:81], v[46:47], v[32:33], v[80:81] op_sel:[0,0,1] op_sel_hi:[1,0,0]
	v_pk_fma_f32 v[98:99], v[48:49], v[42:43], v[38:39] op_sel:[0,0,1] op_sel_hi:[1,1,0] neg_lo:[0,0,1] neg_hi:[0,0,1]
	s_wait_dscnt 0x4
	v_pk_mul_f32 v[46:47], v[50:51], v[54:55] op_sel:[0,1]
	v_pk_fma_f32 v[100:101], v[48:49], v[42:43], v[38:39] op_sel:[0,0,1] op_sel_hi:[1,0,0]
	ds_load_2addr_b64 v[30:33], v36 offset0:160 offset1:176
	v_pk_fma_f32 v[102:103], v[48:49], v[44:45], v[40:41] op_sel:[0,0,1] op_sel_hi:[1,1,0] neg_lo:[0,0,1] neg_hi:[0,0,1]
	s_wait_dscnt 0x4
	v_pk_mul_f32 v[38:39], v[52:53], v[58:59] op_sel:[0,1]
	v_pk_fma_f32 v[104:105], v[48:49], v[44:45], v[40:41] op_sel:[0,0,1] op_sel_hi:[1,0,0]
	v_pk_mul_f32 v[42:43], v[50:51], v[56:57] op_sel:[0,1]
	v_dual_mov_b32 v83, v85 :: v_dual_mov_b32 v87, v89
	v_pk_mul_f32 v[44:45], v[52:53], v[60:61] op_sel:[0,1]
	v_pk_fma_f32 v[106:107], v[50:51], v[54:55], v[46:47] op_sel:[0,0,1] op_sel_hi:[1,1,0] neg_lo:[0,0,1] neg_hi:[0,0,1]
	v_pk_fma_f32 v[46:47], v[50:51], v[54:55], v[46:47] op_sel:[0,0,1] op_sel_hi:[1,0,0]
	v_pk_fma_f32 v[108:109], v[52:53], v[58:59], v[38:39] op_sel:[0,0,1] op_sel_hi:[1,1,0] neg_lo:[0,0,1] neg_hi:[0,0,1]
	v_pk_fma_f32 v[84:85], v[52:53], v[58:59], v[38:39] op_sel:[0,0,1] op_sel_hi:[1,0,0]
	ds_load_b128 v[38:41], v37 offset:48
	v_pk_add_f32 v[20:21], v[20:21], v[82:83]
	v_pk_fma_f32 v[82:83], v[50:51], v[56:57], v[42:43] op_sel:[0,0,1] op_sel_hi:[1,1,0] neg_lo:[0,0,1] neg_hi:[0,0,1]
	v_pk_fma_f32 v[50:51], v[50:51], v[56:57], v[42:43] op_sel:[0,0,1] op_sel_hi:[1,0,0]
	v_pk_fma_f32 v[88:89], v[52:53], v[60:61], v[44:45] op_sel:[0,0,1] op_sel_hi:[1,1,0] neg_lo:[0,0,1] neg_hi:[0,0,1]
	v_pk_fma_f32 v[52:53], v[52:53], v[60:61], v[44:45] op_sel:[0,0,1] op_sel_hi:[1,0,0]
	ds_load_2addr_b64 v[42:45], v36 offset0:192 offset1:208
	s_wait_dscnt 0x3
	v_pk_mul_f32 v[110:111], v[70:71], v[62:63] op_sel:[0,1]
	v_dual_mov_b32 v91, v75 :: v_dual_mov_b32 v107, v47
	v_pk_add_f32 v[20:21], v[20:21], v[86:87]
	ds_load_2addr_b64 v[46:49], v36 offset0:224 offset1:240
	s_wait_dscnt 0x3
	v_pk_mul_f32 v[74:75], v[72:73], v[30:31] op_sel:[0,1]
	v_pk_add_f32 v[24:25], v[24:25], v[90:91]
	v_pk_fma_f32 v[90:91], v[70:71], v[62:63], v[110:111] op_sel:[0,0,1] op_sel_hi:[1,0,0]
	v_dual_mov_b32 v93, v77 :: v_dual_mov_b32 v109, v85
	v_pk_add_f32 v[20:21], v[20:21], v[106:107]
	v_pk_mul_f32 v[106:107], v[70:71], v[64:65] op_sel:[0,1]
	v_pk_mul_f32 v[84:85], v[72:73], v[32:33] op_sel:[0,1]
	v_pk_fma_f32 v[86:87], v[70:71], v[62:63], v[110:111] op_sel:[0,0,1] op_sel_hi:[1,1,0] neg_lo:[0,0,1] neg_hi:[0,0,1]
	v_pk_fma_f32 v[76:77], v[72:73], v[30:31], v[74:75] op_sel:[0,0,1] op_sel_hi:[1,1,0] neg_lo:[0,0,1] neg_hi:[0,0,1]
	v_pk_fma_f32 v[74:75], v[72:73], v[30:31], v[74:75] op_sel:[0,0,1] op_sel_hi:[1,0,0]
	v_pk_add_f32 v[24:25], v[24:25], v[92:93]
	v_pk_fma_f32 v[92:93], v[70:71], v[64:65], v[106:107] op_sel:[0,0,1] op_sel_hi:[1,1,0] neg_lo:[0,0,1] neg_hi:[0,0,1]
	v_pk_fma_f32 v[70:71], v[70:71], v[64:65], v[106:107] op_sel:[0,0,1] op_sel_hi:[1,0,0]
	v_dual_mov_b32 v83, v51 :: v_dual_mov_b32 v87, v91
	v_pk_fma_f32 v[106:107], v[72:73], v[32:33], v[84:85] op_sel:[0,0,1] op_sel_hi:[1,1,0] neg_lo:[0,0,1] neg_hi:[0,0,1]
	v_pk_fma_f32 v[50:51], v[72:73], v[32:33], v[84:85] op_sel:[0,0,1] op_sel_hi:[1,0,0]
	s_wait_dscnt 0x1
	v_pk_mul_f32 v[72:73], v[38:39], v[42:43] op_sel:[0,1]
	v_pk_add_f32 v[20:21], v[20:21], v[108:109]
	v_dual_mov_b32 v89, v53 :: v_dual_mov_b32 v77, v75
	v_pk_add_f32 v[24:25], v[24:25], v[82:83]
	s_delay_alu instid0(VALU_DEP_4)
	v_pk_fma_f32 v[52:53], v[38:39], v[42:43], v[72:73] op_sel:[0,0,1] op_sel_hi:[1,1,0] neg_lo:[0,0,1] neg_hi:[0,0,1]
	v_pk_fma_f32 v[72:73], v[38:39], v[42:43], v[72:73] op_sel:[0,0,1] op_sel_hi:[1,0,0]
	v_pk_add_f32 v[20:21], v[20:21], v[86:87]
	v_mov_b32_e32 v93, v71
	s_wait_dscnt 0x0
	v_pk_mul_f32 v[82:83], v[40:41], v[46:47] op_sel:[0,1]
	v_pk_mul_f32 v[74:75], v[38:39], v[44:45] op_sel:[0,1]
	v_mov_b32_e32 v53, v73
	v_pk_add_f32 v[20:21], v[20:21], v[76:77]
	v_dual_mov_b32 v107, v51 :: v_dual_mov_b32 v95, v79
	v_pk_fma_f32 v[84:85], v[40:41], v[46:47], v[82:83] op_sel:[0,0,1] op_sel_hi:[1,1,0] neg_lo:[0,0,1] neg_hi:[0,0,1]
	v_pk_fma_f32 v[82:83], v[40:41], v[46:47], v[82:83] op_sel:[0,0,1] op_sel_hi:[1,0,0]
	s_delay_alu instid0(VALU_DEP_4)
	v_pk_add_f32 v[20:21], v[20:21], v[52:53]
	ds_load_b128 v[50:53], v37 offset:1056
	v_pk_fma_f32 v[70:71], v[38:39], v[44:45], v[74:75] op_sel:[0,0,1] op_sel_hi:[1,1,0] neg_lo:[0,0,1] neg_hi:[0,0,1]
	v_pk_fma_f32 v[38:39], v[38:39], v[44:45], v[74:75] op_sel:[0,0,1] op_sel_hi:[1,0,0]
	v_pk_mul_f32 v[74:75], v[66:67], v[54:55] op_sel:[0,1]
	v_pk_add_f32 v[24:25], v[24:25], v[88:89]
	v_dual_mov_b32 v85, v83 :: v_dual_mov_b32 v99, v101
	v_pk_add_f32 v[18:19], v[18:19], v[94:95]
	s_delay_alu instid0(VALU_DEP_4)
	v_pk_fma_f32 v[76:77], v[66:67], v[54:55], v[74:75] op_sel:[0,0,1] op_sel_hi:[1,0,0]
	v_pk_mul_f32 v[86:87], v[40:41], v[48:49] op_sel:[0,1]
	v_pk_add_f32 v[24:25], v[24:25], v[92:93]
	v_mov_b32_e32 v71, v39
	v_pk_mul_f32 v[38:39], v[68:69], v[58:59] op_sel:[0,1]
	v_pk_fma_f32 v[54:55], v[66:67], v[54:55], v[74:75] op_sel:[0,0,1] op_sel_hi:[1,1,0] neg_lo:[0,0,1] neg_hi:[0,0,1]
	v_pk_add_f32 v[18:19], v[18:19], v[98:99]
	v_mov_b32_e32 v55, v77
	v_pk_fma_f32 v[72:73], v[40:41], v[48:49], v[86:87] op_sel:[0,0,1] op_sel_hi:[1,1,0] neg_lo:[0,0,1] neg_hi:[0,0,1]
	v_pk_add_f32 v[24:25], v[24:25], v[106:107]
	v_pk_fma_f32 v[74:75], v[40:41], v[48:49], v[86:87] op_sel:[0,0,1] op_sel_hi:[1,0,0]
	v_pk_fma_f32 v[40:41], v[68:69], v[58:59], v[38:39] op_sel:[0,0,1] op_sel_hi:[1,0,0]
	v_pk_add_f32 v[18:19], v[18:19], v[54:55]
	v_pk_fma_f32 v[54:55], v[68:69], v[58:59], v[38:39] op_sel:[0,0,1] op_sel_hi:[1,1,0] neg_lo:[0,0,1] neg_hi:[0,0,1]
	v_pk_add_f32 v[24:25], v[24:25], v[70:71]
	v_pk_mul_f32 v[58:59], v[66:67], v[56:57] op_sel:[0,1]
	v_dual_mov_b32 v55, v41 :: v_dual_mov_b32 v97, v81
	ds_load_b128 v[38:41], v37 offset:1072
	s_wait_dscnt 0x1
	v_pk_mul_f32 v[70:71], v[50:51], v[62:63] op_sel:[0,1]
	v_dual_mov_b32 v73, v75 :: v_dual_mov_b32 v103, v105
	v_pk_add_f32 v[18:19], v[18:19], v[54:55]
	v_pk_fma_f32 v[54:55], v[66:67], v[56:57], v[58:59] op_sel:[0,0,1] op_sel_hi:[1,1,0] neg_lo:[0,0,1] neg_hi:[0,0,1]
	s_delay_alu instid0(VALU_DEP_4)
	v_pk_fma_f32 v[74:75], v[50:51], v[62:63], v[70:71] op_sel:[0,0,1] op_sel_hi:[1,0,0]
	v_pk_add_f32 v[14:15], v[14:15], v[96:97]
	v_pk_mul_f32 v[76:77], v[52:53], v[30:31] op_sel:[0,1]
	v_pk_fma_f32 v[56:57], v[66:67], v[56:57], v[58:59] op_sel:[0,0,1] op_sel_hi:[1,0,0]
	v_pk_fma_f32 v[58:59], v[50:51], v[62:63], v[70:71] op_sel:[0,0,1] op_sel_hi:[1,1,0] neg_lo:[0,0,1] neg_hi:[0,0,1]
	v_mov_b32_e32 v59, v75
	v_pk_add_f32 v[14:15], v[14:15], v[102:103]
	v_pk_fma_f32 v[62:63], v[52:53], v[30:31], v[76:77] op_sel:[0,0,1] op_sel_hi:[1,0,0]
	v_pk_mul_f32 v[66:67], v[68:69], v[60:61] op_sel:[0,1]
	v_mov_b32_e32 v55, v57
	v_pk_fma_f32 v[30:31], v[52:53], v[30:31], v[76:77] op_sel:[0,0,1] op_sel_hi:[1,1,0] neg_lo:[0,0,1] neg_hi:[0,0,1]
	v_pk_add_f32 v[18:19], v[18:19], v[58:59]
	v_pk_add_f32 v[20:21], v[20:21], v[84:85]
	v_pk_fma_f32 v[56:57], v[68:69], v[60:61], v[66:67] op_sel:[0,0,1] op_sel_hi:[1,0,0]
	v_mov_b32_e32 v31, v63
	v_pk_add_f32 v[14:15], v[14:15], v[54:55]
	v_pk_mul_f32 v[54:55], v[50:51], v[64:65] op_sel:[0,1]
	v_pk_fma_f32 v[60:61], v[68:69], v[60:61], v[66:67] op_sel:[0,0,1] op_sel_hi:[1,1,0] neg_lo:[0,0,1] neg_hi:[0,0,1]
	s_wait_dscnt 0x0
	v_pk_mul_f32 v[58:59], v[38:39], v[42:43] op_sel:[0,1]
	v_mov_b32_e32 v61, v57
	v_pk_add_f32 v[18:19], v[18:19], v[30:31]
	v_pk_fma_f32 v[30:31], v[50:51], v[64:65], v[54:55] op_sel:[0,0,1] op_sel_hi:[1,0,0]
	v_pk_mul_f32 v[62:63], v[52:53], v[32:33] op_sel:[0,1]
	v_pk_fma_f32 v[50:51], v[50:51], v[64:65], v[54:55] op_sel:[0,0,1] op_sel_hi:[1,1,0] neg_lo:[0,0,1] neg_hi:[0,0,1]
	v_pk_fma_f32 v[56:57], v[38:39], v[42:43], v[58:59] op_sel:[0,0,1] op_sel_hi:[1,1,0] neg_lo:[0,0,1] neg_hi:[0,0,1]
	v_pk_add_f32 v[14:15], v[14:15], v[60:61]
	v_mov_b32_e32 v51, v31
	v_pk_fma_f32 v[30:31], v[38:39], v[42:43], v[58:59] op_sel:[0,0,1] op_sel_hi:[1,0,0]
	v_pk_fma_f32 v[42:43], v[52:53], v[32:33], v[62:63] op_sel:[0,0,1] op_sel_hi:[1,0,0]
	v_pk_mul_f32 v[58:59], v[38:39], v[44:45] op_sel:[0,1]
	v_pk_fma_f32 v[32:33], v[52:53], v[32:33], v[62:63] op_sel:[0,0,1] op_sel_hi:[1,1,0] neg_lo:[0,0,1] neg_hi:[0,0,1]
	v_pk_mul_f32 v[54:55], v[40:41], v[46:47] op_sel:[0,1]
	s_delay_alu instid0(VALU_DEP_4)
	v_dual_mov_b32 v57, v31 :: v_dual_mov_b32 v33, v43
	v_pk_add_f32 v[14:15], v[14:15], v[50:51]
	v_pk_fma_f32 v[30:31], v[38:39], v[44:45], v[58:59] op_sel:[0,0,1] op_sel_hi:[1,0,0]
	v_pk_mul_f32 v[50:51], v[40:41], v[48:49] op_sel:[0,1]
	v_pk_fma_f32 v[42:43], v[40:41], v[46:47], v[54:55] op_sel:[0,0,1] op_sel_hi:[1,0,0]
	v_pk_add_f32 v[24:25], v[24:25], v[72:73]
	v_pk_add_f32 v[14:15], v[14:15], v[32:33]
	v_pk_fma_f32 v[32:33], v[38:39], v[44:45], v[58:59] op_sel:[0,0,1] op_sel_hi:[1,1,0] neg_lo:[0,0,1] neg_hi:[0,0,1]
	v_mov_b32_e32 v33, v31
	v_pk_fma_f32 v[30:31], v[40:41], v[48:49], v[50:51] op_sel:[0,0,1] op_sel_hi:[1,0,0]
	v_pk_fma_f32 v[38:39], v[40:41], v[46:47], v[54:55] op_sel:[0,0,1] op_sel_hi:[1,1,0] neg_lo:[0,0,1] neg_hi:[0,0,1]
	v_pk_add_f32 v[18:19], v[18:19], v[56:57]
	v_mov_b32_e32 v39, v43
	v_pk_add_f32 v[14:15], v[14:15], v[32:33]
	v_pk_fma_f32 v[32:33], v[40:41], v[48:49], v[50:51] op_sel:[0,0,1] op_sel_hi:[1,1,0] neg_lo:[0,0,1] neg_hi:[0,0,1]
	v_mov_b32_e32 v33, v31
	s_delay_alu instid0(VALU_DEP_4) | instskip(SKIP_2) | instid1(VALU_DEP_2)
	v_pk_add_f32 v[18:19], v[18:19], v[38:39]
	s_barrier_signal -1
	s_barrier_wait -1
	v_pk_add_f32 v[14:15], v[14:15], v[32:33]
	s_cbranch_vccz .LBB244_11
.LBB244_7:                              ;   Parent Loop BB244_4 Depth=1
                                        ; =>  This Inner Loop Header: Depth=2
	v_add_nc_u64_e32 v[30:31], s[36:37], v[2:3]
	v_dual_mov_b32 v32, 0 :: v_dual_mov_b32 v33, 0
	s_delay_alu instid0(VALU_DEP_2) | instskip(SKIP_1) | instid1(SALU_CYCLE_1)
	v_cmp_gt_i64_e32 vcc_lo, s[8:9], v[30:31]
	s_and_b32 s43, s0, vcc_lo
	s_and_saveexec_b32 s39, s43
	s_cbranch_execz .LBB244_9
; %bb.8:                                ;   in Loop: Header=BB244_7 Depth=2
	flat_load_b64 v[32:33], v[28:29]
.LBB244_9:                              ;   in Loop: Header=BB244_7 Depth=2
	s_wait_xcnt 0x0
	s_or_b32 exec_lo, exec_lo, s39
	v_add_nc_u64_e32 v[30:31], s[36:37], v[0:1]
	s_wait_loadcnt_dscnt 0x0
	ds_store_b64 v34, v[32:33]
	v_cmp_gt_i64_e32 vcc_lo, s[8:9], v[30:31]
	v_dual_mov_b32 v30, 0 :: v_dual_mov_b32 v31, 0
	s_and_b32 s43, vcc_lo, s1
	s_delay_alu instid0(SALU_CYCLE_1)
	s_and_saveexec_b32 s39, s43
	s_cbranch_execz .LBB244_6
; %bb.10:                               ;   in Loop: Header=BB244_7 Depth=2
	flat_load_b64 v[30:31], v[26:27]
	s_branch .LBB244_6
.LBB244_11:                             ;   in Loop: Header=BB244_4 Depth=1
	s_wait_loadcnt 0x0
	v_add_nc_u64_e32 v[22:23], s[30:31], v[22:23]
	s_and_not1_b32 vcc_lo, exec_lo, s42
	s_mov_b32 s36, -1
	s_cbranch_vccz .LBB244_13
; %bb.12:                               ;   in Loop: Header=BB244_4 Depth=1
	s_and_not1_b32 vcc_lo, exec_lo, s36
	s_cbranch_vccnz .LBB244_3
	s_branch .LBB244_24
.LBB244_13:                             ;   in Loop: Header=BB244_4 Depth=1
	s_and_saveexec_b32 s36, s2
	s_cbranch_execz .LBB244_23
; %bb.14:                               ;   in Loop: Header=BB244_4 Depth=1
	s_delay_alu instid0(VALU_DEP_1) | instskip(NEXT) | instid1(VALU_DEP_1)
	v_lshl_add_u64 v[26:27], v[6:7], 3, v[22:23]
	v_lshl_add_u64 v[28:29], v[4:5], 3, v[26:27]
	s_and_saveexec_b32 s37, s3
	s_cbranch_execnz .LBB244_17
; %bb.15:                               ;   in Loop: Header=BB244_4 Depth=1
	s_or_b32 exec_lo, exec_lo, s37
	s_and_saveexec_b32 s37, s4
	s_cbranch_execnz .LBB244_18
.LBB244_16:                             ;   in Loop: Header=BB244_4 Depth=1
	s_or_b32 exec_lo, exec_lo, s37
	s_delay_alu instid0(SALU_CYCLE_1)
	s_and_b32 exec_lo, exec_lo, s5
	s_cbranch_execnz .LBB244_19
	s_branch .LBB244_23
.LBB244_17:                             ;   in Loop: Header=BB244_4 Depth=1
	v_mov_b64_e32 v[30:31], s[14:15]
	v_mov_b64_e32 v[32:33], s[10:11]
	s_delay_alu instid0(VALU_DEP_2) | instskip(NEXT) | instid1(VALU_DEP_1)
	v_pk_mul_f32 v[30:31], v[20:21], v[30:31] op_sel:[1,0] op_sel_hi:[0,1]
	v_pk_fma_f32 v[38:39], v[20:21], v[32:33], v[30:31]
	v_pk_fma_f32 v[30:31], v[20:21], v[32:33], v[30:31] neg_lo:[0,0,1] neg_hi:[0,0,1]
	s_delay_alu instid0(VALU_DEP_2)
	v_mov_b32_e32 v31, v39
	flat_store_b64 v[28:29], v[30:31]
	s_wait_xcnt 0x0
	s_or_b32 exec_lo, exec_lo, s37
	s_and_saveexec_b32 s37, s4
	s_cbranch_execz .LBB244_16
.LBB244_18:                             ;   in Loop: Header=BB244_4 Depth=1
	v_mov_b64_e32 v[30:31], s[14:15]
	v_mov_b64_e32 v[32:33], s[10:11]
	s_delay_alu instid0(VALU_DEP_2) | instskip(NEXT) | instid1(VALU_DEP_1)
	v_pk_mul_f32 v[30:31], v[24:25], v[30:31] op_sel:[1,0] op_sel_hi:[0,1]
	v_pk_fma_f32 v[38:39], v[24:25], v[32:33], v[30:31]
	v_pk_fma_f32 v[30:31], v[24:25], v[32:33], v[30:31] neg_lo:[0,0,1] neg_hi:[0,0,1]
	s_delay_alu instid0(VALU_DEP_2) | instskip(SKIP_3) | instid1(SALU_CYCLE_1)
	v_mov_b32_e32 v31, v39
	flat_store_b64 v[28:29], v[30:31] offset:128
	s_wait_xcnt 0x0
	s_or_b32 exec_lo, exec_lo, s37
	s_and_b32 exec_lo, exec_lo, s5
	s_cbranch_execz .LBB244_23
.LBB244_19:                             ;   in Loop: Header=BB244_4 Depth=1
	v_lshl_add_u64 v[26:27], s[6:7], 3, v[26:27]
	s_delay_alu instid0(VALU_DEP_1)
	v_lshl_add_u64 v[26:27], v[4:5], 3, v[26:27]
	s_and_saveexec_b32 s37, s3
	s_cbranch_execz .LBB244_21
; %bb.20:                               ;   in Loop: Header=BB244_4 Depth=1
	v_mov_b64_e32 v[28:29], s[14:15]
	v_mov_b64_e32 v[30:31], s[10:11]
	s_delay_alu instid0(VALU_DEP_2) | instskip(NEXT) | instid1(VALU_DEP_1)
	v_pk_mul_f32 v[28:29], v[18:19], v[28:29] op_sel:[1,0] op_sel_hi:[0,1]
	v_pk_fma_f32 v[32:33], v[18:19], v[30:31], v[28:29]
	v_pk_fma_f32 v[28:29], v[18:19], v[30:31], v[28:29] neg_lo:[0,0,1] neg_hi:[0,0,1]
	s_delay_alu instid0(VALU_DEP_2)
	v_mov_b32_e32 v29, v33
	flat_store_b64 v[26:27], v[28:29]
.LBB244_21:                             ;   in Loop: Header=BB244_4 Depth=1
	s_wait_xcnt 0x0
	s_or_b32 exec_lo, exec_lo, s37
	s_delay_alu instid0(SALU_CYCLE_1)
	s_and_b32 exec_lo, exec_lo, s4
	s_cbranch_execz .LBB244_23
; %bb.22:                               ;   in Loop: Header=BB244_4 Depth=1
	v_mov_b64_e32 v[28:29], s[14:15]
	v_mov_b64_e32 v[30:31], s[10:11]
	s_delay_alu instid0(VALU_DEP_2) | instskip(NEXT) | instid1(VALU_DEP_1)
	v_pk_mul_f32 v[28:29], v[14:15], v[28:29] op_sel:[1,0] op_sel_hi:[0,1]
	v_pk_fma_f32 v[32:33], v[14:15], v[30:31], v[28:29]
	v_pk_fma_f32 v[28:29], v[14:15], v[30:31], v[28:29] neg_lo:[0,0,1] neg_hi:[0,0,1]
	s_delay_alu instid0(VALU_DEP_2)
	v_mov_b32_e32 v29, v33
	flat_store_b64 v[26:27], v[28:29] offset:128
.LBB244_23:                             ;   in Loop: Header=BB244_4 Depth=1
	s_wait_xcnt 0x0
	s_or_b32 exec_lo, exec_lo, s36
	s_cbranch_execnz .LBB244_3
.LBB244_24:                             ;   in Loop: Header=BB244_4 Depth=1
	s_and_saveexec_b32 s36, s2
	s_cbranch_execz .LBB244_2
; %bb.25:                               ;   in Loop: Header=BB244_4 Depth=1
	v_add_nc_u64_e32 v[26:27], s[24:25], v[16:17]
	v_lshlrev_b64_e32 v[16:17], 3, v[4:5]
	v_lshl_add_u64 v[22:23], v[6:7], 3, v[22:23]
	s_delay_alu instid0(VALU_DEP_3) | instskip(NEXT) | instid1(VALU_DEP_2)
	v_lshl_add_u64 v[26:27], v[8:9], 3, v[26:27]
	v_add_nc_u64_e32 v[28:29], v[22:23], v[16:17]
	s_delay_alu instid0(VALU_DEP_2)
	v_add_nc_u64_e32 v[30:31], v[26:27], v[16:17]
	s_and_saveexec_b32 s37, s3
	s_cbranch_execnz .LBB244_28
; %bb.26:                               ;   in Loop: Header=BB244_4 Depth=1
	s_or_b32 exec_lo, exec_lo, s37
	s_and_saveexec_b32 s37, s4
	s_cbranch_execnz .LBB244_29
.LBB244_27:                             ;   in Loop: Header=BB244_4 Depth=1
	s_or_b32 exec_lo, exec_lo, s37
	s_delay_alu instid0(SALU_CYCLE_1)
	s_and_b32 exec_lo, exec_lo, s5
	s_cbranch_execz .LBB244_2
	s_branch .LBB244_30
.LBB244_28:                             ;   in Loop: Header=BB244_4 Depth=1
	flat_load_b64 v[32:33], v[30:31]
	v_mov_b64_e32 v[38:39], s[14:15]
	v_mov_b64_e32 v[40:41], s[28:29]
	;; [unrolled: 1-line block ×4, first 2 shown]
	s_delay_alu instid0(VALU_DEP_4) | instskip(NEXT) | instid1(VALU_DEP_1)
	v_pk_mul_f32 v[38:39], v[20:21], v[38:39] op_sel:[1,0] op_sel_hi:[0,1]
	v_pk_fma_f32 v[46:47], v[20:21], v[42:43], v[38:39]
	v_pk_fma_f32 v[20:21], v[20:21], v[42:43], v[38:39] neg_lo:[0,0,1] neg_hi:[0,0,1]
	s_wait_loadcnt_dscnt 0x0
	v_pk_mul_f32 v[40:41], v[32:33], v[40:41] op_sel:[1,0] op_sel_hi:[0,1]
	s_delay_alu instid0(VALU_DEP_1) | instskip(SKIP_1) | instid1(VALU_DEP_2)
	v_pk_fma_f32 v[48:49], v[32:33], v[44:45], v[40:41]
	v_pk_fma_f32 v[32:33], v[32:33], v[44:45], v[40:41] neg_lo:[0,0,1] neg_hi:[0,0,1]
	v_dual_mov_b32 v21, v47 :: v_dual_mov_b32 v33, v49
	s_delay_alu instid0(VALU_DEP_1)
	v_pk_add_f32 v[20:21], v[20:21], v[32:33]
	flat_store_b64 v[28:29], v[20:21]
	s_wait_xcnt 0x0
	s_or_b32 exec_lo, exec_lo, s37
	s_and_saveexec_b32 s37, s4
	s_cbranch_execz .LBB244_27
.LBB244_29:                             ;   in Loop: Header=BB244_4 Depth=1
	flat_load_b64 v[20:21], v[30:31] offset:128
	s_wait_xcnt 0x0
	v_mov_b64_e32 v[30:31], s[14:15]
	v_mov_b64_e32 v[32:33], s[28:29]
	;; [unrolled: 1-line block ×4, first 2 shown]
	s_delay_alu instid0(VALU_DEP_4) | instskip(NEXT) | instid1(VALU_DEP_1)
	v_pk_mul_f32 v[30:31], v[24:25], v[30:31] op_sel:[1,0] op_sel_hi:[0,1]
	v_pk_fma_f32 v[42:43], v[24:25], v[38:39], v[30:31]
	v_pk_fma_f32 v[24:25], v[24:25], v[38:39], v[30:31] neg_lo:[0,0,1] neg_hi:[0,0,1]
	s_wait_loadcnt_dscnt 0x0
	v_pk_mul_f32 v[32:33], v[20:21], v[32:33] op_sel:[1,0] op_sel_hi:[0,1]
	s_delay_alu instid0(VALU_DEP_1) | instskip(SKIP_1) | instid1(VALU_DEP_2)
	v_pk_fma_f32 v[44:45], v[20:21], v[40:41], v[32:33]
	v_pk_fma_f32 v[20:21], v[20:21], v[40:41], v[32:33] neg_lo:[0,0,1] neg_hi:[0,0,1]
	v_dual_mov_b32 v25, v43 :: v_dual_mov_b32 v21, v45
	s_delay_alu instid0(VALU_DEP_1) | instskip(SKIP_3) | instid1(SALU_CYCLE_1)
	v_pk_add_f32 v[20:21], v[24:25], v[20:21]
	flat_store_b64 v[28:29], v[20:21] offset:128
	s_wait_xcnt 0x0
	s_or_b32 exec_lo, exec_lo, s37
	s_and_b32 exec_lo, exec_lo, s5
	s_cbranch_execz .LBB244_2
.LBB244_30:                             ;   in Loop: Header=BB244_4 Depth=1
	v_lshl_add_u64 v[20:21], s[16:17], 3, v[26:27]
	v_lshl_add_u64 v[22:23], s[6:7], 3, v[22:23]
	s_delay_alu instid0(VALU_DEP_2) | instskip(NEXT) | instid1(VALU_DEP_2)
	v_add_nc_u64_e32 v[20:21], v[20:21], v[16:17]
	v_add_nc_u64_e32 v[16:17], v[22:23], v[16:17]
	s_and_saveexec_b32 s37, s3
	s_cbranch_execz .LBB244_32
; %bb.31:                               ;   in Loop: Header=BB244_4 Depth=1
	flat_load_b64 v[22:23], v[20:21]
	v_mov_b64_e32 v[24:25], s[14:15]
	v_mov_b64_e32 v[26:27], s[28:29]
	;; [unrolled: 1-line block ×4, first 2 shown]
	s_delay_alu instid0(VALU_DEP_4) | instskip(NEXT) | instid1(VALU_DEP_1)
	v_pk_mul_f32 v[24:25], v[18:19], v[24:25] op_sel:[1,0] op_sel_hi:[0,1]
	v_pk_fma_f32 v[32:33], v[18:19], v[28:29], v[24:25]
	v_pk_fma_f32 v[18:19], v[18:19], v[28:29], v[24:25] neg_lo:[0,0,1] neg_hi:[0,0,1]
	s_wait_loadcnt_dscnt 0x0
	v_pk_mul_f32 v[26:27], v[22:23], v[26:27] op_sel:[1,0] op_sel_hi:[0,1]
	s_delay_alu instid0(VALU_DEP_1) | instskip(SKIP_1) | instid1(VALU_DEP_2)
	v_pk_fma_f32 v[38:39], v[22:23], v[30:31], v[26:27]
	v_pk_fma_f32 v[22:23], v[22:23], v[30:31], v[26:27] neg_lo:[0,0,1] neg_hi:[0,0,1]
	v_dual_mov_b32 v19, v33 :: v_dual_mov_b32 v23, v39
	s_delay_alu instid0(VALU_DEP_1)
	v_pk_add_f32 v[18:19], v[18:19], v[22:23]
	flat_store_b64 v[16:17], v[18:19]
.LBB244_32:                             ;   in Loop: Header=BB244_4 Depth=1
	s_wait_xcnt 0x0
	s_or_b32 exec_lo, exec_lo, s37
	s_delay_alu instid0(SALU_CYCLE_1)
	s_and_b32 exec_lo, exec_lo, s4
	s_cbranch_execz .LBB244_2
; %bb.33:                               ;   in Loop: Header=BB244_4 Depth=1
	flat_load_b64 v[18:19], v[20:21] offset:128
	s_wait_xcnt 0x0
	v_mov_b64_e32 v[20:21], s[14:15]
	v_mov_b64_e32 v[22:23], s[28:29]
	;; [unrolled: 1-line block ×4, first 2 shown]
	s_delay_alu instid0(VALU_DEP_4) | instskip(NEXT) | instid1(VALU_DEP_1)
	v_pk_mul_f32 v[20:21], v[14:15], v[20:21] op_sel:[1,0] op_sel_hi:[0,1]
	v_pk_fma_f32 v[28:29], v[14:15], v[24:25], v[20:21]
	v_pk_fma_f32 v[14:15], v[14:15], v[24:25], v[20:21] neg_lo:[0,0,1] neg_hi:[0,0,1]
	s_wait_loadcnt_dscnt 0x0
	v_pk_mul_f32 v[22:23], v[18:19], v[22:23] op_sel:[1,0] op_sel_hi:[0,1]
	s_delay_alu instid0(VALU_DEP_1) | instskip(SKIP_1) | instid1(VALU_DEP_2)
	v_pk_fma_f32 v[30:31], v[18:19], v[26:27], v[22:23]
	v_pk_fma_f32 v[18:19], v[18:19], v[26:27], v[22:23] neg_lo:[0,0,1] neg_hi:[0,0,1]
	v_dual_mov_b32 v15, v29 :: v_dual_mov_b32 v19, v31
	s_delay_alu instid0(VALU_DEP_1)
	v_pk_add_f32 v[14:15], v[14:15], v[18:19]
	flat_store_b64 v[16:17], v[14:15] offset:128
	s_branch .LBB244_2
.LBB244_34:
	s_sendmsg sendmsg(MSG_DEALLOC_VGPRS)
	s_endpgm
	.section	.rodata,"a",@progbits
	.p2align	6, 0x0
	.amdhsa_kernel _ZN12_GLOBAL__N_135rocblas_gemm_batched_general_kernelI19rocblas_complex_numIfELi16ELi16ELi32ELi32ELi8ELi32ELi8ELi8ELi32ELc84ELc84EKPKS2_S5_KPS2_EEvlllT_PT11_llSA_llS8_PT12_llPT13_lli
		.amdhsa_group_segment_fixed_size 4096
		.amdhsa_private_segment_fixed_size 0
		.amdhsa_kernarg_size 140
		.amdhsa_user_sgpr_count 2
		.amdhsa_user_sgpr_dispatch_ptr 0
		.amdhsa_user_sgpr_queue_ptr 0
		.amdhsa_user_sgpr_kernarg_segment_ptr 1
		.amdhsa_user_sgpr_dispatch_id 0
		.amdhsa_user_sgpr_kernarg_preload_length 0
		.amdhsa_user_sgpr_kernarg_preload_offset 0
		.amdhsa_user_sgpr_private_segment_size 0
		.amdhsa_wavefront_size32 1
		.amdhsa_uses_dynamic_stack 0
		.amdhsa_enable_private_segment 0
		.amdhsa_system_sgpr_workgroup_id_x 1
		.amdhsa_system_sgpr_workgroup_id_y 1
		.amdhsa_system_sgpr_workgroup_id_z 1
		.amdhsa_system_sgpr_workgroup_info 0
		.amdhsa_system_vgpr_workitem_id 1
		.amdhsa_next_free_vgpr 112
		.amdhsa_next_free_sgpr 46
		.amdhsa_named_barrier_count 0
		.amdhsa_reserve_vcc 1
		.amdhsa_float_round_mode_32 0
		.amdhsa_float_round_mode_16_64 0
		.amdhsa_float_denorm_mode_32 3
		.amdhsa_float_denorm_mode_16_64 3
		.amdhsa_fp16_overflow 0
		.amdhsa_memory_ordered 1
		.amdhsa_forward_progress 1
		.amdhsa_inst_pref_size 28
		.amdhsa_round_robin_scheduling 0
		.amdhsa_exception_fp_ieee_invalid_op 0
		.amdhsa_exception_fp_denorm_src 0
		.amdhsa_exception_fp_ieee_div_zero 0
		.amdhsa_exception_fp_ieee_overflow 0
		.amdhsa_exception_fp_ieee_underflow 0
		.amdhsa_exception_fp_ieee_inexact 0
		.amdhsa_exception_int_div_zero 0
	.end_amdhsa_kernel
	.section	.text._ZN12_GLOBAL__N_135rocblas_gemm_batched_general_kernelI19rocblas_complex_numIfELi16ELi16ELi32ELi32ELi8ELi32ELi8ELi8ELi32ELc84ELc84EKPKS2_S5_KPS2_EEvlllT_PT11_llSA_llS8_PT12_llPT13_lli,"axG",@progbits,_ZN12_GLOBAL__N_135rocblas_gemm_batched_general_kernelI19rocblas_complex_numIfELi16ELi16ELi32ELi32ELi8ELi32ELi8ELi8ELi32ELc84ELc84EKPKS2_S5_KPS2_EEvlllT_PT11_llSA_llS8_PT12_llPT13_lli,comdat
.Lfunc_end244:
	.size	_ZN12_GLOBAL__N_135rocblas_gemm_batched_general_kernelI19rocblas_complex_numIfELi16ELi16ELi32ELi32ELi8ELi32ELi8ELi8ELi32ELc84ELc84EKPKS2_S5_KPS2_EEvlllT_PT11_llSA_llS8_PT12_llPT13_lli, .Lfunc_end244-_ZN12_GLOBAL__N_135rocblas_gemm_batched_general_kernelI19rocblas_complex_numIfELi16ELi16ELi32ELi32ELi8ELi32ELi8ELi8ELi32ELc84ELc84EKPKS2_S5_KPS2_EEvlllT_PT11_llSA_llS8_PT12_llPT13_lli
                                        ; -- End function
	.set _ZN12_GLOBAL__N_135rocblas_gemm_batched_general_kernelI19rocblas_complex_numIfELi16ELi16ELi32ELi32ELi8ELi32ELi8ELi8ELi32ELc84ELc84EKPKS2_S5_KPS2_EEvlllT_PT11_llSA_llS8_PT12_llPT13_lli.num_vgpr, 112
	.set _ZN12_GLOBAL__N_135rocblas_gemm_batched_general_kernelI19rocblas_complex_numIfELi16ELi16ELi32ELi32ELi8ELi32ELi8ELi8ELi32ELc84ELc84EKPKS2_S5_KPS2_EEvlllT_PT11_llSA_llS8_PT12_llPT13_lli.num_agpr, 0
	.set _ZN12_GLOBAL__N_135rocblas_gemm_batched_general_kernelI19rocblas_complex_numIfELi16ELi16ELi32ELi32ELi8ELi32ELi8ELi8ELi32ELc84ELc84EKPKS2_S5_KPS2_EEvlllT_PT11_llSA_llS8_PT12_llPT13_lli.numbered_sgpr, 46
	.set _ZN12_GLOBAL__N_135rocblas_gemm_batched_general_kernelI19rocblas_complex_numIfELi16ELi16ELi32ELi32ELi8ELi32ELi8ELi8ELi32ELc84ELc84EKPKS2_S5_KPS2_EEvlllT_PT11_llSA_llS8_PT12_llPT13_lli.num_named_barrier, 0
	.set _ZN12_GLOBAL__N_135rocblas_gemm_batched_general_kernelI19rocblas_complex_numIfELi16ELi16ELi32ELi32ELi8ELi32ELi8ELi8ELi32ELc84ELc84EKPKS2_S5_KPS2_EEvlllT_PT11_llSA_llS8_PT12_llPT13_lli.private_seg_size, 0
	.set _ZN12_GLOBAL__N_135rocblas_gemm_batched_general_kernelI19rocblas_complex_numIfELi16ELi16ELi32ELi32ELi8ELi32ELi8ELi8ELi32ELc84ELc84EKPKS2_S5_KPS2_EEvlllT_PT11_llSA_llS8_PT12_llPT13_lli.uses_vcc, 1
	.set _ZN12_GLOBAL__N_135rocblas_gemm_batched_general_kernelI19rocblas_complex_numIfELi16ELi16ELi32ELi32ELi8ELi32ELi8ELi8ELi32ELc84ELc84EKPKS2_S5_KPS2_EEvlllT_PT11_llSA_llS8_PT12_llPT13_lli.uses_flat_scratch, 0
	.set _ZN12_GLOBAL__N_135rocblas_gemm_batched_general_kernelI19rocblas_complex_numIfELi16ELi16ELi32ELi32ELi8ELi32ELi8ELi8ELi32ELc84ELc84EKPKS2_S5_KPS2_EEvlllT_PT11_llSA_llS8_PT12_llPT13_lli.has_dyn_sized_stack, 0
	.set _ZN12_GLOBAL__N_135rocblas_gemm_batched_general_kernelI19rocblas_complex_numIfELi16ELi16ELi32ELi32ELi8ELi32ELi8ELi8ELi32ELc84ELc84EKPKS2_S5_KPS2_EEvlllT_PT11_llSA_llS8_PT12_llPT13_lli.has_recursion, 0
	.set _ZN12_GLOBAL__N_135rocblas_gemm_batched_general_kernelI19rocblas_complex_numIfELi16ELi16ELi32ELi32ELi8ELi32ELi8ELi8ELi32ELc84ELc84EKPKS2_S5_KPS2_EEvlllT_PT11_llSA_llS8_PT12_llPT13_lli.has_indirect_call, 0
	.section	.AMDGPU.csdata,"",@progbits
; Kernel info:
; codeLenInByte = 3468
; TotalNumSgprs: 48
; NumVgprs: 112
; ScratchSize: 0
; MemoryBound: 0
; FloatMode: 240
; IeeeMode: 1
; LDSByteSize: 4096 bytes/workgroup (compile time only)
; SGPRBlocks: 0
; VGPRBlocks: 6
; NumSGPRsForWavesPerEU: 48
; NumVGPRsForWavesPerEU: 112
; NamedBarCnt: 0
; Occupancy: 9
; WaveLimiterHint : 1
; COMPUTE_PGM_RSRC2:SCRATCH_EN: 0
; COMPUTE_PGM_RSRC2:USER_SGPR: 2
; COMPUTE_PGM_RSRC2:TRAP_HANDLER: 0
; COMPUTE_PGM_RSRC2:TGID_X_EN: 1
; COMPUTE_PGM_RSRC2:TGID_Y_EN: 1
; COMPUTE_PGM_RSRC2:TGID_Z_EN: 1
; COMPUTE_PGM_RSRC2:TIDIG_COMP_CNT: 1
	.section	.text._ZN12_GLOBAL__N_135rocblas_gemm_batched_general_kernelI19rocblas_complex_numIfELi16ELi16ELi32ELi32ELi8ELi32ELi8ELi8ELi32ELc67ELc67EKPKS2_S5_KPS2_EEvlllT_PT11_llSA_llS8_PT12_llPT13_lli,"axG",@progbits,_ZN12_GLOBAL__N_135rocblas_gemm_batched_general_kernelI19rocblas_complex_numIfELi16ELi16ELi32ELi32ELi8ELi32ELi8ELi8ELi32ELc67ELc67EKPKS2_S5_KPS2_EEvlllT_PT11_llSA_llS8_PT12_llPT13_lli,comdat
	.globl	_ZN12_GLOBAL__N_135rocblas_gemm_batched_general_kernelI19rocblas_complex_numIfELi16ELi16ELi32ELi32ELi8ELi32ELi8ELi8ELi32ELc67ELc67EKPKS2_S5_KPS2_EEvlllT_PT11_llSA_llS8_PT12_llPT13_lli ; -- Begin function _ZN12_GLOBAL__N_135rocblas_gemm_batched_general_kernelI19rocblas_complex_numIfELi16ELi16ELi32ELi32ELi8ELi32ELi8ELi8ELi32ELc67ELc67EKPKS2_S5_KPS2_EEvlllT_PT11_llSA_llS8_PT12_llPT13_lli
	.p2align	8
	.type	_ZN12_GLOBAL__N_135rocblas_gemm_batched_general_kernelI19rocblas_complex_numIfELi16ELi16ELi32ELi32ELi8ELi32ELi8ELi8ELi32ELc67ELc67EKPKS2_S5_KPS2_EEvlllT_PT11_llSA_llS8_PT12_llPT13_lli,@function
_ZN12_GLOBAL__N_135rocblas_gemm_batched_general_kernelI19rocblas_complex_numIfELi16ELi16ELi32ELi32ELi8ELi32ELi8ELi8ELi32ELc67ELc67EKPKS2_S5_KPS2_EEvlllT_PT11_llSA_llS8_PT12_llPT13_lli: ; @_ZN12_GLOBAL__N_135rocblas_gemm_batched_general_kernelI19rocblas_complex_numIfELi16ELi16ELi32ELi32ELi8ELi32ELi8ELi8ELi32ELc67ELc67EKPKS2_S5_KPS2_EEvlllT_PT11_llSA_llS8_PT12_llPT13_lli
; %bb.0:
	s_load_b32 s33, s[0:1], 0x88
	s_bfe_u32 s2, ttmp6, 0x40014
	s_lshr_b32 s3, ttmp7, 16
	s_add_co_i32 s2, s2, 1
	s_bfe_u32 s5, ttmp6, 0x40008
	s_mul_i32 s4, s3, s2
	s_getreg_b32 s2, hwreg(HW_REG_IB_STS2, 6, 4)
	s_add_co_i32 s5, s5, s4
	s_cmp_eq_u32 s2, 0
	s_mov_b32 s7, 0
	s_cselect_b32 s6, s3, s5
	s_wait_kmcnt 0x0
	s_cmp_ge_i32 s6, s33
	s_cbranch_scc1 .LBB245_38
; %bb.1:
	s_clause 0x3
	s_load_b256 s[16:23], s[0:1], 0x20
	s_load_b128 s[36:39], s[0:1], 0x78
	s_load_b128 s[40:43], s[0:1], 0x40
	s_load_b64 s[34:35], s[0:1], 0x50
	v_bfe_u32 v6, v0, 10, 10
	v_and_b32_e32 v8, 0x3ff, v0
	s_clause 0x1
	s_load_b256 s[8:15], s[0:1], 0x0
	s_load_b256 s[24:31], s[0:1], 0x58
	s_wait_xcnt 0x0
	s_bfe_u32 s0, ttmp6, 0x4000c
	s_bfe_u32 s3, ttmp6, 0x40010
	s_add_co_i32 s0, s0, 1
	s_and_b32 s4, ttmp7, 0xffff
	s_add_co_i32 s3, s3, 1
	v_lshl_add_u32 v18, v6, 4, v8
	v_mov_b32_e32 v3, 0
	s_and_b32 s1, ttmp6, 15
	s_mul_i32 s0, ttmp9, s0
	s_mul_i32 s3, s4, s3
	s_bfe_u32 s5, ttmp6, 0x40004
	s_add_co_i32 s1, s1, s0
	s_add_co_i32 s5, s5, s3
	s_cmp_eq_u32 s2, 0
	v_and_b32_e32 v7, 31, v18
	v_dual_lshrrev_b32 v4, 3, v18 :: v_dual_bitop2_b32 v0, 7, v0 bitop3:0x40
	v_dual_mov_b32 v5, v3 :: v_dual_mov_b32 v1, v3
	s_cselect_b32 s0, ttmp9, s1
	s_cselect_b32 s5, s4, s5
	s_ashr_i32 s1, s0, 31
	v_dual_lshlrev_b32 v19, 3, v0 :: v_dual_lshlrev_b32 v20, 3, v7
	s_lshl_b64 s[0:1], s[0:1], 5
	s_wait_kmcnt 0x0
	v_mul_u64_e32 v[12:13], s[40:41], v[0:1]
	v_dual_mov_b32 v11, s1 :: v_dual_bitop2_b32 v10, s0, v7 bitop3:0x54
	v_dual_mov_b32 v7, v3 :: v_dual_lshlrev_b32 v34, 3, v8
	v_dual_mov_b32 v9, v3 :: v_dual_lshrrev_b32 v2, 5, v18
	s_delay_alu instid0(VALU_DEP_3)
	v_mul_u64_e32 v[16:17], s[18:19], v[10:11]
	s_lshl_b32 s2, s5, 5
	s_mov_b32 s3, s7
	v_cmp_gt_i64_e32 vcc_lo, s[8:9], v[10:11]
	v_add_nc_u64_e32 v[10:11], s[2:3], v[6:7]
	v_add_nc_u64_e32 v[14:15], s[2:3], v[4:5]
	v_lshl_or_b32 v19, v4, 6, v19
	v_add_nc_u64_e32 v[4:5], s[0:1], v[8:9]
	s_or_b32 s0, s34, s35
	v_lshl_add_u32 v35, v6, 6, 0x800
	s_bitset0_b32 s0, 31
	v_mul_u64_e32 v[6:7], s[36:37], v[10:11]
	v_mul_u64_e32 v[8:9], s[26:27], v[10:11]
	v_cmp_gt_i64_e64 s4, s[10:11], v[14:15]
	v_add_nc_u64_e32 v[14:15], 16, v[4:5]
	s_cmp_eq_u32 s0, 0
	s_mov_b32 s19, s7
	s_cselect_b32 s44, -1, 0
	s_lshl_b32 s18, s5, 8
	s_lshl_b64 s[42:43], s[42:43], 3
	v_cmp_gt_i64_e64 s0, s[10:11], v[10:11]
	s_add_nc_u64 s[18:19], s[42:43], s[18:19]
	v_add_nc_u64_e32 v[10:11], 16, v[10:11]
	v_cmp_gt_i64_e64 s2, s[8:9], v[14:15]
	v_and_b32_e32 v14, 0x1ff8, v18
	v_lshl_add_u64 v[12:13], v[12:13], 3, s[18:19]
	v_dual_mov_b32 v15, v3 :: v_dual_lshlrev_b32 v18, 3, v2
	s_lshl_b64 s[18:19], s[20:21], 3
	v_cmp_gt_i64_e64 s3, s[10:11], v[10:11]
	v_add_nc_u32_e32 v33, 0x800, v19
	s_delay_alu instid0(VALU_DEP_3)
	v_add_nc_u64_e32 v[10:11], v[12:13], v[14:15]
	v_lshl_add_u64 v[16:17], v[16:17], 3, s[18:19]
	v_mov_b32_e32 v19, v3
	v_cmp_gt_i64_e64 s1, s[8:9], v[4:5]
	s_lshl_b64 s[20:21], s[26:27], 4
	s_lshl_b64 s[26:27], s[40:41], 6
	v_cmp_gt_i64_e64 s40, s[12:13], 0
	v_or_b32_e32 v10, 4, v10
	v_add_nc_u64_e32 v[12:13], v[16:17], v[18:19]
	v_lshl_or_b32 v32, v2, 8, v20
	s_mov_b32 s8, s15
	s_mov_b32 s9, s15
	;; [unrolled: 1-line block ×3, first 2 shown]
	s_lshl_b64 s[10:11], s[36:37], 4
	s_mov_b32 s18, s35
	v_or_b32_e32 v12, 4, v12
	s_mov_b32 s19, s35
	s_mov_b32 s35, s34
	s_xor_b32 s41, vcc_lo, -1
	s_xor_b32 s42, s4, -1
	s_lshl_b64 s[4:5], s[38:39], 3
	s_lshl_b64 s[28:29], s[28:29], 3
	s_branch .LBB245_4
.LBB245_2:                              ;   in Loop: Header=BB245_4 Depth=1
	s_wait_xcnt 0x0
	s_or_b32 exec_lo, exec_lo, s36
.LBB245_3:                              ;   in Loop: Header=BB245_4 Depth=1
	s_add_co_i32 s6, s6, 0x10000
	s_delay_alu instid0(SALU_CYCLE_1)
	s_cmp_lt_i32 s6, s33
	s_cbranch_scc0 .LBB245_38
.LBB245_4:                              ; =>This Loop Header: Depth=1
                                        ;     Child Loop BB245_7 Depth 2
	v_dual_mov_b32 v14, s6 :: v_dual_mov_b32 v21, 0
	v_dual_mov_b32 v20, 0 :: v_dual_mov_b32 v25, 0
	;; [unrolled: 1-line block ×3, first 2 shown]
	s_clause 0x1
	global_load_b64 v[16:17], v14, s[24:25] scale_offset
	global_load_b64 v[22:23], v14, s[30:31] scale_offset
	v_dual_mov_b32 v18, 0 :: v_dual_mov_b32 v15, 0
	s_wait_xcnt 0x0
	v_mov_b32_e32 v14, 0
	s_and_not1_b32 vcc_lo, exec_lo, s40
	s_cbranch_vccnz .LBB245_15
; %bb.5:                                ;   in Loop: Header=BB245_4 Depth=1
	s_lshl_b64 s[36:37], s[6:7], 3
	v_mov_b32_e32 v14, 0
	s_add_nc_u64 s[38:39], s[22:23], s[36:37]
	s_add_nc_u64 s[36:37], s[16:17], s[36:37]
	s_clause 0x1
	global_load_b64 v[20:21], v3, s[38:39]
	global_load_b64 v[28:29], v3, s[36:37]
	s_wait_xcnt 0x0
	s_mov_b64 s[36:37], 0
	v_dual_mov_b32 v15, v14 :: v_dual_mov_b32 v18, v14
	v_dual_mov_b32 v19, v14 :: v_dual_mov_b32 v24, v14
	v_mov_b32_e32 v25, v14
	s_wait_loadcnt 0x1
	v_add_nc_u64_e32 v[26:27], v[20:21], v[10:11]
	s_wait_loadcnt 0x0
	v_add_nc_u64_e32 v[28:29], v[28:29], v[12:13]
	v_dual_mov_b32 v20, v14 :: v_dual_mov_b32 v21, v14
	s_branch .LBB245_7
.LBB245_6:                              ;   in Loop: Header=BB245_7 Depth=2
	s_wait_xcnt 0x0
	s_or_b32 exec_lo, exec_lo, s38
	ds_store_b32 v33, v30 offset:4
	s_wait_dscnt 0x0
	s_barrier_signal -1
	s_barrier_wait -1
	ds_load_2addr_b64 v[36:39], v34 offset1:16
	ds_load_b128 v[40:43], v35
	ds_load_2addr_b64 v[44:47], v34 offset0:32 offset1:48
	ds_load_b128 v[48:51], v35 offset:1024
	ds_load_b128 v[52:55], v35 offset:16
	ds_load_2addr_b64 v[56:59], v34 offset0:64 offset1:80
	ds_load_2addr_b64 v[60:63], v34 offset0:96 offset1:112
	;; [unrolled: 1-line block ×3, first 2 shown]
	ds_load_b128 v[68:71], v35 offset:1040
	s_add_nc_u64 s[36:37], s[36:37], 8
	v_add_nc_u64_e32 v[26:27], s[26:27], v[26:27]
	v_cmp_lt_i64_e64 s38, s[36:37], s[12:13]
	v_add_nc_u64_e32 v[28:29], 64, v[28:29]
	s_and_b32 vcc_lo, exec_lo, s38
	s_wait_dscnt 0x7
	v_pk_mul_f32 v[30:31], v[40:41], v[36:37] op_sel:[0,1]
	s_wait_dscnt 0x6
	v_pk_mul_f32 v[72:73], v[42:43], v[44:45] op_sel:[0,1]
	v_pk_mul_f32 v[74:75], v[40:41], v[38:39] op_sel:[0,1]
	;; [unrolled: 1-line block ×3, first 2 shown]
	s_wait_dscnt 0x5
	v_pk_mul_f32 v[78:79], v[48:49], v[36:37] op_sel:[0,1]
	v_pk_mul_f32 v[80:81], v[48:49], v[38:39] op_sel:[0,1]
	v_pk_fma_f32 v[82:83], v[40:41], v[36:37], v[30:31] op_sel:[0,0,1] op_sel_hi:[1,1,0] neg_lo:[0,0,1] neg_hi:[0,0,1]
	v_pk_fma_f32 v[30:31], v[40:41], v[36:37], v[30:31] op_sel:[0,0,1] op_sel_hi:[1,0,0]
	v_pk_fma_f32 v[84:85], v[42:43], v[44:45], v[72:73] op_sel:[0,0,1] op_sel_hi:[1,1,0] neg_lo:[0,0,1] neg_hi:[0,0,1]
	v_pk_fma_f32 v[86:87], v[42:43], v[44:45], v[72:73] op_sel:[0,0,1] op_sel_hi:[1,0,0]
	;; [unrolled: 2-line block ×3, first 2 shown]
	ds_load_b128 v[72:75], v35 offset:32
	v_pk_mul_f32 v[40:41], v[50:51], v[44:45] op_sel:[0,1]
	v_pk_fma_f32 v[92:93], v[42:43], v[46:47], v[76:77] op_sel:[0,0,1] op_sel_hi:[1,1,0] neg_lo:[0,0,1] neg_hi:[0,0,1]
	v_pk_fma_f32 v[76:77], v[42:43], v[46:47], v[76:77] op_sel:[0,0,1] op_sel_hi:[1,0,0]
	v_pk_fma_f32 v[94:95], v[48:49], v[36:37], v[78:79] op_sel:[0,0,1] op_sel_hi:[1,1,0] neg_lo:[0,0,1] neg_hi:[0,0,1]
	v_pk_fma_f32 v[78:79], v[48:49], v[36:37], v[78:79] op_sel:[0,0,1] op_sel_hi:[1,0,0]
	v_pk_fma_f32 v[96:97], v[48:49], v[38:39], v[80:81] op_sel:[0,0,1] op_sel_hi:[1,1,0] neg_lo:[0,0,1] neg_hi:[0,0,1]
	v_pk_mul_f32 v[42:43], v[50:51], v[46:47] op_sel:[0,1]
	v_pk_fma_f32 v[80:81], v[48:49], v[38:39], v[80:81] op_sel:[0,0,1] op_sel_hi:[1,0,0]
	v_pk_fma_f32 v[98:99], v[50:51], v[44:45], v[40:41] op_sel:[0,0,1] op_sel_hi:[1,1,0] neg_lo:[0,0,1] neg_hi:[0,0,1]
	s_wait_dscnt 0x4
	v_pk_mul_f32 v[48:49], v[52:53], v[56:57] op_sel:[0,1]
	v_pk_fma_f32 v[100:101], v[50:51], v[44:45], v[40:41] op_sel:[0,0,1] op_sel_hi:[1,0,0]
	ds_load_2addr_b64 v[36:39], v34 offset0:160 offset1:176
	s_wait_dscnt 0x4
	v_pk_mul_f32 v[40:41], v[54:55], v[60:61] op_sel:[0,1]
	v_pk_mul_f32 v[44:45], v[52:53], v[58:59] op_sel:[0,1]
	v_dual_mov_b32 v83, v31 :: v_dual_mov_b32 v85, v87
	v_pk_fma_f32 v[102:103], v[50:51], v[46:47], v[42:43] op_sel:[0,0,1] op_sel_hi:[1,1,0] neg_lo:[0,0,1] neg_hi:[0,0,1]
	v_pk_fma_f32 v[104:105], v[50:51], v[46:47], v[42:43] op_sel:[0,0,1] op_sel_hi:[1,0,0]
	v_pk_fma_f32 v[106:107], v[52:53], v[56:57], v[48:49] op_sel:[0,0,1] op_sel_hi:[1,1,0] neg_lo:[0,0,1] neg_hi:[0,0,1]
	v_pk_fma_f32 v[48:49], v[52:53], v[56:57], v[48:49] op_sel:[0,0,1] op_sel_hi:[1,0,0]
	;; [unrolled: 2-line block ×3, first 2 shown]
	ds_load_b128 v[40:43], v35 offset:48
	v_pk_add_f32 v[20:21], v[20:21], v[82:83]
	v_pk_fma_f32 v[82:83], v[52:53], v[58:59], v[44:45] op_sel:[0,0,1] op_sel_hi:[1,1,0] neg_lo:[0,0,1] neg_hi:[0,0,1]
	v_pk_fma_f32 v[52:53], v[52:53], v[58:59], v[44:45] op_sel:[0,0,1] op_sel_hi:[1,0,0]
	ds_load_2addr_b64 v[44:47], v34 offset0:192 offset1:208
	v_pk_mul_f32 v[30:31], v[54:55], v[62:63] op_sel:[0,1]
	s_wait_dscnt 0x3
	v_pk_mul_f32 v[112:113], v[72:73], v[64:65] op_sel:[0,1]
	v_dual_mov_b32 v89, v91 :: v_dual_mov_b32 v107, v49
	v_pk_add_f32 v[20:21], v[20:21], v[84:85]
	ds_load_2addr_b64 v[48:51], v34 offset0:224 offset1:240
	v_pk_fma_f32 v[86:87], v[54:55], v[62:63], v[30:31] op_sel:[0,0,1] op_sel_hi:[1,1,0] neg_lo:[0,0,1] neg_hi:[0,0,1]
	v_pk_fma_f32 v[30:31], v[54:55], v[62:63], v[30:31] op_sel:[0,0,1] op_sel_hi:[1,0,0]
	s_wait_dscnt 0x3
	v_pk_mul_f32 v[54:55], v[74:75], v[36:37] op_sel:[0,1]
	v_pk_add_f32 v[24:25], v[24:25], v[88:89]
	v_pk_fma_f32 v[88:89], v[72:73], v[64:65], v[112:113] op_sel:[0,0,1] op_sel_hi:[1,0,0]
	v_dual_mov_b32 v93, v77 :: v_dual_mov_b32 v109, v111
	v_pk_add_f32 v[20:21], v[20:21], v[106:107]
	v_pk_mul_f32 v[90:91], v[72:73], v[66:67] op_sel:[0,1]
	v_pk_mul_f32 v[106:107], v[74:75], v[38:39] op_sel:[0,1]
	v_pk_fma_f32 v[84:85], v[72:73], v[64:65], v[112:113] op_sel:[0,0,1] op_sel_hi:[1,1,0] neg_lo:[0,0,1] neg_hi:[0,0,1]
	v_pk_fma_f32 v[76:77], v[74:75], v[36:37], v[54:55] op_sel:[0,0,1] op_sel_hi:[1,1,0] neg_lo:[0,0,1] neg_hi:[0,0,1]
	v_pk_fma_f32 v[54:55], v[74:75], v[36:37], v[54:55] op_sel:[0,0,1] op_sel_hi:[1,0,0]
	v_pk_add_f32 v[24:25], v[24:25], v[92:93]
	v_pk_fma_f32 v[92:93], v[72:73], v[66:67], v[90:91] op_sel:[0,0,1] op_sel_hi:[1,1,0] neg_lo:[0,0,1] neg_hi:[0,0,1]
	v_pk_fma_f32 v[72:73], v[72:73], v[66:67], v[90:91] op_sel:[0,0,1] op_sel_hi:[1,0,0]
	v_dual_mov_b32 v83, v53 :: v_dual_mov_b32 v85, v89
	v_pk_fma_f32 v[90:91], v[74:75], v[38:39], v[106:107] op_sel:[0,0,1] op_sel_hi:[1,1,0] neg_lo:[0,0,1] neg_hi:[0,0,1]
	v_pk_fma_f32 v[52:53], v[74:75], v[38:39], v[106:107] op_sel:[0,0,1] op_sel_hi:[1,0,0]
	s_wait_dscnt 0x1
	v_pk_mul_f32 v[74:75], v[40:41], v[44:45] op_sel:[0,1]
	v_pk_add_f32 v[20:21], v[20:21], v[108:109]
	v_dual_mov_b32 v87, v31 :: v_dual_mov_b32 v77, v55
	v_pk_mul_f32 v[54:55], v[40:41], v[46:47] op_sel:[0,1]
	s_delay_alu instid0(VALU_DEP_4)
	v_pk_fma_f32 v[30:31], v[40:41], v[44:45], v[74:75] op_sel:[0,0,1] op_sel_hi:[1,1,0] neg_lo:[0,0,1] neg_hi:[0,0,1]
	v_pk_fma_f32 v[74:75], v[40:41], v[44:45], v[74:75] op_sel:[0,0,1] op_sel_hi:[1,0,0]
	v_pk_add_f32 v[20:21], v[20:21], v[84:85]
	v_pk_add_f32 v[24:25], v[24:25], v[82:83]
	s_wait_dscnt 0x0
	v_pk_mul_f32 v[82:83], v[42:43], v[48:49] op_sel:[0,1]
	v_dual_mov_b32 v93, v73 :: v_dual_mov_b32 v31, v75
	v_pk_add_f32 v[20:21], v[20:21], v[76:77]
	v_pk_fma_f32 v[72:73], v[40:41], v[46:47], v[54:55] op_sel:[0,0,1] op_sel_hi:[1,1,0] neg_lo:[0,0,1] neg_hi:[0,0,1]
	v_pk_fma_f32 v[40:41], v[40:41], v[46:47], v[54:55] op_sel:[0,0,1] op_sel_hi:[1,0,0]
	v_dual_mov_b32 v91, v53 :: v_dual_mov_b32 v95, v79
	ds_load_b128 v[52:55], v35 offset:1056
	v_pk_fma_f32 v[84:85], v[42:43], v[48:49], v[82:83] op_sel:[0,0,1] op_sel_hi:[1,1,0] neg_lo:[0,0,1] neg_hi:[0,0,1]
	v_pk_fma_f32 v[82:83], v[42:43], v[48:49], v[82:83] op_sel:[0,0,1] op_sel_hi:[1,0,0]
	v_pk_add_f32 v[20:21], v[20:21], v[30:31]
	v_pk_mul_f32 v[30:31], v[68:69], v[56:57] op_sel:[0,1]
	v_pk_add_f32 v[24:25], v[24:25], v[86:87]
	v_pk_add_f32 v[18:19], v[18:19], v[94:95]
	v_dual_mov_b32 v85, v83 :: v_dual_mov_b32 v99, v101
	s_delay_alu instid0(VALU_DEP_4)
	v_pk_fma_f32 v[76:77], v[68:69], v[56:57], v[30:31] op_sel:[0,0,1] op_sel_hi:[1,0,0]
	v_pk_mul_f32 v[86:87], v[42:43], v[50:51] op_sel:[0,1]
	v_pk_add_f32 v[24:25], v[24:25], v[92:93]
	v_mov_b32_e32 v73, v41
	v_pk_mul_f32 v[40:41], v[70:71], v[60:61] op_sel:[0,1]
	v_pk_fma_f32 v[30:31], v[68:69], v[56:57], v[30:31] op_sel:[0,0,1] op_sel_hi:[1,1,0] neg_lo:[0,0,1] neg_hi:[0,0,1]
	v_pk_add_f32 v[18:19], v[18:19], v[98:99]
	v_mov_b32_e32 v31, v77
	v_pk_fma_f32 v[74:75], v[42:43], v[50:51], v[86:87] op_sel:[0,0,1] op_sel_hi:[1,1,0] neg_lo:[0,0,1] neg_hi:[0,0,1]
	v_pk_add_f32 v[24:25], v[24:25], v[90:91]
	v_pk_fma_f32 v[56:57], v[42:43], v[50:51], v[86:87] op_sel:[0,0,1] op_sel_hi:[1,0,0]
	v_pk_fma_f32 v[42:43], v[70:71], v[60:61], v[40:41] op_sel:[0,0,1] op_sel_hi:[1,0,0]
	v_pk_add_f32 v[18:19], v[18:19], v[30:31]
	v_pk_fma_f32 v[30:31], v[70:71], v[60:61], v[40:41] op_sel:[0,0,1] op_sel_hi:[1,1,0] neg_lo:[0,0,1] neg_hi:[0,0,1]
	v_pk_add_f32 v[24:25], v[24:25], v[72:73]
	v_pk_mul_f32 v[60:61], v[68:69], v[58:59] op_sel:[0,1]
	v_dual_mov_b32 v31, v43 :: v_dual_mov_b32 v97, v81
	ds_load_b128 v[40:43], v35 offset:1072
	s_wait_dscnt 0x1
	v_pk_mul_f32 v[72:73], v[52:53], v[64:65] op_sel:[0,1]
	v_dual_mov_b32 v75, v57 :: v_dual_mov_b32 v103, v105
	v_pk_add_f32 v[18:19], v[18:19], v[30:31]
	v_pk_fma_f32 v[30:31], v[68:69], v[58:59], v[60:61] op_sel:[0,0,1] op_sel_hi:[1,1,0] neg_lo:[0,0,1] neg_hi:[0,0,1]
	s_delay_alu instid0(VALU_DEP_4)
	v_pk_fma_f32 v[56:57], v[52:53], v[64:65], v[72:73] op_sel:[0,0,1] op_sel_hi:[1,0,0]
	v_pk_add_f32 v[14:15], v[14:15], v[96:97]
	v_pk_mul_f32 v[76:77], v[54:55], v[36:37] op_sel:[0,1]
	v_pk_fma_f32 v[58:59], v[68:69], v[58:59], v[60:61] op_sel:[0,0,1] op_sel_hi:[1,0,0]
	v_pk_fma_f32 v[60:61], v[52:53], v[64:65], v[72:73] op_sel:[0,0,1] op_sel_hi:[1,1,0] neg_lo:[0,0,1] neg_hi:[0,0,1]
	v_mov_b32_e32 v61, v57
	v_pk_add_f32 v[14:15], v[14:15], v[102:103]
	v_pk_fma_f32 v[56:57], v[54:55], v[36:37], v[76:77] op_sel:[0,0,1] op_sel_hi:[1,0,0]
	v_pk_mul_f32 v[64:65], v[70:71], v[62:63] op_sel:[0,1]
	v_mov_b32_e32 v31, v59
	v_pk_fma_f32 v[36:37], v[54:55], v[36:37], v[76:77] op_sel:[0,0,1] op_sel_hi:[1,1,0] neg_lo:[0,0,1] neg_hi:[0,0,1]
	v_pk_add_f32 v[18:19], v[18:19], v[60:61]
	v_mov_b32_e32 v37, v57
	v_pk_fma_f32 v[56:57], v[70:71], v[62:63], v[64:65] op_sel:[0,0,1] op_sel_hi:[1,0,0]
	v_pk_add_f32 v[14:15], v[14:15], v[30:31]
	v_pk_mul_f32 v[30:31], v[52:53], v[66:67] op_sel:[0,1]
	v_pk_fma_f32 v[60:61], v[70:71], v[62:63], v[64:65] op_sel:[0,0,1] op_sel_hi:[1,1,0] neg_lo:[0,0,1] neg_hi:[0,0,1]
	s_wait_dscnt 0x0
	v_pk_mul_f32 v[58:59], v[40:41], v[44:45] op_sel:[0,1]
	v_mov_b32_e32 v61, v57
	v_pk_add_f32 v[18:19], v[18:19], v[36:37]
	v_pk_fma_f32 v[36:37], v[52:53], v[66:67], v[30:31] op_sel:[0,0,1] op_sel_hi:[1,0,0]
	v_pk_mul_f32 v[62:63], v[54:55], v[38:39] op_sel:[0,1]
	v_pk_fma_f32 v[30:31], v[52:53], v[66:67], v[30:31] op_sel:[0,0,1] op_sel_hi:[1,1,0] neg_lo:[0,0,1] neg_hi:[0,0,1]
	v_pk_add_f32 v[14:15], v[14:15], v[60:61]
	v_pk_fma_f32 v[56:57], v[40:41], v[44:45], v[58:59] op_sel:[0,0,1] op_sel_hi:[1,1,0] neg_lo:[0,0,1] neg_hi:[0,0,1]
	v_mov_b32_e32 v31, v37
	v_pk_fma_f32 v[36:37], v[40:41], v[44:45], v[58:59] op_sel:[0,0,1] op_sel_hi:[1,0,0]
	v_pk_fma_f32 v[44:45], v[54:55], v[38:39], v[62:63] op_sel:[0,0,1] op_sel_hi:[1,0,0]
	v_pk_mul_f32 v[52:53], v[42:43], v[48:49] op_sel:[0,1]
	v_pk_mul_f32 v[58:59], v[40:41], v[46:47] op_sel:[0,1]
	v_pk_add_f32 v[20:21], v[20:21], v[84:85]
	v_mov_b32_e32 v57, v37
	v_pk_add_f32 v[14:15], v[14:15], v[30:31]
	v_pk_fma_f32 v[30:31], v[54:55], v[38:39], v[62:63] op_sel:[0,0,1] op_sel_hi:[1,1,0] neg_lo:[0,0,1] neg_hi:[0,0,1]
	v_pk_fma_f32 v[38:39], v[42:43], v[48:49], v[52:53] op_sel:[0,0,1] op_sel_hi:[1,0,0]
	v_mov_b32_e32 v31, v45
	v_pk_fma_f32 v[36:37], v[40:41], v[46:47], v[58:59] op_sel:[0,0,1] op_sel_hi:[1,0,0]
	v_pk_mul_f32 v[44:45], v[42:43], v[50:51] op_sel:[0,1]
	v_pk_add_f32 v[18:19], v[18:19], v[56:57]
	v_pk_add_f32 v[24:25], v[24:25], v[74:75]
	;; [unrolled: 1-line block ×3, first 2 shown]
	v_pk_fma_f32 v[30:31], v[40:41], v[46:47], v[58:59] op_sel:[0,0,1] op_sel_hi:[1,1,0] neg_lo:[0,0,1] neg_hi:[0,0,1]
	v_mov_b32_e32 v31, v37
	v_pk_fma_f32 v[36:37], v[42:43], v[50:51], v[44:45] op_sel:[0,0,1] op_sel_hi:[1,0,0]
	v_pk_fma_f32 v[40:41], v[42:43], v[48:49], v[52:53] op_sel:[0,0,1] op_sel_hi:[1,1,0] neg_lo:[0,0,1] neg_hi:[0,0,1]
	v_mov_b32_e32 v41, v39
	s_delay_alu instid0(VALU_DEP_4) | instskip(SKIP_2) | instid1(VALU_DEP_4)
	v_pk_add_f32 v[14:15], v[14:15], v[30:31]
	v_pk_fma_f32 v[30:31], v[42:43], v[50:51], v[44:45] op_sel:[0,0,1] op_sel_hi:[1,1,0] neg_lo:[0,0,1] neg_hi:[0,0,1]
	v_mov_b32_e32 v31, v37
	v_pk_add_f32 v[18:19], v[18:19], v[40:41]
	s_barrier_signal -1
	s_barrier_wait -1
	s_delay_alu instid0(VALU_DEP_2)
	v_pk_add_f32 v[14:15], v[14:15], v[30:31]
	s_cbranch_vccz .LBB245_15
.LBB245_7:                              ;   Parent Loop BB245_4 Depth=1
                                        ; =>  This Inner Loop Header: Depth=2
	v_add_nc_u64_e32 v[30:31], s[36:37], v[2:3]
	s_delay_alu instid0(VALU_DEP_1) | instskip(SKIP_1) | instid1(SALU_CYCLE_1)
	v_cmp_le_i64_e32 vcc_lo, s[12:13], v[30:31]
	s_or_b32 s38, s41, vcc_lo
	s_and_saveexec_b32 s39, s38
	s_delay_alu instid0(SALU_CYCLE_1)
	s_xor_b32 s38, exec_lo, s39
; %bb.8:                                ;   in Loop: Header=BB245_7 Depth=2
	ds_store_b32 v32, v3
; %bb.9:                                ;   in Loop: Header=BB245_7 Depth=2
	s_or_saveexec_b32 s38, s38
	v_mov_b32_e32 v30, 0
	s_xor_b32 exec_lo, exec_lo, s38
	s_cbranch_execz .LBB245_11
; %bb.10:                               ;   in Loop: Header=BB245_7 Depth=2
	flat_load_b64 v[36:37], v[28:29] offset:-4
	s_wait_loadcnt_dscnt 0x0
	v_xor_b32_e32 v30, 0x80000000, v37
	ds_store_b32 v32, v36
.LBB245_11:                             ;   in Loop: Header=BB245_7 Depth=2
	s_wait_xcnt 0x0
	s_or_b32 exec_lo, exec_lo, s38
	v_add_nc_u64_e32 v[36:37], s[36:37], v[0:1]
	ds_store_b32 v32, v30 offset:4
	v_cmp_le_i64_e32 vcc_lo, s[12:13], v[36:37]
	s_or_b32 s38, vcc_lo, s42
	s_delay_alu instid0(SALU_CYCLE_1) | instskip(NEXT) | instid1(SALU_CYCLE_1)
	s_and_saveexec_b32 s39, s38
	s_xor_b32 s38, exec_lo, s39
; %bb.12:                               ;   in Loop: Header=BB245_7 Depth=2
	ds_store_b32 v33, v3
; %bb.13:                               ;   in Loop: Header=BB245_7 Depth=2
	s_or_saveexec_b32 s38, s38
	v_mov_b32_e32 v30, 0
	s_xor_b32 exec_lo, exec_lo, s38
	s_cbranch_execz .LBB245_6
; %bb.14:                               ;   in Loop: Header=BB245_7 Depth=2
	flat_load_b64 v[36:37], v[26:27] offset:-4
	s_wait_loadcnt_dscnt 0x0
	v_xor_b32_e32 v30, 0x80000000, v37
	ds_store_b32 v33, v36
	s_branch .LBB245_6
.LBB245_15:                             ;   in Loop: Header=BB245_4 Depth=1
	s_wait_loadcnt 0x0
	v_add_nc_u64_e32 v[22:23], s[4:5], v[22:23]
	s_and_not1_b32 vcc_lo, exec_lo, s44
	s_mov_b32 s36, -1
	s_cbranch_vccz .LBB245_17
; %bb.16:                               ;   in Loop: Header=BB245_4 Depth=1
	s_and_not1_b32 vcc_lo, exec_lo, s36
	s_cbranch_vccnz .LBB245_3
	s_branch .LBB245_28
.LBB245_17:                             ;   in Loop: Header=BB245_4 Depth=1
	s_and_saveexec_b32 s36, s0
	s_cbranch_execz .LBB245_27
; %bb.18:                               ;   in Loop: Header=BB245_4 Depth=1
	s_delay_alu instid0(VALU_DEP_1) | instskip(NEXT) | instid1(VALU_DEP_1)
	v_lshl_add_u64 v[26:27], v[6:7], 3, v[22:23]
	v_lshl_add_u64 v[28:29], v[4:5], 3, v[26:27]
	s_and_saveexec_b32 s37, s1
	s_cbranch_execnz .LBB245_21
; %bb.19:                               ;   in Loop: Header=BB245_4 Depth=1
	s_or_b32 exec_lo, exec_lo, s37
	s_and_saveexec_b32 s37, s2
	s_cbranch_execnz .LBB245_22
.LBB245_20:                             ;   in Loop: Header=BB245_4 Depth=1
	s_or_b32 exec_lo, exec_lo, s37
	s_delay_alu instid0(SALU_CYCLE_1)
	s_and_b32 exec_lo, exec_lo, s3
	s_cbranch_execnz .LBB245_23
	s_branch .LBB245_27
.LBB245_21:                             ;   in Loop: Header=BB245_4 Depth=1
	v_mov_b64_e32 v[30:31], s[8:9]
	v_mov_b64_e32 v[36:37], s[14:15]
	s_delay_alu instid0(VALU_DEP_2) | instskip(NEXT) | instid1(VALU_DEP_1)
	v_pk_mul_f32 v[30:31], v[20:21], v[30:31] op_sel:[1,0] op_sel_hi:[0,1]
	v_pk_fma_f32 v[38:39], v[20:21], v[36:37], v[30:31]
	v_pk_fma_f32 v[30:31], v[20:21], v[36:37], v[30:31] neg_lo:[0,0,1] neg_hi:[0,0,1]
	s_delay_alu instid0(VALU_DEP_2)
	v_mov_b32_e32 v31, v39
	flat_store_b64 v[28:29], v[30:31]
	s_wait_xcnt 0x0
	s_or_b32 exec_lo, exec_lo, s37
	s_and_saveexec_b32 s37, s2
	s_cbranch_execz .LBB245_20
.LBB245_22:                             ;   in Loop: Header=BB245_4 Depth=1
	v_mov_b64_e32 v[30:31], s[8:9]
	v_mov_b64_e32 v[36:37], s[14:15]
	s_delay_alu instid0(VALU_DEP_2) | instskip(NEXT) | instid1(VALU_DEP_1)
	v_pk_mul_f32 v[30:31], v[24:25], v[30:31] op_sel:[1,0] op_sel_hi:[0,1]
	v_pk_fma_f32 v[38:39], v[24:25], v[36:37], v[30:31]
	v_pk_fma_f32 v[30:31], v[24:25], v[36:37], v[30:31] neg_lo:[0,0,1] neg_hi:[0,0,1]
	s_delay_alu instid0(VALU_DEP_2) | instskip(SKIP_3) | instid1(SALU_CYCLE_1)
	v_mov_b32_e32 v31, v39
	flat_store_b64 v[28:29], v[30:31] offset:128
	s_wait_xcnt 0x0
	s_or_b32 exec_lo, exec_lo, s37
	s_and_b32 exec_lo, exec_lo, s3
	s_cbranch_execz .LBB245_27
.LBB245_23:                             ;   in Loop: Header=BB245_4 Depth=1
	v_lshl_add_u64 v[26:27], s[10:11], 3, v[26:27]
	s_delay_alu instid0(VALU_DEP_1)
	v_lshl_add_u64 v[26:27], v[4:5], 3, v[26:27]
	s_and_saveexec_b32 s37, s1
	s_cbranch_execz .LBB245_25
; %bb.24:                               ;   in Loop: Header=BB245_4 Depth=1
	v_mov_b64_e32 v[28:29], s[8:9]
	v_mov_b64_e32 v[30:31], s[14:15]
	s_delay_alu instid0(VALU_DEP_2) | instskip(NEXT) | instid1(VALU_DEP_1)
	v_pk_mul_f32 v[28:29], v[18:19], v[28:29] op_sel:[1,0] op_sel_hi:[0,1]
	v_pk_fma_f32 v[36:37], v[18:19], v[30:31], v[28:29]
	v_pk_fma_f32 v[28:29], v[18:19], v[30:31], v[28:29] neg_lo:[0,0,1] neg_hi:[0,0,1]
	s_delay_alu instid0(VALU_DEP_2)
	v_mov_b32_e32 v29, v37
	flat_store_b64 v[26:27], v[28:29]
.LBB245_25:                             ;   in Loop: Header=BB245_4 Depth=1
	s_wait_xcnt 0x0
	s_or_b32 exec_lo, exec_lo, s37
	s_delay_alu instid0(SALU_CYCLE_1)
	s_and_b32 exec_lo, exec_lo, s2
	s_cbranch_execz .LBB245_27
; %bb.26:                               ;   in Loop: Header=BB245_4 Depth=1
	v_mov_b64_e32 v[28:29], s[8:9]
	v_mov_b64_e32 v[30:31], s[14:15]
	s_delay_alu instid0(VALU_DEP_2) | instskip(NEXT) | instid1(VALU_DEP_1)
	v_pk_mul_f32 v[28:29], v[14:15], v[28:29] op_sel:[1,0] op_sel_hi:[0,1]
	v_pk_fma_f32 v[36:37], v[14:15], v[30:31], v[28:29]
	v_pk_fma_f32 v[28:29], v[14:15], v[30:31], v[28:29] neg_lo:[0,0,1] neg_hi:[0,0,1]
	s_delay_alu instid0(VALU_DEP_2)
	v_mov_b32_e32 v29, v37
	flat_store_b64 v[26:27], v[28:29] offset:128
.LBB245_27:                             ;   in Loop: Header=BB245_4 Depth=1
	s_wait_xcnt 0x0
	s_or_b32 exec_lo, exec_lo, s36
	s_cbranch_execnz .LBB245_3
.LBB245_28:                             ;   in Loop: Header=BB245_4 Depth=1
	s_and_saveexec_b32 s36, s0
	s_cbranch_execz .LBB245_2
; %bb.29:                               ;   in Loop: Header=BB245_4 Depth=1
	v_add_nc_u64_e32 v[26:27], s[28:29], v[16:17]
	v_lshlrev_b64_e32 v[16:17], 3, v[4:5]
	v_lshl_add_u64 v[22:23], v[6:7], 3, v[22:23]
	s_delay_alu instid0(VALU_DEP_3) | instskip(NEXT) | instid1(VALU_DEP_2)
	v_lshl_add_u64 v[26:27], v[8:9], 3, v[26:27]
	v_add_nc_u64_e32 v[28:29], v[22:23], v[16:17]
	s_delay_alu instid0(VALU_DEP_2)
	v_add_nc_u64_e32 v[30:31], v[26:27], v[16:17]
	s_and_saveexec_b32 s37, s1
	s_cbranch_execnz .LBB245_32
; %bb.30:                               ;   in Loop: Header=BB245_4 Depth=1
	s_or_b32 exec_lo, exec_lo, s37
	s_and_saveexec_b32 s37, s2
	s_cbranch_execnz .LBB245_33
.LBB245_31:                             ;   in Loop: Header=BB245_4 Depth=1
	s_or_b32 exec_lo, exec_lo, s37
	s_delay_alu instid0(SALU_CYCLE_1)
	s_and_b32 exec_lo, exec_lo, s3
	s_cbranch_execz .LBB245_2
	s_branch .LBB245_34
.LBB245_32:                             ;   in Loop: Header=BB245_4 Depth=1
	flat_load_b64 v[36:37], v[30:31]
	v_mov_b64_e32 v[38:39], s[8:9]
	v_mov_b64_e32 v[40:41], s[18:19]
	;; [unrolled: 1-line block ×4, first 2 shown]
	s_delay_alu instid0(VALU_DEP_4) | instskip(NEXT) | instid1(VALU_DEP_1)
	v_pk_mul_f32 v[38:39], v[20:21], v[38:39] op_sel:[1,0] op_sel_hi:[0,1]
	v_pk_fma_f32 v[46:47], v[20:21], v[42:43], v[38:39]
	v_pk_fma_f32 v[20:21], v[20:21], v[42:43], v[38:39] neg_lo:[0,0,1] neg_hi:[0,0,1]
	s_wait_loadcnt_dscnt 0x0
	v_pk_mul_f32 v[40:41], v[36:37], v[40:41] op_sel:[1,0] op_sel_hi:[0,1]
	s_delay_alu instid0(VALU_DEP_1) | instskip(SKIP_1) | instid1(VALU_DEP_2)
	v_pk_fma_f32 v[48:49], v[36:37], v[44:45], v[40:41]
	v_pk_fma_f32 v[36:37], v[36:37], v[44:45], v[40:41] neg_lo:[0,0,1] neg_hi:[0,0,1]
	v_dual_mov_b32 v21, v47 :: v_dual_mov_b32 v37, v49
	s_delay_alu instid0(VALU_DEP_1)
	v_pk_add_f32 v[20:21], v[20:21], v[36:37]
	flat_store_b64 v[28:29], v[20:21]
	s_wait_xcnt 0x0
	s_or_b32 exec_lo, exec_lo, s37
	s_and_saveexec_b32 s37, s2
	s_cbranch_execz .LBB245_31
.LBB245_33:                             ;   in Loop: Header=BB245_4 Depth=1
	flat_load_b64 v[20:21], v[30:31] offset:128
	s_wait_xcnt 0x0
	v_mov_b64_e32 v[30:31], s[8:9]
	v_mov_b64_e32 v[36:37], s[18:19]
	;; [unrolled: 1-line block ×4, first 2 shown]
	s_delay_alu instid0(VALU_DEP_4) | instskip(NEXT) | instid1(VALU_DEP_1)
	v_pk_mul_f32 v[30:31], v[24:25], v[30:31] op_sel:[1,0] op_sel_hi:[0,1]
	v_pk_fma_f32 v[42:43], v[24:25], v[38:39], v[30:31]
	v_pk_fma_f32 v[24:25], v[24:25], v[38:39], v[30:31] neg_lo:[0,0,1] neg_hi:[0,0,1]
	s_wait_loadcnt_dscnt 0x0
	v_pk_mul_f32 v[36:37], v[20:21], v[36:37] op_sel:[1,0] op_sel_hi:[0,1]
	s_delay_alu instid0(VALU_DEP_1) | instskip(SKIP_1) | instid1(VALU_DEP_2)
	v_pk_fma_f32 v[44:45], v[20:21], v[40:41], v[36:37]
	v_pk_fma_f32 v[20:21], v[20:21], v[40:41], v[36:37] neg_lo:[0,0,1] neg_hi:[0,0,1]
	v_dual_mov_b32 v25, v43 :: v_dual_mov_b32 v21, v45
	s_delay_alu instid0(VALU_DEP_1) | instskip(SKIP_3) | instid1(SALU_CYCLE_1)
	v_pk_add_f32 v[20:21], v[24:25], v[20:21]
	flat_store_b64 v[28:29], v[20:21] offset:128
	s_wait_xcnt 0x0
	s_or_b32 exec_lo, exec_lo, s37
	s_and_b32 exec_lo, exec_lo, s3
	s_cbranch_execz .LBB245_2
.LBB245_34:                             ;   in Loop: Header=BB245_4 Depth=1
	v_lshl_add_u64 v[20:21], s[20:21], 3, v[26:27]
	v_lshl_add_u64 v[22:23], s[10:11], 3, v[22:23]
	s_delay_alu instid0(VALU_DEP_2) | instskip(NEXT) | instid1(VALU_DEP_2)
	v_add_nc_u64_e32 v[20:21], v[20:21], v[16:17]
	v_add_nc_u64_e32 v[16:17], v[22:23], v[16:17]
	s_and_saveexec_b32 s37, s1
	s_cbranch_execz .LBB245_36
; %bb.35:                               ;   in Loop: Header=BB245_4 Depth=1
	flat_load_b64 v[22:23], v[20:21]
	v_mov_b64_e32 v[24:25], s[8:9]
	v_mov_b64_e32 v[26:27], s[18:19]
	;; [unrolled: 1-line block ×4, first 2 shown]
	s_delay_alu instid0(VALU_DEP_4) | instskip(NEXT) | instid1(VALU_DEP_1)
	v_pk_mul_f32 v[24:25], v[18:19], v[24:25] op_sel:[1,0] op_sel_hi:[0,1]
	v_pk_fma_f32 v[36:37], v[18:19], v[28:29], v[24:25]
	v_pk_fma_f32 v[18:19], v[18:19], v[28:29], v[24:25] neg_lo:[0,0,1] neg_hi:[0,0,1]
	s_wait_loadcnt_dscnt 0x0
	v_pk_mul_f32 v[26:27], v[22:23], v[26:27] op_sel:[1,0] op_sel_hi:[0,1]
	s_delay_alu instid0(VALU_DEP_1) | instskip(SKIP_1) | instid1(VALU_DEP_2)
	v_pk_fma_f32 v[38:39], v[22:23], v[30:31], v[26:27]
	v_pk_fma_f32 v[22:23], v[22:23], v[30:31], v[26:27] neg_lo:[0,0,1] neg_hi:[0,0,1]
	v_dual_mov_b32 v19, v37 :: v_dual_mov_b32 v23, v39
	s_delay_alu instid0(VALU_DEP_1)
	v_pk_add_f32 v[18:19], v[18:19], v[22:23]
	flat_store_b64 v[16:17], v[18:19]
.LBB245_36:                             ;   in Loop: Header=BB245_4 Depth=1
	s_wait_xcnt 0x0
	s_or_b32 exec_lo, exec_lo, s37
	s_delay_alu instid0(SALU_CYCLE_1)
	s_and_b32 exec_lo, exec_lo, s2
	s_cbranch_execz .LBB245_2
; %bb.37:                               ;   in Loop: Header=BB245_4 Depth=1
	flat_load_b64 v[18:19], v[20:21] offset:128
	s_wait_xcnt 0x0
	v_mov_b64_e32 v[20:21], s[8:9]
	v_mov_b64_e32 v[22:23], s[18:19]
	;; [unrolled: 1-line block ×4, first 2 shown]
	s_delay_alu instid0(VALU_DEP_4) | instskip(NEXT) | instid1(VALU_DEP_1)
	v_pk_mul_f32 v[20:21], v[14:15], v[20:21] op_sel:[1,0] op_sel_hi:[0,1]
	v_pk_fma_f32 v[28:29], v[14:15], v[24:25], v[20:21]
	v_pk_fma_f32 v[14:15], v[14:15], v[24:25], v[20:21] neg_lo:[0,0,1] neg_hi:[0,0,1]
	s_wait_loadcnt_dscnt 0x0
	v_pk_mul_f32 v[22:23], v[18:19], v[22:23] op_sel:[1,0] op_sel_hi:[0,1]
	s_delay_alu instid0(VALU_DEP_1) | instskip(SKIP_1) | instid1(VALU_DEP_2)
	v_pk_fma_f32 v[30:31], v[18:19], v[26:27], v[22:23]
	v_pk_fma_f32 v[18:19], v[18:19], v[26:27], v[22:23] neg_lo:[0,0,1] neg_hi:[0,0,1]
	v_dual_mov_b32 v15, v29 :: v_dual_mov_b32 v19, v31
	s_delay_alu instid0(VALU_DEP_1)
	v_pk_add_f32 v[14:15], v[14:15], v[18:19]
	flat_store_b64 v[16:17], v[14:15] offset:128
	s_branch .LBB245_2
.LBB245_38:
	s_sendmsg sendmsg(MSG_DEALLOC_VGPRS)
	s_endpgm
	.section	.rodata,"a",@progbits
	.p2align	6, 0x0
	.amdhsa_kernel _ZN12_GLOBAL__N_135rocblas_gemm_batched_general_kernelI19rocblas_complex_numIfELi16ELi16ELi32ELi32ELi8ELi32ELi8ELi8ELi32ELc67ELc67EKPKS2_S5_KPS2_EEvlllT_PT11_llSA_llS8_PT12_llPT13_lli
		.amdhsa_group_segment_fixed_size 4096
		.amdhsa_private_segment_fixed_size 0
		.amdhsa_kernarg_size 140
		.amdhsa_user_sgpr_count 2
		.amdhsa_user_sgpr_dispatch_ptr 0
		.amdhsa_user_sgpr_queue_ptr 0
		.amdhsa_user_sgpr_kernarg_segment_ptr 1
		.amdhsa_user_sgpr_dispatch_id 0
		.amdhsa_user_sgpr_kernarg_preload_length 0
		.amdhsa_user_sgpr_kernarg_preload_offset 0
		.amdhsa_user_sgpr_private_segment_size 0
		.amdhsa_wavefront_size32 1
		.amdhsa_uses_dynamic_stack 0
		.amdhsa_enable_private_segment 0
		.amdhsa_system_sgpr_workgroup_id_x 1
		.amdhsa_system_sgpr_workgroup_id_y 1
		.amdhsa_system_sgpr_workgroup_id_z 1
		.amdhsa_system_sgpr_workgroup_info 0
		.amdhsa_system_vgpr_workitem_id 1
		.amdhsa_next_free_vgpr 114
		.amdhsa_next_free_sgpr 45
		.amdhsa_named_barrier_count 0
		.amdhsa_reserve_vcc 1
		.amdhsa_float_round_mode_32 0
		.amdhsa_float_round_mode_16_64 0
		.amdhsa_float_denorm_mode_32 3
		.amdhsa_float_denorm_mode_16_64 3
		.amdhsa_fp16_overflow 0
		.amdhsa_memory_ordered 1
		.amdhsa_forward_progress 1
		.amdhsa_inst_pref_size 28
		.amdhsa_round_robin_scheduling 0
		.amdhsa_exception_fp_ieee_invalid_op 0
		.amdhsa_exception_fp_denorm_src 0
		.amdhsa_exception_fp_ieee_div_zero 0
		.amdhsa_exception_fp_ieee_overflow 0
		.amdhsa_exception_fp_ieee_underflow 0
		.amdhsa_exception_fp_ieee_inexact 0
		.amdhsa_exception_int_div_zero 0
	.end_amdhsa_kernel
	.section	.text._ZN12_GLOBAL__N_135rocblas_gemm_batched_general_kernelI19rocblas_complex_numIfELi16ELi16ELi32ELi32ELi8ELi32ELi8ELi8ELi32ELc67ELc67EKPKS2_S5_KPS2_EEvlllT_PT11_llSA_llS8_PT12_llPT13_lli,"axG",@progbits,_ZN12_GLOBAL__N_135rocblas_gemm_batched_general_kernelI19rocblas_complex_numIfELi16ELi16ELi32ELi32ELi8ELi32ELi8ELi8ELi32ELc67ELc67EKPKS2_S5_KPS2_EEvlllT_PT11_llSA_llS8_PT12_llPT13_lli,comdat
.Lfunc_end245:
	.size	_ZN12_GLOBAL__N_135rocblas_gemm_batched_general_kernelI19rocblas_complex_numIfELi16ELi16ELi32ELi32ELi8ELi32ELi8ELi8ELi32ELc67ELc67EKPKS2_S5_KPS2_EEvlllT_PT11_llSA_llS8_PT12_llPT13_lli, .Lfunc_end245-_ZN12_GLOBAL__N_135rocblas_gemm_batched_general_kernelI19rocblas_complex_numIfELi16ELi16ELi32ELi32ELi8ELi32ELi8ELi8ELi32ELc67ELc67EKPKS2_S5_KPS2_EEvlllT_PT11_llSA_llS8_PT12_llPT13_lli
                                        ; -- End function
	.set _ZN12_GLOBAL__N_135rocblas_gemm_batched_general_kernelI19rocblas_complex_numIfELi16ELi16ELi32ELi32ELi8ELi32ELi8ELi8ELi32ELc67ELc67EKPKS2_S5_KPS2_EEvlllT_PT11_llSA_llS8_PT12_llPT13_lli.num_vgpr, 114
	.set _ZN12_GLOBAL__N_135rocblas_gemm_batched_general_kernelI19rocblas_complex_numIfELi16ELi16ELi32ELi32ELi8ELi32ELi8ELi8ELi32ELc67ELc67EKPKS2_S5_KPS2_EEvlllT_PT11_llSA_llS8_PT12_llPT13_lli.num_agpr, 0
	.set _ZN12_GLOBAL__N_135rocblas_gemm_batched_general_kernelI19rocblas_complex_numIfELi16ELi16ELi32ELi32ELi8ELi32ELi8ELi8ELi32ELc67ELc67EKPKS2_S5_KPS2_EEvlllT_PT11_llSA_llS8_PT12_llPT13_lli.numbered_sgpr, 45
	.set _ZN12_GLOBAL__N_135rocblas_gemm_batched_general_kernelI19rocblas_complex_numIfELi16ELi16ELi32ELi32ELi8ELi32ELi8ELi8ELi32ELc67ELc67EKPKS2_S5_KPS2_EEvlllT_PT11_llSA_llS8_PT12_llPT13_lli.num_named_barrier, 0
	.set _ZN12_GLOBAL__N_135rocblas_gemm_batched_general_kernelI19rocblas_complex_numIfELi16ELi16ELi32ELi32ELi8ELi32ELi8ELi8ELi32ELc67ELc67EKPKS2_S5_KPS2_EEvlllT_PT11_llSA_llS8_PT12_llPT13_lli.private_seg_size, 0
	.set _ZN12_GLOBAL__N_135rocblas_gemm_batched_general_kernelI19rocblas_complex_numIfELi16ELi16ELi32ELi32ELi8ELi32ELi8ELi8ELi32ELc67ELc67EKPKS2_S5_KPS2_EEvlllT_PT11_llSA_llS8_PT12_llPT13_lli.uses_vcc, 1
	.set _ZN12_GLOBAL__N_135rocblas_gemm_batched_general_kernelI19rocblas_complex_numIfELi16ELi16ELi32ELi32ELi8ELi32ELi8ELi8ELi32ELc67ELc67EKPKS2_S5_KPS2_EEvlllT_PT11_llSA_llS8_PT12_llPT13_lli.uses_flat_scratch, 0
	.set _ZN12_GLOBAL__N_135rocblas_gemm_batched_general_kernelI19rocblas_complex_numIfELi16ELi16ELi32ELi32ELi8ELi32ELi8ELi8ELi32ELc67ELc67EKPKS2_S5_KPS2_EEvlllT_PT11_llSA_llS8_PT12_llPT13_lli.has_dyn_sized_stack, 0
	.set _ZN12_GLOBAL__N_135rocblas_gemm_batched_general_kernelI19rocblas_complex_numIfELi16ELi16ELi32ELi32ELi8ELi32ELi8ELi8ELi32ELc67ELc67EKPKS2_S5_KPS2_EEvlllT_PT11_llSA_llS8_PT12_llPT13_lli.has_recursion, 0
	.set _ZN12_GLOBAL__N_135rocblas_gemm_batched_general_kernelI19rocblas_complex_numIfELi16ELi16ELi32ELi32ELi8ELi32ELi8ELi8ELi32ELc67ELc67EKPKS2_S5_KPS2_EEvlllT_PT11_llSA_llS8_PT12_llPT13_lli.has_indirect_call, 0
	.section	.AMDGPU.csdata,"",@progbits
; Kernel info:
; codeLenInByte = 3536
; TotalNumSgprs: 47
; NumVgprs: 114
; ScratchSize: 0
; MemoryBound: 0
; FloatMode: 240
; IeeeMode: 1
; LDSByteSize: 4096 bytes/workgroup (compile time only)
; SGPRBlocks: 0
; VGPRBlocks: 7
; NumSGPRsForWavesPerEU: 47
; NumVGPRsForWavesPerEU: 114
; NamedBarCnt: 0
; Occupancy: 8
; WaveLimiterHint : 1
; COMPUTE_PGM_RSRC2:SCRATCH_EN: 0
; COMPUTE_PGM_RSRC2:USER_SGPR: 2
; COMPUTE_PGM_RSRC2:TRAP_HANDLER: 0
; COMPUTE_PGM_RSRC2:TGID_X_EN: 1
; COMPUTE_PGM_RSRC2:TGID_Y_EN: 1
; COMPUTE_PGM_RSRC2:TGID_Z_EN: 1
; COMPUTE_PGM_RSRC2:TIDIG_COMP_CNT: 1
	.section	.text._ZN12_GLOBAL__N_135rocblas_gemm_batched_general_kernelI19rocblas_complex_numIfELi16ELi16ELi32ELi32ELi8ELi32ELi8ELi8ELi32ELc67ELc78EKPKS2_S5_KPS2_EEvlllT_PT11_llSA_llS8_PT12_llPT13_lli,"axG",@progbits,_ZN12_GLOBAL__N_135rocblas_gemm_batched_general_kernelI19rocblas_complex_numIfELi16ELi16ELi32ELi32ELi8ELi32ELi8ELi8ELi32ELc67ELc78EKPKS2_S5_KPS2_EEvlllT_PT11_llSA_llS8_PT12_llPT13_lli,comdat
	.globl	_ZN12_GLOBAL__N_135rocblas_gemm_batched_general_kernelI19rocblas_complex_numIfELi16ELi16ELi32ELi32ELi8ELi32ELi8ELi8ELi32ELc67ELc78EKPKS2_S5_KPS2_EEvlllT_PT11_llSA_llS8_PT12_llPT13_lli ; -- Begin function _ZN12_GLOBAL__N_135rocblas_gemm_batched_general_kernelI19rocblas_complex_numIfELi16ELi16ELi32ELi32ELi8ELi32ELi8ELi8ELi32ELc67ELc78EKPKS2_S5_KPS2_EEvlllT_PT11_llSA_llS8_PT12_llPT13_lli
	.p2align	8
	.type	_ZN12_GLOBAL__N_135rocblas_gemm_batched_general_kernelI19rocblas_complex_numIfELi16ELi16ELi32ELi32ELi8ELi32ELi8ELi8ELi32ELc67ELc78EKPKS2_S5_KPS2_EEvlllT_PT11_llSA_llS8_PT12_llPT13_lli,@function
_ZN12_GLOBAL__N_135rocblas_gemm_batched_general_kernelI19rocblas_complex_numIfELi16ELi16ELi32ELi32ELi8ELi32ELi8ELi8ELi32ELc67ELc78EKPKS2_S5_KPS2_EEvlllT_PT11_llSA_llS8_PT12_llPT13_lli: ; @_ZN12_GLOBAL__N_135rocblas_gemm_batched_general_kernelI19rocblas_complex_numIfELi16ELi16ELi32ELi32ELi8ELi32ELi8ELi8ELi32ELc67ELc78EKPKS2_S5_KPS2_EEvlllT_PT11_llSA_llS8_PT12_llPT13_lli
; %bb.0:
	s_load_b32 s33, s[0:1], 0x88
	s_bfe_u32 s2, ttmp6, 0x40014
	s_lshr_b32 s3, ttmp7, 16
	s_add_co_i32 s2, s2, 1
	s_bfe_u32 s5, ttmp6, 0x40008
	s_mul_i32 s4, s3, s2
	s_getreg_b32 s2, hwreg(HW_REG_IB_STS2, 6, 4)
	s_add_co_i32 s5, s5, s4
	s_cmp_eq_u32 s2, 0
	s_mov_b32 s35, 0
	s_cselect_b32 s34, s3, s5
	s_wait_kmcnt 0x0
	s_cmp_ge_i32 s34, s33
	s_cbranch_scc1 .LBB246_36
; %bb.1:
	s_load_b256 s[4:11], s[0:1], 0x0
	v_bfe_u32 v10, v0, 10, 10
	v_and_b32_e32 v6, 0x3ff, v0
	s_clause 0x4
	s_load_b256 s[12:19], s[0:1], 0x20
	s_load_b128 s[28:31], s[0:1], 0x78
	s_load_b256 s[20:27], s[0:1], 0x58
	s_load_b128 s[36:39], s[0:1], 0x40
	s_load_b64 s[40:41], s[0:1], 0x50
	s_wait_xcnt 0x0
	s_bfe_u32 s0, ttmp6, 0x4000c
	s_bfe_u32 s3, ttmp6, 0x40010
	s_add_co_i32 s0, s0, 1
	s_and_b32 s42, ttmp7, 0xffff
	s_add_co_i32 s3, s3, 1
	s_and_b32 s1, ttmp6, 15
	s_mul_i32 s0, ttmp9, s0
	s_mul_i32 s3, s42, s3
	s_bfe_u32 s43, ttmp6, 0x40004
	v_lshl_add_u32 v3, v10, 4, v6
	s_add_co_i32 s1, s1, s0
	s_add_co_i32 s43, s43, s3
	s_cmp_eq_u32 s2, 0
	s_delay_alu instid0(VALU_DEP_1) | instskip(SKIP_3) | instid1(VALU_DEP_1)
	v_dual_mov_b32 v1, 0 :: v_dual_bitop2_b32 v16, 31, v3 bitop3:0x40
	s_cselect_b32 s0, ttmp9, s1
	s_cselect_b32 s42, s42, s43
	s_ashr_i32 s1, s0, 31
	v_dual_mov_b32 v5, v1 :: v_dual_lshrrev_b32 v4, 3, v3
	s_lshl_b64 s[2:3], s[0:1], 5
	s_lshl_b32 s42, s42, 5
	v_dual_mov_b32 v9, s3 :: v_dual_bitop2_b32 v8, s2, v16 bitop3:0x54
	s_mov_b32 s43, s35
	v_dual_mov_b32 v11, v1 :: v_dual_bitop2_b32 v2, 7, v0 bitop3:0x40
	v_add_nc_u64_e32 v[12:13], s[42:43], v[4:5]
	s_wait_kmcnt 0x0
	v_mul_u64_e32 v[14:15], s[14:15], v[8:9]
	s_delay_alu instid0(VALU_DEP_3)
	v_dual_lshlrev_b32 v5, 3, v16 :: v_dual_lshlrev_b32 v16, 3, v2
	v_dual_mov_b32 v7, v1 :: v_dual_lshrrev_b32 v0, 5, v3
	v_cmp_gt_i64_e32 vcc_lo, s[4:5], v[8:9]
	v_mul_u64_e32 v[18:19], s[36:37], v[12:13]
	v_cmp_gt_i64_e64 s0, s[6:7], v[12:13]
	v_add_nc_u64_e32 v[12:13], s[42:43], v[10:11]
	v_lshl_or_b32 v8, v4, 6, v16
	v_lshl_or_b32 v32, v0, 8, v5
	v_add_nc_u64_e32 v[4:5], s[2:3], v[6:7]
	v_dual_mov_b32 v3, v1 :: v_dual_lshlrev_b32 v34, 3, v6
	s_delay_alu instid0(VALU_DEP_4)
	v_add_nc_u32_e32 v33, 0x800, v8
	v_mul_u64_e32 v[6:7], s[28:29], v[12:13]
	v_mul_u64_e32 v[8:9], s[22:23], v[12:13]
	s_or_b32 s1, s40, s41
	v_add_nc_u64_e32 v[20:21], 16, v[4:5]
	s_bitset0_b32 s1, 31
	v_lshl_add_u32 v35, v10, 6, 0x800
	s_cmp_eq_u32 s1, 0
	v_cmp_gt_i64_e64 s2, s[4:5], v[4:5]
	s_cselect_b32 s36, -1, 0
	v_add_nc_u64_e32 v[10:11], 16, v[12:13]
	v_cmp_gt_i64_e64 s3, s[4:5], v[20:21]
	s_lshl_b64 s[4:5], s[16:17], 3
	v_cmp_gt_i64_e64 s1, s[6:7], v[12:13]
	s_lshl_b64 s[16:17], s[38:39], 3
	s_mov_b32 s14, s11
	s_mov_b32 s15, s11
	;; [unrolled: 1-line block ×3, first 2 shown]
	v_lshl_add_u64 v[12:13], v[14:15], 3, s[4:5]
	v_dual_mov_b32 v15, v1 :: v_dual_lshlrev_b32 v14, 3, v0
	v_cmp_gt_i64_e64 s4, s[6:7], v[10:11]
	v_cmp_gt_i64_e64 s5, s[8:9], 0
	s_lshl_b64 s[6:7], s[28:29], 4
	v_lshl_add_u64 v[18:19], v[18:19], 3, s[16:17]
	v_add_nc_u64_e32 v[10:11], v[12:13], v[14:15]
	v_mov_b32_e32 v17, v1
	s_mov_b32 s16, s41
	s_mov_b32 s17, s41
	;; [unrolled: 1-line block ×3, first 2 shown]
	s_lshl_b64 s[22:23], s[22:23], 4
	s_xor_b32 s37, vcc_lo, -1
	v_or_b32_e32 v10, 4, v10
	v_add_nc_u64_e32 v[12:13], v[18:19], v[16:17]
	s_lshl_b64 s[28:29], s[30:31], 3
	s_lshl_b64 s[24:25], s[24:25], 3
	s_branch .LBB246_4
.LBB246_2:                              ;   in Loop: Header=BB246_4 Depth=1
	s_wait_xcnt 0x0
	s_or_b32 exec_lo, exec_lo, s30
.LBB246_3:                              ;   in Loop: Header=BB246_4 Depth=1
	s_add_co_i32 s34, s34, 0x10000
	s_delay_alu instid0(SALU_CYCLE_1)
	s_cmp_lt_i32 s34, s33
	s_cbranch_scc0 .LBB246_36
.LBB246_4:                              ; =>This Loop Header: Depth=1
                                        ;     Child Loop BB246_7 Depth 2
	v_dual_mov_b32 v14, s34 :: v_dual_mov_b32 v21, 0
	v_dual_mov_b32 v20, 0 :: v_dual_mov_b32 v25, 0
	;; [unrolled: 1-line block ×3, first 2 shown]
	s_clause 0x1
	global_load_b64 v[16:17], v14, s[20:21] scale_offset
	global_load_b64 v[22:23], v14, s[26:27] scale_offset
	v_dual_mov_b32 v18, 0 :: v_dual_mov_b32 v15, 0
	s_wait_xcnt 0x0
	v_mov_b32_e32 v14, 0
	s_and_not1_b32 vcc_lo, exec_lo, s5
	s_cbranch_vccnz .LBB246_13
; %bb.5:                                ;   in Loop: Header=BB246_4 Depth=1
	s_lshl_b64 s[30:31], s[34:35], 3
	v_mov_b32_e32 v14, 0
	s_add_nc_u64 s[38:39], s[18:19], s[30:31]
	s_add_nc_u64 s[30:31], s[12:13], s[30:31]
	s_clause 0x1
	global_load_b64 v[20:21], v1, s[38:39]
	global_load_b64 v[28:29], v1, s[30:31]
	s_wait_xcnt 0x0
	s_mov_b64 s[30:31], 0
	v_dual_mov_b32 v15, v14 :: v_dual_mov_b32 v18, v14
	v_dual_mov_b32 v19, v14 :: v_dual_mov_b32 v24, v14
	v_mov_b32_e32 v25, v14
	s_wait_loadcnt 0x1
	v_add_nc_u64_e32 v[26:27], v[20:21], v[12:13]
	s_wait_loadcnt 0x0
	v_add_nc_u64_e32 v[28:29], v[28:29], v[10:11]
	v_dual_mov_b32 v20, v14 :: v_dual_mov_b32 v21, v14
	s_branch .LBB246_7
.LBB246_6:                              ;   in Loop: Header=BB246_7 Depth=2
	s_wait_xcnt 0x0
	s_or_b32 exec_lo, exec_lo, s38
	s_wait_loadcnt_dscnt 0x0
	ds_store_b64 v33, v[30:31]
	s_wait_dscnt 0x0
	s_barrier_signal -1
	s_barrier_wait -1
	ds_load_2addr_b64 v[36:39], v34 offset1:16
	ds_load_b128 v[40:43], v35
	ds_load_2addr_b64 v[44:47], v34 offset0:32 offset1:48
	ds_load_b128 v[48:51], v35 offset:1024
	ds_load_b128 v[52:55], v35 offset:16
	ds_load_2addr_b64 v[56:59], v34 offset0:64 offset1:80
	ds_load_2addr_b64 v[60:63], v34 offset0:96 offset1:112
	;; [unrolled: 1-line block ×3, first 2 shown]
	ds_load_b128 v[68:71], v35 offset:1040
	s_add_nc_u64 s[30:31], s[30:31], 8
	v_add_nc_u64_e32 v[26:27], 64, v[26:27]
	v_cmp_lt_i64_e64 s38, s[30:31], s[8:9]
	v_add_nc_u64_e32 v[28:29], 64, v[28:29]
	s_and_b32 vcc_lo, exec_lo, s38
	s_wait_dscnt 0x7
	v_pk_mul_f32 v[30:31], v[40:41], v[36:37] op_sel:[0,1]
	s_wait_dscnt 0x6
	v_pk_mul_f32 v[72:73], v[42:43], v[44:45] op_sel:[0,1]
	v_pk_mul_f32 v[74:75], v[40:41], v[38:39] op_sel:[0,1]
	;; [unrolled: 1-line block ×3, first 2 shown]
	s_wait_dscnt 0x5
	v_pk_mul_f32 v[78:79], v[48:49], v[36:37] op_sel:[0,1]
	v_pk_mul_f32 v[80:81], v[48:49], v[38:39] op_sel:[0,1]
	v_pk_fma_f32 v[82:83], v[40:41], v[36:37], v[30:31] op_sel:[0,0,1] op_sel_hi:[1,1,0] neg_lo:[0,0,1] neg_hi:[0,0,1]
	v_pk_fma_f32 v[30:31], v[40:41], v[36:37], v[30:31] op_sel:[0,0,1] op_sel_hi:[1,0,0]
	v_pk_fma_f32 v[84:85], v[42:43], v[44:45], v[72:73] op_sel:[0,0,1] op_sel_hi:[1,1,0] neg_lo:[0,0,1] neg_hi:[0,0,1]
	v_pk_fma_f32 v[86:87], v[42:43], v[44:45], v[72:73] op_sel:[0,0,1] op_sel_hi:[1,0,0]
	;; [unrolled: 2-line block ×3, first 2 shown]
	ds_load_b128 v[72:75], v35 offset:32
	v_pk_mul_f32 v[40:41], v[50:51], v[44:45] op_sel:[0,1]
	v_pk_fma_f32 v[92:93], v[42:43], v[46:47], v[76:77] op_sel:[0,0,1] op_sel_hi:[1,1,0] neg_lo:[0,0,1] neg_hi:[0,0,1]
	v_pk_fma_f32 v[76:77], v[42:43], v[46:47], v[76:77] op_sel:[0,0,1] op_sel_hi:[1,0,0]
	v_pk_fma_f32 v[94:95], v[48:49], v[36:37], v[78:79] op_sel:[0,0,1] op_sel_hi:[1,1,0] neg_lo:[0,0,1] neg_hi:[0,0,1]
	v_pk_fma_f32 v[78:79], v[48:49], v[36:37], v[78:79] op_sel:[0,0,1] op_sel_hi:[1,0,0]
	v_pk_fma_f32 v[96:97], v[48:49], v[38:39], v[80:81] op_sel:[0,0,1] op_sel_hi:[1,1,0] neg_lo:[0,0,1] neg_hi:[0,0,1]
	v_pk_mul_f32 v[42:43], v[50:51], v[46:47] op_sel:[0,1]
	v_pk_fma_f32 v[80:81], v[48:49], v[38:39], v[80:81] op_sel:[0,0,1] op_sel_hi:[1,0,0]
	v_pk_fma_f32 v[98:99], v[50:51], v[44:45], v[40:41] op_sel:[0,0,1] op_sel_hi:[1,1,0] neg_lo:[0,0,1] neg_hi:[0,0,1]
	s_wait_dscnt 0x4
	v_pk_mul_f32 v[48:49], v[52:53], v[56:57] op_sel:[0,1]
	v_pk_fma_f32 v[100:101], v[50:51], v[44:45], v[40:41] op_sel:[0,0,1] op_sel_hi:[1,0,0]
	ds_load_2addr_b64 v[36:39], v34 offset0:160 offset1:176
	s_wait_dscnt 0x4
	v_pk_mul_f32 v[40:41], v[54:55], v[60:61] op_sel:[0,1]
	v_pk_mul_f32 v[44:45], v[52:53], v[58:59] op_sel:[0,1]
	v_dual_mov_b32 v83, v31 :: v_dual_mov_b32 v85, v87
	v_pk_fma_f32 v[102:103], v[50:51], v[46:47], v[42:43] op_sel:[0,0,1] op_sel_hi:[1,1,0] neg_lo:[0,0,1] neg_hi:[0,0,1]
	v_pk_fma_f32 v[104:105], v[50:51], v[46:47], v[42:43] op_sel:[0,0,1] op_sel_hi:[1,0,0]
	v_pk_fma_f32 v[106:107], v[52:53], v[56:57], v[48:49] op_sel:[0,0,1] op_sel_hi:[1,1,0] neg_lo:[0,0,1] neg_hi:[0,0,1]
	v_pk_fma_f32 v[48:49], v[52:53], v[56:57], v[48:49] op_sel:[0,0,1] op_sel_hi:[1,0,0]
	;; [unrolled: 2-line block ×3, first 2 shown]
	ds_load_b128 v[40:43], v35 offset:48
	v_pk_add_f32 v[20:21], v[20:21], v[82:83]
	v_pk_fma_f32 v[82:83], v[52:53], v[58:59], v[44:45] op_sel:[0,0,1] op_sel_hi:[1,1,0] neg_lo:[0,0,1] neg_hi:[0,0,1]
	v_pk_fma_f32 v[52:53], v[52:53], v[58:59], v[44:45] op_sel:[0,0,1] op_sel_hi:[1,0,0]
	ds_load_2addr_b64 v[44:47], v34 offset0:192 offset1:208
	v_pk_mul_f32 v[30:31], v[54:55], v[62:63] op_sel:[0,1]
	s_wait_dscnt 0x3
	v_pk_mul_f32 v[112:113], v[72:73], v[64:65] op_sel:[0,1]
	v_dual_mov_b32 v89, v91 :: v_dual_mov_b32 v107, v49
	v_pk_add_f32 v[20:21], v[20:21], v[84:85]
	ds_load_2addr_b64 v[48:51], v34 offset0:224 offset1:240
	v_pk_fma_f32 v[86:87], v[54:55], v[62:63], v[30:31] op_sel:[0,0,1] op_sel_hi:[1,1,0] neg_lo:[0,0,1] neg_hi:[0,0,1]
	v_pk_fma_f32 v[30:31], v[54:55], v[62:63], v[30:31] op_sel:[0,0,1] op_sel_hi:[1,0,0]
	s_wait_dscnt 0x3
	v_pk_mul_f32 v[54:55], v[74:75], v[36:37] op_sel:[0,1]
	v_pk_add_f32 v[24:25], v[24:25], v[88:89]
	v_pk_fma_f32 v[88:89], v[72:73], v[64:65], v[112:113] op_sel:[0,0,1] op_sel_hi:[1,0,0]
	v_dual_mov_b32 v93, v77 :: v_dual_mov_b32 v109, v111
	v_pk_add_f32 v[20:21], v[20:21], v[106:107]
	v_pk_mul_f32 v[90:91], v[72:73], v[66:67] op_sel:[0,1]
	v_pk_mul_f32 v[106:107], v[74:75], v[38:39] op_sel:[0,1]
	v_pk_fma_f32 v[84:85], v[72:73], v[64:65], v[112:113] op_sel:[0,0,1] op_sel_hi:[1,1,0] neg_lo:[0,0,1] neg_hi:[0,0,1]
	v_pk_fma_f32 v[76:77], v[74:75], v[36:37], v[54:55] op_sel:[0,0,1] op_sel_hi:[1,1,0] neg_lo:[0,0,1] neg_hi:[0,0,1]
	v_pk_fma_f32 v[54:55], v[74:75], v[36:37], v[54:55] op_sel:[0,0,1] op_sel_hi:[1,0,0]
	v_pk_add_f32 v[24:25], v[24:25], v[92:93]
	v_pk_fma_f32 v[92:93], v[72:73], v[66:67], v[90:91] op_sel:[0,0,1] op_sel_hi:[1,1,0] neg_lo:[0,0,1] neg_hi:[0,0,1]
	v_pk_fma_f32 v[72:73], v[72:73], v[66:67], v[90:91] op_sel:[0,0,1] op_sel_hi:[1,0,0]
	v_dual_mov_b32 v83, v53 :: v_dual_mov_b32 v85, v89
	v_pk_fma_f32 v[90:91], v[74:75], v[38:39], v[106:107] op_sel:[0,0,1] op_sel_hi:[1,1,0] neg_lo:[0,0,1] neg_hi:[0,0,1]
	v_pk_fma_f32 v[52:53], v[74:75], v[38:39], v[106:107] op_sel:[0,0,1] op_sel_hi:[1,0,0]
	s_wait_dscnt 0x1
	v_pk_mul_f32 v[74:75], v[40:41], v[44:45] op_sel:[0,1]
	v_pk_add_f32 v[20:21], v[20:21], v[108:109]
	v_dual_mov_b32 v87, v31 :: v_dual_mov_b32 v77, v55
	v_pk_mul_f32 v[54:55], v[40:41], v[46:47] op_sel:[0,1]
	s_delay_alu instid0(VALU_DEP_4)
	v_pk_fma_f32 v[30:31], v[40:41], v[44:45], v[74:75] op_sel:[0,0,1] op_sel_hi:[1,1,0] neg_lo:[0,0,1] neg_hi:[0,0,1]
	v_pk_fma_f32 v[74:75], v[40:41], v[44:45], v[74:75] op_sel:[0,0,1] op_sel_hi:[1,0,0]
	v_pk_add_f32 v[20:21], v[20:21], v[84:85]
	v_pk_add_f32 v[24:25], v[24:25], v[82:83]
	s_wait_dscnt 0x0
	v_pk_mul_f32 v[82:83], v[42:43], v[48:49] op_sel:[0,1]
	v_dual_mov_b32 v93, v73 :: v_dual_mov_b32 v31, v75
	v_pk_add_f32 v[20:21], v[20:21], v[76:77]
	v_pk_fma_f32 v[72:73], v[40:41], v[46:47], v[54:55] op_sel:[0,0,1] op_sel_hi:[1,1,0] neg_lo:[0,0,1] neg_hi:[0,0,1]
	v_pk_fma_f32 v[40:41], v[40:41], v[46:47], v[54:55] op_sel:[0,0,1] op_sel_hi:[1,0,0]
	v_dual_mov_b32 v91, v53 :: v_dual_mov_b32 v95, v79
	ds_load_b128 v[52:55], v35 offset:1056
	v_pk_fma_f32 v[84:85], v[42:43], v[48:49], v[82:83] op_sel:[0,0,1] op_sel_hi:[1,1,0] neg_lo:[0,0,1] neg_hi:[0,0,1]
	v_pk_fma_f32 v[82:83], v[42:43], v[48:49], v[82:83] op_sel:[0,0,1] op_sel_hi:[1,0,0]
	v_pk_add_f32 v[20:21], v[20:21], v[30:31]
	v_pk_mul_f32 v[30:31], v[68:69], v[56:57] op_sel:[0,1]
	v_pk_add_f32 v[24:25], v[24:25], v[86:87]
	v_pk_add_f32 v[18:19], v[18:19], v[94:95]
	v_dual_mov_b32 v85, v83 :: v_dual_mov_b32 v99, v101
	s_delay_alu instid0(VALU_DEP_4)
	v_pk_fma_f32 v[76:77], v[68:69], v[56:57], v[30:31] op_sel:[0,0,1] op_sel_hi:[1,0,0]
	v_pk_mul_f32 v[86:87], v[42:43], v[50:51] op_sel:[0,1]
	v_pk_add_f32 v[24:25], v[24:25], v[92:93]
	v_mov_b32_e32 v73, v41
	v_pk_mul_f32 v[40:41], v[70:71], v[60:61] op_sel:[0,1]
	v_pk_fma_f32 v[30:31], v[68:69], v[56:57], v[30:31] op_sel:[0,0,1] op_sel_hi:[1,1,0] neg_lo:[0,0,1] neg_hi:[0,0,1]
	v_pk_add_f32 v[18:19], v[18:19], v[98:99]
	v_mov_b32_e32 v31, v77
	v_pk_fma_f32 v[74:75], v[42:43], v[50:51], v[86:87] op_sel:[0,0,1] op_sel_hi:[1,1,0] neg_lo:[0,0,1] neg_hi:[0,0,1]
	v_pk_add_f32 v[24:25], v[24:25], v[90:91]
	v_pk_fma_f32 v[56:57], v[42:43], v[50:51], v[86:87] op_sel:[0,0,1] op_sel_hi:[1,0,0]
	v_pk_fma_f32 v[42:43], v[70:71], v[60:61], v[40:41] op_sel:[0,0,1] op_sel_hi:[1,0,0]
	v_pk_add_f32 v[18:19], v[18:19], v[30:31]
	v_pk_fma_f32 v[30:31], v[70:71], v[60:61], v[40:41] op_sel:[0,0,1] op_sel_hi:[1,1,0] neg_lo:[0,0,1] neg_hi:[0,0,1]
	v_pk_add_f32 v[24:25], v[24:25], v[72:73]
	v_pk_mul_f32 v[60:61], v[68:69], v[58:59] op_sel:[0,1]
	v_dual_mov_b32 v31, v43 :: v_dual_mov_b32 v97, v81
	ds_load_b128 v[40:43], v35 offset:1072
	s_wait_dscnt 0x1
	v_pk_mul_f32 v[72:73], v[52:53], v[64:65] op_sel:[0,1]
	v_dual_mov_b32 v75, v57 :: v_dual_mov_b32 v103, v105
	v_pk_add_f32 v[18:19], v[18:19], v[30:31]
	v_pk_fma_f32 v[30:31], v[68:69], v[58:59], v[60:61] op_sel:[0,0,1] op_sel_hi:[1,1,0] neg_lo:[0,0,1] neg_hi:[0,0,1]
	s_delay_alu instid0(VALU_DEP_4)
	v_pk_fma_f32 v[56:57], v[52:53], v[64:65], v[72:73] op_sel:[0,0,1] op_sel_hi:[1,0,0]
	v_pk_add_f32 v[14:15], v[14:15], v[96:97]
	v_pk_mul_f32 v[76:77], v[54:55], v[36:37] op_sel:[0,1]
	v_pk_fma_f32 v[58:59], v[68:69], v[58:59], v[60:61] op_sel:[0,0,1] op_sel_hi:[1,0,0]
	v_pk_fma_f32 v[60:61], v[52:53], v[64:65], v[72:73] op_sel:[0,0,1] op_sel_hi:[1,1,0] neg_lo:[0,0,1] neg_hi:[0,0,1]
	v_mov_b32_e32 v61, v57
	v_pk_add_f32 v[14:15], v[14:15], v[102:103]
	v_pk_fma_f32 v[56:57], v[54:55], v[36:37], v[76:77] op_sel:[0,0,1] op_sel_hi:[1,0,0]
	v_pk_mul_f32 v[64:65], v[70:71], v[62:63] op_sel:[0,1]
	v_mov_b32_e32 v31, v59
	v_pk_fma_f32 v[36:37], v[54:55], v[36:37], v[76:77] op_sel:[0,0,1] op_sel_hi:[1,1,0] neg_lo:[0,0,1] neg_hi:[0,0,1]
	v_pk_add_f32 v[18:19], v[18:19], v[60:61]
	v_mov_b32_e32 v37, v57
	v_pk_fma_f32 v[56:57], v[70:71], v[62:63], v[64:65] op_sel:[0,0,1] op_sel_hi:[1,0,0]
	v_pk_add_f32 v[14:15], v[14:15], v[30:31]
	v_pk_mul_f32 v[30:31], v[52:53], v[66:67] op_sel:[0,1]
	v_pk_fma_f32 v[60:61], v[70:71], v[62:63], v[64:65] op_sel:[0,0,1] op_sel_hi:[1,1,0] neg_lo:[0,0,1] neg_hi:[0,0,1]
	s_wait_dscnt 0x0
	v_pk_mul_f32 v[58:59], v[40:41], v[44:45] op_sel:[0,1]
	v_mov_b32_e32 v61, v57
	v_pk_add_f32 v[18:19], v[18:19], v[36:37]
	v_pk_fma_f32 v[36:37], v[52:53], v[66:67], v[30:31] op_sel:[0,0,1] op_sel_hi:[1,0,0]
	v_pk_mul_f32 v[62:63], v[54:55], v[38:39] op_sel:[0,1]
	v_pk_fma_f32 v[30:31], v[52:53], v[66:67], v[30:31] op_sel:[0,0,1] op_sel_hi:[1,1,0] neg_lo:[0,0,1] neg_hi:[0,0,1]
	v_pk_add_f32 v[14:15], v[14:15], v[60:61]
	v_pk_fma_f32 v[56:57], v[40:41], v[44:45], v[58:59] op_sel:[0,0,1] op_sel_hi:[1,1,0] neg_lo:[0,0,1] neg_hi:[0,0,1]
	v_mov_b32_e32 v31, v37
	v_pk_fma_f32 v[36:37], v[40:41], v[44:45], v[58:59] op_sel:[0,0,1] op_sel_hi:[1,0,0]
	v_pk_fma_f32 v[44:45], v[54:55], v[38:39], v[62:63] op_sel:[0,0,1] op_sel_hi:[1,0,0]
	v_pk_mul_f32 v[52:53], v[42:43], v[48:49] op_sel:[0,1]
	v_pk_mul_f32 v[58:59], v[40:41], v[46:47] op_sel:[0,1]
	v_pk_add_f32 v[20:21], v[20:21], v[84:85]
	v_mov_b32_e32 v57, v37
	v_pk_add_f32 v[14:15], v[14:15], v[30:31]
	v_pk_fma_f32 v[30:31], v[54:55], v[38:39], v[62:63] op_sel:[0,0,1] op_sel_hi:[1,1,0] neg_lo:[0,0,1] neg_hi:[0,0,1]
	v_pk_fma_f32 v[38:39], v[42:43], v[48:49], v[52:53] op_sel:[0,0,1] op_sel_hi:[1,0,0]
	v_mov_b32_e32 v31, v45
	v_pk_fma_f32 v[36:37], v[40:41], v[46:47], v[58:59] op_sel:[0,0,1] op_sel_hi:[1,0,0]
	v_pk_mul_f32 v[44:45], v[42:43], v[50:51] op_sel:[0,1]
	v_pk_add_f32 v[18:19], v[18:19], v[56:57]
	v_pk_add_f32 v[24:25], v[24:25], v[74:75]
	;; [unrolled: 1-line block ×3, first 2 shown]
	v_pk_fma_f32 v[30:31], v[40:41], v[46:47], v[58:59] op_sel:[0,0,1] op_sel_hi:[1,1,0] neg_lo:[0,0,1] neg_hi:[0,0,1]
	v_mov_b32_e32 v31, v37
	v_pk_fma_f32 v[36:37], v[42:43], v[50:51], v[44:45] op_sel:[0,0,1] op_sel_hi:[1,0,0]
	v_pk_fma_f32 v[40:41], v[42:43], v[48:49], v[52:53] op_sel:[0,0,1] op_sel_hi:[1,1,0] neg_lo:[0,0,1] neg_hi:[0,0,1]
	v_mov_b32_e32 v41, v39
	s_delay_alu instid0(VALU_DEP_4) | instskip(SKIP_2) | instid1(VALU_DEP_4)
	v_pk_add_f32 v[14:15], v[14:15], v[30:31]
	v_pk_fma_f32 v[30:31], v[42:43], v[50:51], v[44:45] op_sel:[0,0,1] op_sel_hi:[1,1,0] neg_lo:[0,0,1] neg_hi:[0,0,1]
	v_mov_b32_e32 v31, v37
	v_pk_add_f32 v[18:19], v[18:19], v[40:41]
	s_barrier_signal -1
	s_barrier_wait -1
	s_delay_alu instid0(VALU_DEP_2)
	v_pk_add_f32 v[14:15], v[14:15], v[30:31]
	s_cbranch_vccz .LBB246_13
.LBB246_7:                              ;   Parent Loop BB246_4 Depth=1
                                        ; =>  This Inner Loop Header: Depth=2
	v_add_nc_u64_e32 v[30:31], s[30:31], v[0:1]
	s_delay_alu instid0(VALU_DEP_1) | instskip(SKIP_1) | instid1(SALU_CYCLE_1)
	v_cmp_le_i64_e32 vcc_lo, s[8:9], v[30:31]
	s_or_b32 s38, s37, vcc_lo
	s_and_saveexec_b32 s39, s38
	s_delay_alu instid0(SALU_CYCLE_1)
	s_xor_b32 s38, exec_lo, s39
; %bb.8:                                ;   in Loop: Header=BB246_7 Depth=2
	ds_store_b32 v32, v1
; %bb.9:                                ;   in Loop: Header=BB246_7 Depth=2
	s_or_saveexec_b32 s38, s38
	v_dual_mov_b32 v30, 0 :: v_dual_mov_b32 v36, 0
	s_xor_b32 exec_lo, exec_lo, s38
	s_cbranch_execz .LBB246_11
; %bb.10:                               ;   in Loop: Header=BB246_7 Depth=2
	flat_load_b64 v[38:39], v[28:29] offset:-4
	s_wait_loadcnt_dscnt 0x0
	v_xor_b32_e32 v36, 0x80000000, v39
	ds_store_b32 v32, v38
.LBB246_11:                             ;   in Loop: Header=BB246_7 Depth=2
	s_wait_xcnt 0x0
	s_or_b32 exec_lo, exec_lo, s38
	v_add_nc_u64_e32 v[38:39], s[30:31], v[2:3]
	v_mov_b32_e32 v31, 0
	ds_store_b32 v32, v36 offset:4
	v_cmp_gt_i64_e32 vcc_lo, s[8:9], v[38:39]
	s_and_b32 s39, vcc_lo, s0
	s_delay_alu instid0(SALU_CYCLE_1)
	s_and_saveexec_b32 s38, s39
	s_cbranch_execz .LBB246_6
; %bb.12:                               ;   in Loop: Header=BB246_7 Depth=2
	flat_load_b64 v[30:31], v[26:27]
	s_branch .LBB246_6
.LBB246_13:                             ;   in Loop: Header=BB246_4 Depth=1
	s_wait_loadcnt 0x0
	v_add_nc_u64_e32 v[22:23], s[28:29], v[22:23]
	s_and_not1_b32 vcc_lo, exec_lo, s36
	s_mov_b32 s30, -1
	s_cbranch_vccz .LBB246_15
; %bb.14:                               ;   in Loop: Header=BB246_4 Depth=1
	s_and_not1_b32 vcc_lo, exec_lo, s30
	s_cbranch_vccnz .LBB246_3
	s_branch .LBB246_26
.LBB246_15:                             ;   in Loop: Header=BB246_4 Depth=1
	s_and_saveexec_b32 s30, s1
	s_cbranch_execz .LBB246_25
; %bb.16:                               ;   in Loop: Header=BB246_4 Depth=1
	s_delay_alu instid0(VALU_DEP_1) | instskip(NEXT) | instid1(VALU_DEP_1)
	v_lshl_add_u64 v[26:27], v[6:7], 3, v[22:23]
	v_lshl_add_u64 v[28:29], v[4:5], 3, v[26:27]
	s_and_saveexec_b32 s31, s2
	s_cbranch_execnz .LBB246_19
; %bb.17:                               ;   in Loop: Header=BB246_4 Depth=1
	s_or_b32 exec_lo, exec_lo, s31
	s_and_saveexec_b32 s31, s3
	s_cbranch_execnz .LBB246_20
.LBB246_18:                             ;   in Loop: Header=BB246_4 Depth=1
	s_or_b32 exec_lo, exec_lo, s31
	s_delay_alu instid0(SALU_CYCLE_1)
	s_and_b32 exec_lo, exec_lo, s4
	s_cbranch_execnz .LBB246_21
	s_branch .LBB246_25
.LBB246_19:                             ;   in Loop: Header=BB246_4 Depth=1
	v_mov_b64_e32 v[30:31], s[14:15]
	v_mov_b64_e32 v[36:37], s[10:11]
	s_delay_alu instid0(VALU_DEP_2) | instskip(NEXT) | instid1(VALU_DEP_1)
	v_pk_mul_f32 v[30:31], v[20:21], v[30:31] op_sel:[1,0] op_sel_hi:[0,1]
	v_pk_fma_f32 v[38:39], v[20:21], v[36:37], v[30:31]
	v_pk_fma_f32 v[30:31], v[20:21], v[36:37], v[30:31] neg_lo:[0,0,1] neg_hi:[0,0,1]
	s_delay_alu instid0(VALU_DEP_2)
	v_mov_b32_e32 v31, v39
	flat_store_b64 v[28:29], v[30:31]
	s_wait_xcnt 0x0
	s_or_b32 exec_lo, exec_lo, s31
	s_and_saveexec_b32 s31, s3
	s_cbranch_execz .LBB246_18
.LBB246_20:                             ;   in Loop: Header=BB246_4 Depth=1
	v_mov_b64_e32 v[30:31], s[14:15]
	v_mov_b64_e32 v[36:37], s[10:11]
	s_delay_alu instid0(VALU_DEP_2) | instskip(NEXT) | instid1(VALU_DEP_1)
	v_pk_mul_f32 v[30:31], v[24:25], v[30:31] op_sel:[1,0] op_sel_hi:[0,1]
	v_pk_fma_f32 v[38:39], v[24:25], v[36:37], v[30:31]
	v_pk_fma_f32 v[30:31], v[24:25], v[36:37], v[30:31] neg_lo:[0,0,1] neg_hi:[0,0,1]
	s_delay_alu instid0(VALU_DEP_2) | instskip(SKIP_3) | instid1(SALU_CYCLE_1)
	v_mov_b32_e32 v31, v39
	flat_store_b64 v[28:29], v[30:31] offset:128
	s_wait_xcnt 0x0
	s_or_b32 exec_lo, exec_lo, s31
	s_and_b32 exec_lo, exec_lo, s4
	s_cbranch_execz .LBB246_25
.LBB246_21:                             ;   in Loop: Header=BB246_4 Depth=1
	v_lshl_add_u64 v[26:27], s[6:7], 3, v[26:27]
	s_delay_alu instid0(VALU_DEP_1)
	v_lshl_add_u64 v[26:27], v[4:5], 3, v[26:27]
	s_and_saveexec_b32 s31, s2
	s_cbranch_execz .LBB246_23
; %bb.22:                               ;   in Loop: Header=BB246_4 Depth=1
	v_mov_b64_e32 v[28:29], s[14:15]
	v_mov_b64_e32 v[30:31], s[10:11]
	s_delay_alu instid0(VALU_DEP_2) | instskip(NEXT) | instid1(VALU_DEP_1)
	v_pk_mul_f32 v[28:29], v[18:19], v[28:29] op_sel:[1,0] op_sel_hi:[0,1]
	v_pk_fma_f32 v[36:37], v[18:19], v[30:31], v[28:29]
	v_pk_fma_f32 v[28:29], v[18:19], v[30:31], v[28:29] neg_lo:[0,0,1] neg_hi:[0,0,1]
	s_delay_alu instid0(VALU_DEP_2)
	v_mov_b32_e32 v29, v37
	flat_store_b64 v[26:27], v[28:29]
.LBB246_23:                             ;   in Loop: Header=BB246_4 Depth=1
	s_wait_xcnt 0x0
	s_or_b32 exec_lo, exec_lo, s31
	s_delay_alu instid0(SALU_CYCLE_1)
	s_and_b32 exec_lo, exec_lo, s3
	s_cbranch_execz .LBB246_25
; %bb.24:                               ;   in Loop: Header=BB246_4 Depth=1
	v_mov_b64_e32 v[28:29], s[14:15]
	v_mov_b64_e32 v[30:31], s[10:11]
	s_delay_alu instid0(VALU_DEP_2) | instskip(NEXT) | instid1(VALU_DEP_1)
	v_pk_mul_f32 v[28:29], v[14:15], v[28:29] op_sel:[1,0] op_sel_hi:[0,1]
	v_pk_fma_f32 v[36:37], v[14:15], v[30:31], v[28:29]
	v_pk_fma_f32 v[28:29], v[14:15], v[30:31], v[28:29] neg_lo:[0,0,1] neg_hi:[0,0,1]
	s_delay_alu instid0(VALU_DEP_2)
	v_mov_b32_e32 v29, v37
	flat_store_b64 v[26:27], v[28:29] offset:128
.LBB246_25:                             ;   in Loop: Header=BB246_4 Depth=1
	s_wait_xcnt 0x0
	s_or_b32 exec_lo, exec_lo, s30
	s_cbranch_execnz .LBB246_3
.LBB246_26:                             ;   in Loop: Header=BB246_4 Depth=1
	s_and_saveexec_b32 s30, s1
	s_cbranch_execz .LBB246_2
; %bb.27:                               ;   in Loop: Header=BB246_4 Depth=1
	v_add_nc_u64_e32 v[26:27], s[24:25], v[16:17]
	v_lshlrev_b64_e32 v[16:17], 3, v[4:5]
	v_lshl_add_u64 v[22:23], v[6:7], 3, v[22:23]
	s_delay_alu instid0(VALU_DEP_3) | instskip(NEXT) | instid1(VALU_DEP_2)
	v_lshl_add_u64 v[26:27], v[8:9], 3, v[26:27]
	v_add_nc_u64_e32 v[28:29], v[22:23], v[16:17]
	s_delay_alu instid0(VALU_DEP_2)
	v_add_nc_u64_e32 v[30:31], v[26:27], v[16:17]
	s_and_saveexec_b32 s31, s2
	s_cbranch_execnz .LBB246_30
; %bb.28:                               ;   in Loop: Header=BB246_4 Depth=1
	s_or_b32 exec_lo, exec_lo, s31
	s_and_saveexec_b32 s31, s3
	s_cbranch_execnz .LBB246_31
.LBB246_29:                             ;   in Loop: Header=BB246_4 Depth=1
	s_or_b32 exec_lo, exec_lo, s31
	s_delay_alu instid0(SALU_CYCLE_1)
	s_and_b32 exec_lo, exec_lo, s4
	s_cbranch_execz .LBB246_2
	s_branch .LBB246_32
.LBB246_30:                             ;   in Loop: Header=BB246_4 Depth=1
	flat_load_b64 v[36:37], v[30:31]
	v_mov_b64_e32 v[38:39], s[14:15]
	v_mov_b64_e32 v[40:41], s[16:17]
	;; [unrolled: 1-line block ×4, first 2 shown]
	s_delay_alu instid0(VALU_DEP_4) | instskip(NEXT) | instid1(VALU_DEP_1)
	v_pk_mul_f32 v[38:39], v[20:21], v[38:39] op_sel:[1,0] op_sel_hi:[0,1]
	v_pk_fma_f32 v[46:47], v[20:21], v[42:43], v[38:39]
	v_pk_fma_f32 v[20:21], v[20:21], v[42:43], v[38:39] neg_lo:[0,0,1] neg_hi:[0,0,1]
	s_wait_loadcnt_dscnt 0x0
	v_pk_mul_f32 v[40:41], v[36:37], v[40:41] op_sel:[1,0] op_sel_hi:[0,1]
	s_delay_alu instid0(VALU_DEP_1) | instskip(SKIP_1) | instid1(VALU_DEP_2)
	v_pk_fma_f32 v[48:49], v[36:37], v[44:45], v[40:41]
	v_pk_fma_f32 v[36:37], v[36:37], v[44:45], v[40:41] neg_lo:[0,0,1] neg_hi:[0,0,1]
	v_dual_mov_b32 v21, v47 :: v_dual_mov_b32 v37, v49
	s_delay_alu instid0(VALU_DEP_1)
	v_pk_add_f32 v[20:21], v[20:21], v[36:37]
	flat_store_b64 v[28:29], v[20:21]
	s_wait_xcnt 0x0
	s_or_b32 exec_lo, exec_lo, s31
	s_and_saveexec_b32 s31, s3
	s_cbranch_execz .LBB246_29
.LBB246_31:                             ;   in Loop: Header=BB246_4 Depth=1
	flat_load_b64 v[20:21], v[30:31] offset:128
	s_wait_xcnt 0x0
	v_mov_b64_e32 v[30:31], s[14:15]
	v_mov_b64_e32 v[36:37], s[16:17]
	;; [unrolled: 1-line block ×4, first 2 shown]
	s_delay_alu instid0(VALU_DEP_4) | instskip(NEXT) | instid1(VALU_DEP_1)
	v_pk_mul_f32 v[30:31], v[24:25], v[30:31] op_sel:[1,0] op_sel_hi:[0,1]
	v_pk_fma_f32 v[42:43], v[24:25], v[38:39], v[30:31]
	v_pk_fma_f32 v[24:25], v[24:25], v[38:39], v[30:31] neg_lo:[0,0,1] neg_hi:[0,0,1]
	s_wait_loadcnt_dscnt 0x0
	v_pk_mul_f32 v[36:37], v[20:21], v[36:37] op_sel:[1,0] op_sel_hi:[0,1]
	s_delay_alu instid0(VALU_DEP_1) | instskip(SKIP_1) | instid1(VALU_DEP_2)
	v_pk_fma_f32 v[44:45], v[20:21], v[40:41], v[36:37]
	v_pk_fma_f32 v[20:21], v[20:21], v[40:41], v[36:37] neg_lo:[0,0,1] neg_hi:[0,0,1]
	v_dual_mov_b32 v25, v43 :: v_dual_mov_b32 v21, v45
	s_delay_alu instid0(VALU_DEP_1) | instskip(SKIP_3) | instid1(SALU_CYCLE_1)
	v_pk_add_f32 v[20:21], v[24:25], v[20:21]
	flat_store_b64 v[28:29], v[20:21] offset:128
	s_wait_xcnt 0x0
	s_or_b32 exec_lo, exec_lo, s31
	s_and_b32 exec_lo, exec_lo, s4
	s_cbranch_execz .LBB246_2
.LBB246_32:                             ;   in Loop: Header=BB246_4 Depth=1
	v_lshl_add_u64 v[20:21], s[22:23], 3, v[26:27]
	v_lshl_add_u64 v[22:23], s[6:7], 3, v[22:23]
	s_delay_alu instid0(VALU_DEP_2) | instskip(NEXT) | instid1(VALU_DEP_2)
	v_add_nc_u64_e32 v[20:21], v[20:21], v[16:17]
	v_add_nc_u64_e32 v[16:17], v[22:23], v[16:17]
	s_and_saveexec_b32 s31, s2
	s_cbranch_execz .LBB246_34
; %bb.33:                               ;   in Loop: Header=BB246_4 Depth=1
	flat_load_b64 v[22:23], v[20:21]
	v_mov_b64_e32 v[24:25], s[14:15]
	v_mov_b64_e32 v[26:27], s[16:17]
	;; [unrolled: 1-line block ×4, first 2 shown]
	s_delay_alu instid0(VALU_DEP_4) | instskip(NEXT) | instid1(VALU_DEP_1)
	v_pk_mul_f32 v[24:25], v[18:19], v[24:25] op_sel:[1,0] op_sel_hi:[0,1]
	v_pk_fma_f32 v[36:37], v[18:19], v[28:29], v[24:25]
	v_pk_fma_f32 v[18:19], v[18:19], v[28:29], v[24:25] neg_lo:[0,0,1] neg_hi:[0,0,1]
	s_wait_loadcnt_dscnt 0x0
	v_pk_mul_f32 v[26:27], v[22:23], v[26:27] op_sel:[1,0] op_sel_hi:[0,1]
	s_delay_alu instid0(VALU_DEP_1) | instskip(SKIP_1) | instid1(VALU_DEP_2)
	v_pk_fma_f32 v[38:39], v[22:23], v[30:31], v[26:27]
	v_pk_fma_f32 v[22:23], v[22:23], v[30:31], v[26:27] neg_lo:[0,0,1] neg_hi:[0,0,1]
	v_dual_mov_b32 v19, v37 :: v_dual_mov_b32 v23, v39
	s_delay_alu instid0(VALU_DEP_1)
	v_pk_add_f32 v[18:19], v[18:19], v[22:23]
	flat_store_b64 v[16:17], v[18:19]
.LBB246_34:                             ;   in Loop: Header=BB246_4 Depth=1
	s_wait_xcnt 0x0
	s_or_b32 exec_lo, exec_lo, s31
	s_delay_alu instid0(SALU_CYCLE_1)
	s_and_b32 exec_lo, exec_lo, s3
	s_cbranch_execz .LBB246_2
; %bb.35:                               ;   in Loop: Header=BB246_4 Depth=1
	flat_load_b64 v[18:19], v[20:21] offset:128
	s_wait_xcnt 0x0
	v_mov_b64_e32 v[20:21], s[14:15]
	v_mov_b64_e32 v[22:23], s[16:17]
	;; [unrolled: 1-line block ×4, first 2 shown]
	s_delay_alu instid0(VALU_DEP_4) | instskip(NEXT) | instid1(VALU_DEP_1)
	v_pk_mul_f32 v[20:21], v[14:15], v[20:21] op_sel:[1,0] op_sel_hi:[0,1]
	v_pk_fma_f32 v[28:29], v[14:15], v[24:25], v[20:21]
	v_pk_fma_f32 v[14:15], v[14:15], v[24:25], v[20:21] neg_lo:[0,0,1] neg_hi:[0,0,1]
	s_wait_loadcnt_dscnt 0x0
	v_pk_mul_f32 v[22:23], v[18:19], v[22:23] op_sel:[1,0] op_sel_hi:[0,1]
	s_delay_alu instid0(VALU_DEP_1) | instskip(SKIP_1) | instid1(VALU_DEP_2)
	v_pk_fma_f32 v[30:31], v[18:19], v[26:27], v[22:23]
	v_pk_fma_f32 v[18:19], v[18:19], v[26:27], v[22:23] neg_lo:[0,0,1] neg_hi:[0,0,1]
	v_dual_mov_b32 v15, v29 :: v_dual_mov_b32 v19, v31
	s_delay_alu instid0(VALU_DEP_1)
	v_pk_add_f32 v[14:15], v[14:15], v[18:19]
	flat_store_b64 v[16:17], v[14:15] offset:128
	s_branch .LBB246_2
.LBB246_36:
	s_sendmsg sendmsg(MSG_DEALLOC_VGPRS)
	s_endpgm
	.section	.rodata,"a",@progbits
	.p2align	6, 0x0
	.amdhsa_kernel _ZN12_GLOBAL__N_135rocblas_gemm_batched_general_kernelI19rocblas_complex_numIfELi16ELi16ELi32ELi32ELi8ELi32ELi8ELi8ELi32ELc67ELc78EKPKS2_S5_KPS2_EEvlllT_PT11_llSA_llS8_PT12_llPT13_lli
		.amdhsa_group_segment_fixed_size 4096
		.amdhsa_private_segment_fixed_size 0
		.amdhsa_kernarg_size 140
		.amdhsa_user_sgpr_count 2
		.amdhsa_user_sgpr_dispatch_ptr 0
		.amdhsa_user_sgpr_queue_ptr 0
		.amdhsa_user_sgpr_kernarg_segment_ptr 1
		.amdhsa_user_sgpr_dispatch_id 0
		.amdhsa_user_sgpr_kernarg_preload_length 0
		.amdhsa_user_sgpr_kernarg_preload_offset 0
		.amdhsa_user_sgpr_private_segment_size 0
		.amdhsa_wavefront_size32 1
		.amdhsa_uses_dynamic_stack 0
		.amdhsa_enable_private_segment 0
		.amdhsa_system_sgpr_workgroup_id_x 1
		.amdhsa_system_sgpr_workgroup_id_y 1
		.amdhsa_system_sgpr_workgroup_id_z 1
		.amdhsa_system_sgpr_workgroup_info 0
		.amdhsa_system_vgpr_workitem_id 1
		.amdhsa_next_free_vgpr 114
		.amdhsa_next_free_sgpr 44
		.amdhsa_named_barrier_count 0
		.amdhsa_reserve_vcc 1
		.amdhsa_float_round_mode_32 0
		.amdhsa_float_round_mode_16_64 0
		.amdhsa_float_denorm_mode_32 3
		.amdhsa_float_denorm_mode_16_64 3
		.amdhsa_fp16_overflow 0
		.amdhsa_memory_ordered 1
		.amdhsa_forward_progress 1
		.amdhsa_inst_pref_size 28
		.amdhsa_round_robin_scheduling 0
		.amdhsa_exception_fp_ieee_invalid_op 0
		.amdhsa_exception_fp_denorm_src 0
		.amdhsa_exception_fp_ieee_div_zero 0
		.amdhsa_exception_fp_ieee_overflow 0
		.amdhsa_exception_fp_ieee_underflow 0
		.amdhsa_exception_fp_ieee_inexact 0
		.amdhsa_exception_int_div_zero 0
	.end_amdhsa_kernel
	.section	.text._ZN12_GLOBAL__N_135rocblas_gemm_batched_general_kernelI19rocblas_complex_numIfELi16ELi16ELi32ELi32ELi8ELi32ELi8ELi8ELi32ELc67ELc78EKPKS2_S5_KPS2_EEvlllT_PT11_llSA_llS8_PT12_llPT13_lli,"axG",@progbits,_ZN12_GLOBAL__N_135rocblas_gemm_batched_general_kernelI19rocblas_complex_numIfELi16ELi16ELi32ELi32ELi8ELi32ELi8ELi8ELi32ELc67ELc78EKPKS2_S5_KPS2_EEvlllT_PT11_llSA_llS8_PT12_llPT13_lli,comdat
.Lfunc_end246:
	.size	_ZN12_GLOBAL__N_135rocblas_gemm_batched_general_kernelI19rocblas_complex_numIfELi16ELi16ELi32ELi32ELi8ELi32ELi8ELi8ELi32ELc67ELc78EKPKS2_S5_KPS2_EEvlllT_PT11_llSA_llS8_PT12_llPT13_lli, .Lfunc_end246-_ZN12_GLOBAL__N_135rocblas_gemm_batched_general_kernelI19rocblas_complex_numIfELi16ELi16ELi32ELi32ELi8ELi32ELi8ELi8ELi32ELc67ELc78EKPKS2_S5_KPS2_EEvlllT_PT11_llSA_llS8_PT12_llPT13_lli
                                        ; -- End function
	.set _ZN12_GLOBAL__N_135rocblas_gemm_batched_general_kernelI19rocblas_complex_numIfELi16ELi16ELi32ELi32ELi8ELi32ELi8ELi8ELi32ELc67ELc78EKPKS2_S5_KPS2_EEvlllT_PT11_llSA_llS8_PT12_llPT13_lli.num_vgpr, 114
	.set _ZN12_GLOBAL__N_135rocblas_gemm_batched_general_kernelI19rocblas_complex_numIfELi16ELi16ELi32ELi32ELi8ELi32ELi8ELi8ELi32ELc67ELc78EKPKS2_S5_KPS2_EEvlllT_PT11_llSA_llS8_PT12_llPT13_lli.num_agpr, 0
	.set _ZN12_GLOBAL__N_135rocblas_gemm_batched_general_kernelI19rocblas_complex_numIfELi16ELi16ELi32ELi32ELi8ELi32ELi8ELi8ELi32ELc67ELc78EKPKS2_S5_KPS2_EEvlllT_PT11_llSA_llS8_PT12_llPT13_lli.numbered_sgpr, 44
	.set _ZN12_GLOBAL__N_135rocblas_gemm_batched_general_kernelI19rocblas_complex_numIfELi16ELi16ELi32ELi32ELi8ELi32ELi8ELi8ELi32ELc67ELc78EKPKS2_S5_KPS2_EEvlllT_PT11_llSA_llS8_PT12_llPT13_lli.num_named_barrier, 0
	.set _ZN12_GLOBAL__N_135rocblas_gemm_batched_general_kernelI19rocblas_complex_numIfELi16ELi16ELi32ELi32ELi8ELi32ELi8ELi8ELi32ELc67ELc78EKPKS2_S5_KPS2_EEvlllT_PT11_llSA_llS8_PT12_llPT13_lli.private_seg_size, 0
	.set _ZN12_GLOBAL__N_135rocblas_gemm_batched_general_kernelI19rocblas_complex_numIfELi16ELi16ELi32ELi32ELi8ELi32ELi8ELi8ELi32ELc67ELc78EKPKS2_S5_KPS2_EEvlllT_PT11_llSA_llS8_PT12_llPT13_lli.uses_vcc, 1
	.set _ZN12_GLOBAL__N_135rocblas_gemm_batched_general_kernelI19rocblas_complex_numIfELi16ELi16ELi32ELi32ELi8ELi32ELi8ELi8ELi32ELc67ELc78EKPKS2_S5_KPS2_EEvlllT_PT11_llSA_llS8_PT12_llPT13_lli.uses_flat_scratch, 0
	.set _ZN12_GLOBAL__N_135rocblas_gemm_batched_general_kernelI19rocblas_complex_numIfELi16ELi16ELi32ELi32ELi8ELi32ELi8ELi8ELi32ELc67ELc78EKPKS2_S5_KPS2_EEvlllT_PT11_llSA_llS8_PT12_llPT13_lli.has_dyn_sized_stack, 0
	.set _ZN12_GLOBAL__N_135rocblas_gemm_batched_general_kernelI19rocblas_complex_numIfELi16ELi16ELi32ELi32ELi8ELi32ELi8ELi8ELi32ELc67ELc78EKPKS2_S5_KPS2_EEvlllT_PT11_llSA_llS8_PT12_llPT13_lli.has_recursion, 0
	.set _ZN12_GLOBAL__N_135rocblas_gemm_batched_general_kernelI19rocblas_complex_numIfELi16ELi16ELi32ELi32ELi8ELi32ELi8ELi8ELi32ELc67ELc78EKPKS2_S5_KPS2_EEvlllT_PT11_llSA_llS8_PT12_llPT13_lli.has_indirect_call, 0
	.section	.AMDGPU.csdata,"",@progbits
; Kernel info:
; codeLenInByte = 3476
; TotalNumSgprs: 46
; NumVgprs: 114
; ScratchSize: 0
; MemoryBound: 0
; FloatMode: 240
; IeeeMode: 1
; LDSByteSize: 4096 bytes/workgroup (compile time only)
; SGPRBlocks: 0
; VGPRBlocks: 7
; NumSGPRsForWavesPerEU: 46
; NumVGPRsForWavesPerEU: 114
; NamedBarCnt: 0
; Occupancy: 8
; WaveLimiterHint : 1
; COMPUTE_PGM_RSRC2:SCRATCH_EN: 0
; COMPUTE_PGM_RSRC2:USER_SGPR: 2
; COMPUTE_PGM_RSRC2:TRAP_HANDLER: 0
; COMPUTE_PGM_RSRC2:TGID_X_EN: 1
; COMPUTE_PGM_RSRC2:TGID_Y_EN: 1
; COMPUTE_PGM_RSRC2:TGID_Z_EN: 1
; COMPUTE_PGM_RSRC2:TIDIG_COMP_CNT: 1
	.section	.text._ZN12_GLOBAL__N_135rocblas_gemm_batched_general_kernelI19rocblas_complex_numIfELi16ELi16ELi32ELi32ELi8ELi32ELi8ELi8ELi32ELc67ELc84EKPKS2_S5_KPS2_EEvlllT_PT11_llSA_llS8_PT12_llPT13_lli,"axG",@progbits,_ZN12_GLOBAL__N_135rocblas_gemm_batched_general_kernelI19rocblas_complex_numIfELi16ELi16ELi32ELi32ELi8ELi32ELi8ELi8ELi32ELc67ELc84EKPKS2_S5_KPS2_EEvlllT_PT11_llSA_llS8_PT12_llPT13_lli,comdat
	.globl	_ZN12_GLOBAL__N_135rocblas_gemm_batched_general_kernelI19rocblas_complex_numIfELi16ELi16ELi32ELi32ELi8ELi32ELi8ELi8ELi32ELc67ELc84EKPKS2_S5_KPS2_EEvlllT_PT11_llSA_llS8_PT12_llPT13_lli ; -- Begin function _ZN12_GLOBAL__N_135rocblas_gemm_batched_general_kernelI19rocblas_complex_numIfELi16ELi16ELi32ELi32ELi8ELi32ELi8ELi8ELi32ELc67ELc84EKPKS2_S5_KPS2_EEvlllT_PT11_llSA_llS8_PT12_llPT13_lli
	.p2align	8
	.type	_ZN12_GLOBAL__N_135rocblas_gemm_batched_general_kernelI19rocblas_complex_numIfELi16ELi16ELi32ELi32ELi8ELi32ELi8ELi8ELi32ELc67ELc84EKPKS2_S5_KPS2_EEvlllT_PT11_llSA_llS8_PT12_llPT13_lli,@function
_ZN12_GLOBAL__N_135rocblas_gemm_batched_general_kernelI19rocblas_complex_numIfELi16ELi16ELi32ELi32ELi8ELi32ELi8ELi8ELi32ELc67ELc84EKPKS2_S5_KPS2_EEvlllT_PT11_llSA_llS8_PT12_llPT13_lli: ; @_ZN12_GLOBAL__N_135rocblas_gemm_batched_general_kernelI19rocblas_complex_numIfELi16ELi16ELi32ELi32ELi8ELi32ELi8ELi8ELi32ELc67ELc84EKPKS2_S5_KPS2_EEvlllT_PT11_llSA_llS8_PT12_llPT13_lli
; %bb.0:
	s_load_b32 s33, s[0:1], 0x88
	s_bfe_u32 s2, ttmp6, 0x40014
	s_lshr_b32 s3, ttmp7, 16
	s_add_co_i32 s2, s2, 1
	s_bfe_u32 s5, ttmp6, 0x40008
	s_mul_i32 s4, s3, s2
	s_getreg_b32 s2, hwreg(HW_REG_IB_STS2, 6, 4)
	s_add_co_i32 s5, s5, s4
	s_cmp_eq_u32 s2, 0
	s_mov_b32 s35, 0
	s_cselect_b32 s34, s3, s5
	s_wait_kmcnt 0x0
	s_cmp_ge_i32 s34, s33
	s_cbranch_scc1 .LBB247_36
; %bb.1:
	v_bfe_u32 v6, v0, 10, 10
	v_and_b32_e32 v8, 0x3ff, v0
	s_clause 0x5
	s_load_b256 s[4:11], s[0:1], 0x0
	s_load_b256 s[12:19], s[0:1], 0x20
	s_load_b128 s[28:31], s[0:1], 0x78
	s_load_b256 s[20:27], s[0:1], 0x58
	s_load_b128 s[36:39], s[0:1], 0x40
	s_load_b64 s[40:41], s[0:1], 0x50
	s_wait_xcnt 0x0
	s_bfe_u32 s0, ttmp6, 0x4000c
	s_bfe_u32 s3, ttmp6, 0x40010
	s_add_co_i32 s0, s0, 1
	s_and_b32 s42, ttmp7, 0xffff
	s_add_co_i32 s3, s3, 1
	s_and_b32 s1, ttmp6, 15
	s_mul_i32 s0, ttmp9, s0
	s_mul_i32 s3, s42, s3
	s_bfe_u32 s43, ttmp6, 0x40004
	v_lshl_add_u32 v20, v6, 4, v8
	s_add_co_i32 s1, s1, s0
	s_add_co_i32 s43, s43, s3
	s_cmp_eq_u32 s2, 0
	s_delay_alu instid0(VALU_DEP_1) | instskip(SKIP_3) | instid1(VALU_DEP_1)
	v_dual_mov_b32 v3, 0 :: v_dual_bitop2_b32 v9, 31, v20 bitop3:0x40
	s_cselect_b32 s0, ttmp9, s1
	s_cselect_b32 s44, s42, s43
	s_ashr_i32 s1, s0, 31
	v_dual_mov_b32 v5, v3 :: v_dual_bitop2_b32 v0, 7, v0 bitop3:0x40
	s_lshl_b64 s[2:3], s[0:1], 5
	s_delay_alu instid0(SALU_CYCLE_1)
	v_dual_lshrrev_b32 v4, 3, v20 :: v_dual_bitop2_b32 v10, s2, v9 bitop3:0x54
	v_dual_mov_b32 v11, s3 :: v_dual_mov_b32 v1, v3
	s_lshl_b32 s42, s44, 5
	s_mov_b32 s43, s35
	v_dual_mov_b32 v7, v3 :: v_dual_lshrrev_b32 v2, 5, v20
	s_wait_kmcnt 0x0
	v_mul_u64_e32 v[14:15], s[14:15], v[10:11]
	v_add_nc_u64_e32 v[12:13], s[42:43], v[4:5]
	v_cmp_gt_i64_e32 vcc_lo, s[4:5], v[10:11]
	v_mul_u64_e32 v[10:11], s[36:37], v[0:1]
	v_dual_lshlrev_b32 v16, 3, v0 :: v_dual_lshlrev_b32 v5, 3, v9
	v_dual_mov_b32 v9, v3 :: v_dual_lshlrev_b32 v34, 3, v8
	v_cmp_gt_i64_e64 s0, s[6:7], v[12:13]
	v_add_nc_u64_e32 v[12:13], s[42:43], v[6:7]
	s_delay_alu instid0(VALU_DEP_4)
	v_lshl_or_b32 v4, v4, 6, v16
	v_lshl_or_b32 v32, v2, 8, v5
	v_lshl_add_u32 v35, v6, 6, 0x800
	s_or_b32 s1, s40, s41
	s_mov_b32 s14, s11
	v_add_nc_u32_e32 v33, 0x800, v4
	v_add_nc_u64_e32 v[4:5], s[2:3], v[8:9]
	v_mul_u64_e32 v[6:7], s[28:29], v[12:13]
	v_mul_u64_e32 v[8:9], s[22:23], v[12:13]
	s_bitset0_b32 s1, 31
	v_add_nc_u64_e32 v[18:19], 16, v[12:13]
	s_cmp_eq_u32 s1, 0
	v_cmp_gt_i64_e64 s1, s[6:7], v[12:13]
	v_add_nc_u64_e32 v[16:17], 16, v[4:5]
	s_cselect_b32 s42, -1, 0
	s_lshl_b64 s[16:17], s[16:17], 3
	v_cmp_gt_i64_e64 s2, s[4:5], v[4:5]
	s_lshl_b64 s[38:39], s[38:39], 3
	s_mov_b32 s15, s11
	s_mov_b32 s11, s10
	v_cmp_gt_i64_e64 s3, s[4:5], v[16:17]
	v_cmp_gt_i64_e64 s4, s[6:7], v[18:19]
	v_lshl_add_u64 v[12:13], v[14:15], 3, s[16:17]
	v_dual_mov_b32 v15, v3 :: v_dual_lshlrev_b32 v14, 3, v2
	s_lshl_b32 s6, s44, 8
	s_mov_b32 s7, s35
	v_and_b32_e32 v18, 0x1ff8, v20
	s_add_nc_u64 s[38:39], s[38:39], s[6:7]
	v_cmp_gt_i64_e64 s5, s[8:9], 0
	v_lshl_add_u64 v[16:17], v[10:11], 3, s[38:39]
	v_add_nc_u64_e32 v[10:11], v[12:13], v[14:15]
	v_mov_b32_e32 v19, v3
	s_lshl_b64 s[6:7], s[28:29], 4
	s_mov_b32 s16, s41
	s_mov_b32 s17, s41
	;; [unrolled: 1-line block ×3, first 2 shown]
	s_lshl_b64 s[22:23], s[22:23], 4
	v_or_b32_e32 v10, 4, v10
	v_add_nc_u64_e32 v[12:13], v[16:17], v[18:19]
	s_lshl_b64 s[28:29], s[36:37], 6
	s_xor_b32 s38, vcc_lo, -1
	s_lshl_b64 s[30:31], s[30:31], 3
	s_lshl_b64 s[24:25], s[24:25], 3
	s_branch .LBB247_4
.LBB247_2:                              ;   in Loop: Header=BB247_4 Depth=1
	s_wait_xcnt 0x0
	s_or_b32 exec_lo, exec_lo, s36
.LBB247_3:                              ;   in Loop: Header=BB247_4 Depth=1
	s_add_co_i32 s34, s34, 0x10000
	s_delay_alu instid0(SALU_CYCLE_1)
	s_cmp_lt_i32 s34, s33
	s_cbranch_scc0 .LBB247_36
.LBB247_4:                              ; =>This Loop Header: Depth=1
                                        ;     Child Loop BB247_7 Depth 2
	v_dual_mov_b32 v14, s34 :: v_dual_mov_b32 v21, 0
	v_dual_mov_b32 v20, 0 :: v_dual_mov_b32 v25, 0
	;; [unrolled: 1-line block ×3, first 2 shown]
	s_clause 0x1
	global_load_b64 v[16:17], v14, s[20:21] scale_offset
	global_load_b64 v[22:23], v14, s[26:27] scale_offset
	v_dual_mov_b32 v18, 0 :: v_dual_mov_b32 v15, 0
	s_wait_xcnt 0x0
	v_mov_b32_e32 v14, 0
	s_and_not1_b32 vcc_lo, exec_lo, s5
	s_cbranch_vccnz .LBB247_13
; %bb.5:                                ;   in Loop: Header=BB247_4 Depth=1
	s_lshl_b64 s[36:37], s[34:35], 3
	v_mov_b32_e32 v14, 0
	s_add_nc_u64 s[44:45], s[18:19], s[36:37]
	s_add_nc_u64 s[36:37], s[12:13], s[36:37]
	s_clause 0x1
	global_load_b64 v[20:21], v3, s[44:45]
	global_load_b64 v[28:29], v3, s[36:37]
	s_wait_xcnt 0x0
	s_mov_b64 s[36:37], 0
	v_dual_mov_b32 v15, v14 :: v_dual_mov_b32 v18, v14
	v_dual_mov_b32 v19, v14 :: v_dual_mov_b32 v24, v14
	v_mov_b32_e32 v25, v14
	s_wait_loadcnt 0x1
	v_add_nc_u64_e32 v[26:27], v[20:21], v[12:13]
	s_wait_loadcnt 0x0
	v_add_nc_u64_e32 v[28:29], v[28:29], v[10:11]
	v_dual_mov_b32 v20, v14 :: v_dual_mov_b32 v21, v14
	s_branch .LBB247_7
.LBB247_6:                              ;   in Loop: Header=BB247_7 Depth=2
	s_wait_xcnt 0x0
	s_or_b32 exec_lo, exec_lo, s39
	s_wait_loadcnt_dscnt 0x0
	ds_store_b64 v33, v[30:31]
	s_wait_dscnt 0x0
	s_barrier_signal -1
	s_barrier_wait -1
	ds_load_2addr_b64 v[36:39], v34 offset1:16
	ds_load_b128 v[40:43], v35
	ds_load_2addr_b64 v[44:47], v34 offset0:32 offset1:48
	ds_load_b128 v[48:51], v35 offset:1024
	ds_load_b128 v[52:55], v35 offset:16
	ds_load_2addr_b64 v[56:59], v34 offset0:64 offset1:80
	ds_load_2addr_b64 v[60:63], v34 offset0:96 offset1:112
	;; [unrolled: 1-line block ×3, first 2 shown]
	ds_load_b128 v[68:71], v35 offset:1040
	s_add_nc_u64 s[36:37], s[36:37], 8
	v_add_nc_u64_e32 v[26:27], s[28:29], v[26:27]
	v_cmp_lt_i64_e64 s39, s[36:37], s[8:9]
	v_add_nc_u64_e32 v[28:29], 64, v[28:29]
	s_and_b32 vcc_lo, exec_lo, s39
	s_wait_dscnt 0x7
	v_pk_mul_f32 v[30:31], v[40:41], v[36:37] op_sel:[0,1]
	s_wait_dscnt 0x6
	v_pk_mul_f32 v[72:73], v[42:43], v[44:45] op_sel:[0,1]
	v_pk_mul_f32 v[74:75], v[40:41], v[38:39] op_sel:[0,1]
	;; [unrolled: 1-line block ×3, first 2 shown]
	s_wait_dscnt 0x5
	v_pk_mul_f32 v[78:79], v[48:49], v[36:37] op_sel:[0,1]
	v_pk_mul_f32 v[80:81], v[48:49], v[38:39] op_sel:[0,1]
	v_pk_fma_f32 v[82:83], v[40:41], v[36:37], v[30:31] op_sel:[0,0,1] op_sel_hi:[1,1,0] neg_lo:[0,0,1] neg_hi:[0,0,1]
	v_pk_fma_f32 v[30:31], v[40:41], v[36:37], v[30:31] op_sel:[0,0,1] op_sel_hi:[1,0,0]
	v_pk_fma_f32 v[84:85], v[42:43], v[44:45], v[72:73] op_sel:[0,0,1] op_sel_hi:[1,1,0] neg_lo:[0,0,1] neg_hi:[0,0,1]
	v_pk_fma_f32 v[86:87], v[42:43], v[44:45], v[72:73] op_sel:[0,0,1] op_sel_hi:[1,0,0]
	;; [unrolled: 2-line block ×3, first 2 shown]
	ds_load_b128 v[72:75], v35 offset:32
	v_pk_mul_f32 v[40:41], v[50:51], v[44:45] op_sel:[0,1]
	v_pk_fma_f32 v[92:93], v[42:43], v[46:47], v[76:77] op_sel:[0,0,1] op_sel_hi:[1,1,0] neg_lo:[0,0,1] neg_hi:[0,0,1]
	v_pk_fma_f32 v[76:77], v[42:43], v[46:47], v[76:77] op_sel:[0,0,1] op_sel_hi:[1,0,0]
	v_pk_fma_f32 v[94:95], v[48:49], v[36:37], v[78:79] op_sel:[0,0,1] op_sel_hi:[1,1,0] neg_lo:[0,0,1] neg_hi:[0,0,1]
	v_pk_fma_f32 v[78:79], v[48:49], v[36:37], v[78:79] op_sel:[0,0,1] op_sel_hi:[1,0,0]
	v_pk_fma_f32 v[96:97], v[48:49], v[38:39], v[80:81] op_sel:[0,0,1] op_sel_hi:[1,1,0] neg_lo:[0,0,1] neg_hi:[0,0,1]
	v_pk_mul_f32 v[42:43], v[50:51], v[46:47] op_sel:[0,1]
	v_pk_fma_f32 v[80:81], v[48:49], v[38:39], v[80:81] op_sel:[0,0,1] op_sel_hi:[1,0,0]
	v_pk_fma_f32 v[98:99], v[50:51], v[44:45], v[40:41] op_sel:[0,0,1] op_sel_hi:[1,1,0] neg_lo:[0,0,1] neg_hi:[0,0,1]
	s_wait_dscnt 0x4
	v_pk_mul_f32 v[48:49], v[52:53], v[56:57] op_sel:[0,1]
	v_pk_fma_f32 v[100:101], v[50:51], v[44:45], v[40:41] op_sel:[0,0,1] op_sel_hi:[1,0,0]
	ds_load_2addr_b64 v[36:39], v34 offset0:160 offset1:176
	s_wait_dscnt 0x4
	v_pk_mul_f32 v[40:41], v[54:55], v[60:61] op_sel:[0,1]
	v_pk_mul_f32 v[44:45], v[52:53], v[58:59] op_sel:[0,1]
	v_dual_mov_b32 v83, v31 :: v_dual_mov_b32 v85, v87
	v_pk_fma_f32 v[102:103], v[50:51], v[46:47], v[42:43] op_sel:[0,0,1] op_sel_hi:[1,1,0] neg_lo:[0,0,1] neg_hi:[0,0,1]
	v_pk_fma_f32 v[104:105], v[50:51], v[46:47], v[42:43] op_sel:[0,0,1] op_sel_hi:[1,0,0]
	v_pk_fma_f32 v[106:107], v[52:53], v[56:57], v[48:49] op_sel:[0,0,1] op_sel_hi:[1,1,0] neg_lo:[0,0,1] neg_hi:[0,0,1]
	v_pk_fma_f32 v[48:49], v[52:53], v[56:57], v[48:49] op_sel:[0,0,1] op_sel_hi:[1,0,0]
	v_pk_fma_f32 v[108:109], v[54:55], v[60:61], v[40:41] op_sel:[0,0,1] op_sel_hi:[1,1,0] neg_lo:[0,0,1] neg_hi:[0,0,1]
	v_pk_fma_f32 v[110:111], v[54:55], v[60:61], v[40:41] op_sel:[0,0,1] op_sel_hi:[1,0,0]
	ds_load_b128 v[40:43], v35 offset:48
	v_pk_add_f32 v[20:21], v[20:21], v[82:83]
	v_pk_fma_f32 v[82:83], v[52:53], v[58:59], v[44:45] op_sel:[0,0,1] op_sel_hi:[1,1,0] neg_lo:[0,0,1] neg_hi:[0,0,1]
	v_pk_fma_f32 v[52:53], v[52:53], v[58:59], v[44:45] op_sel:[0,0,1] op_sel_hi:[1,0,0]
	ds_load_2addr_b64 v[44:47], v34 offset0:192 offset1:208
	v_pk_mul_f32 v[30:31], v[54:55], v[62:63] op_sel:[0,1]
	s_wait_dscnt 0x3
	v_pk_mul_f32 v[112:113], v[72:73], v[64:65] op_sel:[0,1]
	v_dual_mov_b32 v89, v91 :: v_dual_mov_b32 v107, v49
	v_pk_add_f32 v[20:21], v[20:21], v[84:85]
	ds_load_2addr_b64 v[48:51], v34 offset0:224 offset1:240
	v_pk_fma_f32 v[86:87], v[54:55], v[62:63], v[30:31] op_sel:[0,0,1] op_sel_hi:[1,1,0] neg_lo:[0,0,1] neg_hi:[0,0,1]
	v_pk_fma_f32 v[30:31], v[54:55], v[62:63], v[30:31] op_sel:[0,0,1] op_sel_hi:[1,0,0]
	s_wait_dscnt 0x3
	v_pk_mul_f32 v[54:55], v[74:75], v[36:37] op_sel:[0,1]
	v_pk_add_f32 v[24:25], v[24:25], v[88:89]
	v_pk_fma_f32 v[88:89], v[72:73], v[64:65], v[112:113] op_sel:[0,0,1] op_sel_hi:[1,0,0]
	v_dual_mov_b32 v93, v77 :: v_dual_mov_b32 v109, v111
	v_pk_add_f32 v[20:21], v[20:21], v[106:107]
	v_pk_mul_f32 v[90:91], v[72:73], v[66:67] op_sel:[0,1]
	v_pk_mul_f32 v[106:107], v[74:75], v[38:39] op_sel:[0,1]
	v_pk_fma_f32 v[84:85], v[72:73], v[64:65], v[112:113] op_sel:[0,0,1] op_sel_hi:[1,1,0] neg_lo:[0,0,1] neg_hi:[0,0,1]
	v_pk_fma_f32 v[76:77], v[74:75], v[36:37], v[54:55] op_sel:[0,0,1] op_sel_hi:[1,1,0] neg_lo:[0,0,1] neg_hi:[0,0,1]
	v_pk_fma_f32 v[54:55], v[74:75], v[36:37], v[54:55] op_sel:[0,0,1] op_sel_hi:[1,0,0]
	v_pk_add_f32 v[24:25], v[24:25], v[92:93]
	v_pk_fma_f32 v[92:93], v[72:73], v[66:67], v[90:91] op_sel:[0,0,1] op_sel_hi:[1,1,0] neg_lo:[0,0,1] neg_hi:[0,0,1]
	v_pk_fma_f32 v[72:73], v[72:73], v[66:67], v[90:91] op_sel:[0,0,1] op_sel_hi:[1,0,0]
	v_dual_mov_b32 v83, v53 :: v_dual_mov_b32 v85, v89
	v_pk_fma_f32 v[90:91], v[74:75], v[38:39], v[106:107] op_sel:[0,0,1] op_sel_hi:[1,1,0] neg_lo:[0,0,1] neg_hi:[0,0,1]
	v_pk_fma_f32 v[52:53], v[74:75], v[38:39], v[106:107] op_sel:[0,0,1] op_sel_hi:[1,0,0]
	s_wait_dscnt 0x1
	v_pk_mul_f32 v[74:75], v[40:41], v[44:45] op_sel:[0,1]
	v_pk_add_f32 v[20:21], v[20:21], v[108:109]
	v_dual_mov_b32 v87, v31 :: v_dual_mov_b32 v77, v55
	v_pk_mul_f32 v[54:55], v[40:41], v[46:47] op_sel:[0,1]
	s_delay_alu instid0(VALU_DEP_4)
	v_pk_fma_f32 v[30:31], v[40:41], v[44:45], v[74:75] op_sel:[0,0,1] op_sel_hi:[1,1,0] neg_lo:[0,0,1] neg_hi:[0,0,1]
	v_pk_fma_f32 v[74:75], v[40:41], v[44:45], v[74:75] op_sel:[0,0,1] op_sel_hi:[1,0,0]
	v_pk_add_f32 v[20:21], v[20:21], v[84:85]
	v_pk_add_f32 v[24:25], v[24:25], v[82:83]
	s_wait_dscnt 0x0
	v_pk_mul_f32 v[82:83], v[42:43], v[48:49] op_sel:[0,1]
	v_dual_mov_b32 v93, v73 :: v_dual_mov_b32 v31, v75
	v_pk_add_f32 v[20:21], v[20:21], v[76:77]
	v_pk_fma_f32 v[72:73], v[40:41], v[46:47], v[54:55] op_sel:[0,0,1] op_sel_hi:[1,1,0] neg_lo:[0,0,1] neg_hi:[0,0,1]
	v_pk_fma_f32 v[40:41], v[40:41], v[46:47], v[54:55] op_sel:[0,0,1] op_sel_hi:[1,0,0]
	v_dual_mov_b32 v91, v53 :: v_dual_mov_b32 v95, v79
	ds_load_b128 v[52:55], v35 offset:1056
	v_pk_fma_f32 v[84:85], v[42:43], v[48:49], v[82:83] op_sel:[0,0,1] op_sel_hi:[1,1,0] neg_lo:[0,0,1] neg_hi:[0,0,1]
	v_pk_fma_f32 v[82:83], v[42:43], v[48:49], v[82:83] op_sel:[0,0,1] op_sel_hi:[1,0,0]
	v_pk_add_f32 v[20:21], v[20:21], v[30:31]
	v_pk_mul_f32 v[30:31], v[68:69], v[56:57] op_sel:[0,1]
	v_pk_add_f32 v[24:25], v[24:25], v[86:87]
	v_pk_add_f32 v[18:19], v[18:19], v[94:95]
	v_dual_mov_b32 v85, v83 :: v_dual_mov_b32 v99, v101
	s_delay_alu instid0(VALU_DEP_4)
	v_pk_fma_f32 v[76:77], v[68:69], v[56:57], v[30:31] op_sel:[0,0,1] op_sel_hi:[1,0,0]
	v_pk_mul_f32 v[86:87], v[42:43], v[50:51] op_sel:[0,1]
	v_pk_add_f32 v[24:25], v[24:25], v[92:93]
	v_mov_b32_e32 v73, v41
	v_pk_mul_f32 v[40:41], v[70:71], v[60:61] op_sel:[0,1]
	v_pk_fma_f32 v[30:31], v[68:69], v[56:57], v[30:31] op_sel:[0,0,1] op_sel_hi:[1,1,0] neg_lo:[0,0,1] neg_hi:[0,0,1]
	v_pk_add_f32 v[18:19], v[18:19], v[98:99]
	v_mov_b32_e32 v31, v77
	v_pk_fma_f32 v[74:75], v[42:43], v[50:51], v[86:87] op_sel:[0,0,1] op_sel_hi:[1,1,0] neg_lo:[0,0,1] neg_hi:[0,0,1]
	v_pk_add_f32 v[24:25], v[24:25], v[90:91]
	v_pk_fma_f32 v[56:57], v[42:43], v[50:51], v[86:87] op_sel:[0,0,1] op_sel_hi:[1,0,0]
	v_pk_fma_f32 v[42:43], v[70:71], v[60:61], v[40:41] op_sel:[0,0,1] op_sel_hi:[1,0,0]
	v_pk_add_f32 v[18:19], v[18:19], v[30:31]
	v_pk_fma_f32 v[30:31], v[70:71], v[60:61], v[40:41] op_sel:[0,0,1] op_sel_hi:[1,1,0] neg_lo:[0,0,1] neg_hi:[0,0,1]
	v_pk_add_f32 v[24:25], v[24:25], v[72:73]
	v_pk_mul_f32 v[60:61], v[68:69], v[58:59] op_sel:[0,1]
	v_dual_mov_b32 v31, v43 :: v_dual_mov_b32 v97, v81
	ds_load_b128 v[40:43], v35 offset:1072
	s_wait_dscnt 0x1
	v_pk_mul_f32 v[72:73], v[52:53], v[64:65] op_sel:[0,1]
	v_dual_mov_b32 v75, v57 :: v_dual_mov_b32 v103, v105
	v_pk_add_f32 v[18:19], v[18:19], v[30:31]
	v_pk_fma_f32 v[30:31], v[68:69], v[58:59], v[60:61] op_sel:[0,0,1] op_sel_hi:[1,1,0] neg_lo:[0,0,1] neg_hi:[0,0,1]
	s_delay_alu instid0(VALU_DEP_4)
	v_pk_fma_f32 v[56:57], v[52:53], v[64:65], v[72:73] op_sel:[0,0,1] op_sel_hi:[1,0,0]
	v_pk_add_f32 v[14:15], v[14:15], v[96:97]
	v_pk_mul_f32 v[76:77], v[54:55], v[36:37] op_sel:[0,1]
	v_pk_fma_f32 v[58:59], v[68:69], v[58:59], v[60:61] op_sel:[0,0,1] op_sel_hi:[1,0,0]
	v_pk_fma_f32 v[60:61], v[52:53], v[64:65], v[72:73] op_sel:[0,0,1] op_sel_hi:[1,1,0] neg_lo:[0,0,1] neg_hi:[0,0,1]
	v_mov_b32_e32 v61, v57
	v_pk_add_f32 v[14:15], v[14:15], v[102:103]
	v_pk_fma_f32 v[56:57], v[54:55], v[36:37], v[76:77] op_sel:[0,0,1] op_sel_hi:[1,0,0]
	v_pk_mul_f32 v[64:65], v[70:71], v[62:63] op_sel:[0,1]
	v_mov_b32_e32 v31, v59
	v_pk_fma_f32 v[36:37], v[54:55], v[36:37], v[76:77] op_sel:[0,0,1] op_sel_hi:[1,1,0] neg_lo:[0,0,1] neg_hi:[0,0,1]
	v_pk_add_f32 v[18:19], v[18:19], v[60:61]
	v_mov_b32_e32 v37, v57
	v_pk_fma_f32 v[56:57], v[70:71], v[62:63], v[64:65] op_sel:[0,0,1] op_sel_hi:[1,0,0]
	v_pk_add_f32 v[14:15], v[14:15], v[30:31]
	v_pk_mul_f32 v[30:31], v[52:53], v[66:67] op_sel:[0,1]
	v_pk_fma_f32 v[60:61], v[70:71], v[62:63], v[64:65] op_sel:[0,0,1] op_sel_hi:[1,1,0] neg_lo:[0,0,1] neg_hi:[0,0,1]
	s_wait_dscnt 0x0
	v_pk_mul_f32 v[58:59], v[40:41], v[44:45] op_sel:[0,1]
	v_mov_b32_e32 v61, v57
	v_pk_add_f32 v[18:19], v[18:19], v[36:37]
	v_pk_fma_f32 v[36:37], v[52:53], v[66:67], v[30:31] op_sel:[0,0,1] op_sel_hi:[1,0,0]
	v_pk_mul_f32 v[62:63], v[54:55], v[38:39] op_sel:[0,1]
	v_pk_fma_f32 v[30:31], v[52:53], v[66:67], v[30:31] op_sel:[0,0,1] op_sel_hi:[1,1,0] neg_lo:[0,0,1] neg_hi:[0,0,1]
	v_pk_add_f32 v[14:15], v[14:15], v[60:61]
	v_pk_fma_f32 v[56:57], v[40:41], v[44:45], v[58:59] op_sel:[0,0,1] op_sel_hi:[1,1,0] neg_lo:[0,0,1] neg_hi:[0,0,1]
	v_mov_b32_e32 v31, v37
	v_pk_fma_f32 v[36:37], v[40:41], v[44:45], v[58:59] op_sel:[0,0,1] op_sel_hi:[1,0,0]
	v_pk_fma_f32 v[44:45], v[54:55], v[38:39], v[62:63] op_sel:[0,0,1] op_sel_hi:[1,0,0]
	v_pk_mul_f32 v[52:53], v[42:43], v[48:49] op_sel:[0,1]
	v_pk_mul_f32 v[58:59], v[40:41], v[46:47] op_sel:[0,1]
	v_pk_add_f32 v[20:21], v[20:21], v[84:85]
	v_mov_b32_e32 v57, v37
	v_pk_add_f32 v[14:15], v[14:15], v[30:31]
	v_pk_fma_f32 v[30:31], v[54:55], v[38:39], v[62:63] op_sel:[0,0,1] op_sel_hi:[1,1,0] neg_lo:[0,0,1] neg_hi:[0,0,1]
	v_pk_fma_f32 v[38:39], v[42:43], v[48:49], v[52:53] op_sel:[0,0,1] op_sel_hi:[1,0,0]
	v_mov_b32_e32 v31, v45
	v_pk_fma_f32 v[36:37], v[40:41], v[46:47], v[58:59] op_sel:[0,0,1] op_sel_hi:[1,0,0]
	v_pk_mul_f32 v[44:45], v[42:43], v[50:51] op_sel:[0,1]
	v_pk_add_f32 v[18:19], v[18:19], v[56:57]
	v_pk_add_f32 v[24:25], v[24:25], v[74:75]
	v_pk_add_f32 v[14:15], v[14:15], v[30:31]
	v_pk_fma_f32 v[30:31], v[40:41], v[46:47], v[58:59] op_sel:[0,0,1] op_sel_hi:[1,1,0] neg_lo:[0,0,1] neg_hi:[0,0,1]
	v_mov_b32_e32 v31, v37
	v_pk_fma_f32 v[36:37], v[42:43], v[50:51], v[44:45] op_sel:[0,0,1] op_sel_hi:[1,0,0]
	v_pk_fma_f32 v[40:41], v[42:43], v[48:49], v[52:53] op_sel:[0,0,1] op_sel_hi:[1,1,0] neg_lo:[0,0,1] neg_hi:[0,0,1]
	v_mov_b32_e32 v41, v39
	s_delay_alu instid0(VALU_DEP_4) | instskip(SKIP_2) | instid1(VALU_DEP_4)
	v_pk_add_f32 v[14:15], v[14:15], v[30:31]
	v_pk_fma_f32 v[30:31], v[42:43], v[50:51], v[44:45] op_sel:[0,0,1] op_sel_hi:[1,1,0] neg_lo:[0,0,1] neg_hi:[0,0,1]
	v_mov_b32_e32 v31, v37
	v_pk_add_f32 v[18:19], v[18:19], v[40:41]
	s_barrier_signal -1
	s_barrier_wait -1
	s_delay_alu instid0(VALU_DEP_2)
	v_pk_add_f32 v[14:15], v[14:15], v[30:31]
	s_cbranch_vccz .LBB247_13
.LBB247_7:                              ;   Parent Loop BB247_4 Depth=1
                                        ; =>  This Inner Loop Header: Depth=2
	v_add_nc_u64_e32 v[30:31], s[36:37], v[2:3]
	s_delay_alu instid0(VALU_DEP_1) | instskip(SKIP_1) | instid1(SALU_CYCLE_1)
	v_cmp_le_i64_e32 vcc_lo, s[8:9], v[30:31]
	s_or_b32 s39, s38, vcc_lo
	s_and_saveexec_b32 s43, s39
	s_delay_alu instid0(SALU_CYCLE_1)
	s_xor_b32 s39, exec_lo, s43
; %bb.8:                                ;   in Loop: Header=BB247_7 Depth=2
	ds_store_b32 v32, v3
; %bb.9:                                ;   in Loop: Header=BB247_7 Depth=2
	s_or_saveexec_b32 s39, s39
	v_dual_mov_b32 v30, 0 :: v_dual_mov_b32 v36, 0
	s_xor_b32 exec_lo, exec_lo, s39
	s_cbranch_execz .LBB247_11
; %bb.10:                               ;   in Loop: Header=BB247_7 Depth=2
	flat_load_b64 v[38:39], v[28:29] offset:-4
	s_wait_loadcnt_dscnt 0x0
	v_xor_b32_e32 v36, 0x80000000, v39
	ds_store_b32 v32, v38
.LBB247_11:                             ;   in Loop: Header=BB247_7 Depth=2
	s_wait_xcnt 0x0
	s_or_b32 exec_lo, exec_lo, s39
	v_add_nc_u64_e32 v[38:39], s[36:37], v[0:1]
	v_mov_b32_e32 v31, 0
	ds_store_b32 v32, v36 offset:4
	v_cmp_gt_i64_e32 vcc_lo, s[8:9], v[38:39]
	s_and_b32 s43, vcc_lo, s0
	s_delay_alu instid0(SALU_CYCLE_1)
	s_and_saveexec_b32 s39, s43
	s_cbranch_execz .LBB247_6
; %bb.12:                               ;   in Loop: Header=BB247_7 Depth=2
	flat_load_b64 v[30:31], v[26:27]
	s_branch .LBB247_6
.LBB247_13:                             ;   in Loop: Header=BB247_4 Depth=1
	s_wait_loadcnt 0x0
	v_add_nc_u64_e32 v[22:23], s[30:31], v[22:23]
	s_and_not1_b32 vcc_lo, exec_lo, s42
	s_mov_b32 s36, -1
	s_cbranch_vccz .LBB247_15
; %bb.14:                               ;   in Loop: Header=BB247_4 Depth=1
	s_and_not1_b32 vcc_lo, exec_lo, s36
	s_cbranch_vccnz .LBB247_3
	s_branch .LBB247_26
.LBB247_15:                             ;   in Loop: Header=BB247_4 Depth=1
	s_and_saveexec_b32 s36, s1
	s_cbranch_execz .LBB247_25
; %bb.16:                               ;   in Loop: Header=BB247_4 Depth=1
	s_delay_alu instid0(VALU_DEP_1) | instskip(NEXT) | instid1(VALU_DEP_1)
	v_lshl_add_u64 v[26:27], v[6:7], 3, v[22:23]
	v_lshl_add_u64 v[28:29], v[4:5], 3, v[26:27]
	s_and_saveexec_b32 s37, s2
	s_cbranch_execnz .LBB247_19
; %bb.17:                               ;   in Loop: Header=BB247_4 Depth=1
	s_or_b32 exec_lo, exec_lo, s37
	s_and_saveexec_b32 s37, s3
	s_cbranch_execnz .LBB247_20
.LBB247_18:                             ;   in Loop: Header=BB247_4 Depth=1
	s_or_b32 exec_lo, exec_lo, s37
	s_delay_alu instid0(SALU_CYCLE_1)
	s_and_b32 exec_lo, exec_lo, s4
	s_cbranch_execnz .LBB247_21
	s_branch .LBB247_25
.LBB247_19:                             ;   in Loop: Header=BB247_4 Depth=1
	v_mov_b64_e32 v[30:31], s[14:15]
	v_mov_b64_e32 v[36:37], s[10:11]
	s_delay_alu instid0(VALU_DEP_2) | instskip(NEXT) | instid1(VALU_DEP_1)
	v_pk_mul_f32 v[30:31], v[20:21], v[30:31] op_sel:[1,0] op_sel_hi:[0,1]
	v_pk_fma_f32 v[38:39], v[20:21], v[36:37], v[30:31]
	v_pk_fma_f32 v[30:31], v[20:21], v[36:37], v[30:31] neg_lo:[0,0,1] neg_hi:[0,0,1]
	s_delay_alu instid0(VALU_DEP_2)
	v_mov_b32_e32 v31, v39
	flat_store_b64 v[28:29], v[30:31]
	s_wait_xcnt 0x0
	s_or_b32 exec_lo, exec_lo, s37
	s_and_saveexec_b32 s37, s3
	s_cbranch_execz .LBB247_18
.LBB247_20:                             ;   in Loop: Header=BB247_4 Depth=1
	v_mov_b64_e32 v[30:31], s[14:15]
	v_mov_b64_e32 v[36:37], s[10:11]
	s_delay_alu instid0(VALU_DEP_2) | instskip(NEXT) | instid1(VALU_DEP_1)
	v_pk_mul_f32 v[30:31], v[24:25], v[30:31] op_sel:[1,0] op_sel_hi:[0,1]
	v_pk_fma_f32 v[38:39], v[24:25], v[36:37], v[30:31]
	v_pk_fma_f32 v[30:31], v[24:25], v[36:37], v[30:31] neg_lo:[0,0,1] neg_hi:[0,0,1]
	s_delay_alu instid0(VALU_DEP_2) | instskip(SKIP_3) | instid1(SALU_CYCLE_1)
	v_mov_b32_e32 v31, v39
	flat_store_b64 v[28:29], v[30:31] offset:128
	s_wait_xcnt 0x0
	s_or_b32 exec_lo, exec_lo, s37
	s_and_b32 exec_lo, exec_lo, s4
	s_cbranch_execz .LBB247_25
.LBB247_21:                             ;   in Loop: Header=BB247_4 Depth=1
	v_lshl_add_u64 v[26:27], s[6:7], 3, v[26:27]
	s_delay_alu instid0(VALU_DEP_1)
	v_lshl_add_u64 v[26:27], v[4:5], 3, v[26:27]
	s_and_saveexec_b32 s37, s2
	s_cbranch_execz .LBB247_23
; %bb.22:                               ;   in Loop: Header=BB247_4 Depth=1
	v_mov_b64_e32 v[28:29], s[14:15]
	v_mov_b64_e32 v[30:31], s[10:11]
	s_delay_alu instid0(VALU_DEP_2) | instskip(NEXT) | instid1(VALU_DEP_1)
	v_pk_mul_f32 v[28:29], v[18:19], v[28:29] op_sel:[1,0] op_sel_hi:[0,1]
	v_pk_fma_f32 v[36:37], v[18:19], v[30:31], v[28:29]
	v_pk_fma_f32 v[28:29], v[18:19], v[30:31], v[28:29] neg_lo:[0,0,1] neg_hi:[0,0,1]
	s_delay_alu instid0(VALU_DEP_2)
	v_mov_b32_e32 v29, v37
	flat_store_b64 v[26:27], v[28:29]
.LBB247_23:                             ;   in Loop: Header=BB247_4 Depth=1
	s_wait_xcnt 0x0
	s_or_b32 exec_lo, exec_lo, s37
	s_delay_alu instid0(SALU_CYCLE_1)
	s_and_b32 exec_lo, exec_lo, s3
	s_cbranch_execz .LBB247_25
; %bb.24:                               ;   in Loop: Header=BB247_4 Depth=1
	v_mov_b64_e32 v[28:29], s[14:15]
	v_mov_b64_e32 v[30:31], s[10:11]
	s_delay_alu instid0(VALU_DEP_2) | instskip(NEXT) | instid1(VALU_DEP_1)
	v_pk_mul_f32 v[28:29], v[14:15], v[28:29] op_sel:[1,0] op_sel_hi:[0,1]
	v_pk_fma_f32 v[36:37], v[14:15], v[30:31], v[28:29]
	v_pk_fma_f32 v[28:29], v[14:15], v[30:31], v[28:29] neg_lo:[0,0,1] neg_hi:[0,0,1]
	s_delay_alu instid0(VALU_DEP_2)
	v_mov_b32_e32 v29, v37
	flat_store_b64 v[26:27], v[28:29] offset:128
.LBB247_25:                             ;   in Loop: Header=BB247_4 Depth=1
	s_wait_xcnt 0x0
	s_or_b32 exec_lo, exec_lo, s36
	s_cbranch_execnz .LBB247_3
.LBB247_26:                             ;   in Loop: Header=BB247_4 Depth=1
	s_and_saveexec_b32 s36, s1
	s_cbranch_execz .LBB247_2
; %bb.27:                               ;   in Loop: Header=BB247_4 Depth=1
	v_add_nc_u64_e32 v[26:27], s[24:25], v[16:17]
	v_lshlrev_b64_e32 v[16:17], 3, v[4:5]
	v_lshl_add_u64 v[22:23], v[6:7], 3, v[22:23]
	s_delay_alu instid0(VALU_DEP_3) | instskip(NEXT) | instid1(VALU_DEP_2)
	v_lshl_add_u64 v[26:27], v[8:9], 3, v[26:27]
	v_add_nc_u64_e32 v[28:29], v[22:23], v[16:17]
	s_delay_alu instid0(VALU_DEP_2)
	v_add_nc_u64_e32 v[30:31], v[26:27], v[16:17]
	s_and_saveexec_b32 s37, s2
	s_cbranch_execnz .LBB247_30
; %bb.28:                               ;   in Loop: Header=BB247_4 Depth=1
	s_or_b32 exec_lo, exec_lo, s37
	s_and_saveexec_b32 s37, s3
	s_cbranch_execnz .LBB247_31
.LBB247_29:                             ;   in Loop: Header=BB247_4 Depth=1
	s_or_b32 exec_lo, exec_lo, s37
	s_delay_alu instid0(SALU_CYCLE_1)
	s_and_b32 exec_lo, exec_lo, s4
	s_cbranch_execz .LBB247_2
	s_branch .LBB247_32
.LBB247_30:                             ;   in Loop: Header=BB247_4 Depth=1
	flat_load_b64 v[36:37], v[30:31]
	v_mov_b64_e32 v[38:39], s[14:15]
	v_mov_b64_e32 v[40:41], s[16:17]
	v_mov_b64_e32 v[42:43], s[10:11]
	v_mov_b64_e32 v[44:45], s[40:41]
	s_delay_alu instid0(VALU_DEP_4) | instskip(NEXT) | instid1(VALU_DEP_1)
	v_pk_mul_f32 v[38:39], v[20:21], v[38:39] op_sel:[1,0] op_sel_hi:[0,1]
	v_pk_fma_f32 v[46:47], v[20:21], v[42:43], v[38:39]
	v_pk_fma_f32 v[20:21], v[20:21], v[42:43], v[38:39] neg_lo:[0,0,1] neg_hi:[0,0,1]
	s_wait_loadcnt_dscnt 0x0
	v_pk_mul_f32 v[40:41], v[36:37], v[40:41] op_sel:[1,0] op_sel_hi:[0,1]
	s_delay_alu instid0(VALU_DEP_1) | instskip(SKIP_1) | instid1(VALU_DEP_2)
	v_pk_fma_f32 v[48:49], v[36:37], v[44:45], v[40:41]
	v_pk_fma_f32 v[36:37], v[36:37], v[44:45], v[40:41] neg_lo:[0,0,1] neg_hi:[0,0,1]
	v_dual_mov_b32 v21, v47 :: v_dual_mov_b32 v37, v49
	s_delay_alu instid0(VALU_DEP_1)
	v_pk_add_f32 v[20:21], v[20:21], v[36:37]
	flat_store_b64 v[28:29], v[20:21]
	s_wait_xcnt 0x0
	s_or_b32 exec_lo, exec_lo, s37
	s_and_saveexec_b32 s37, s3
	s_cbranch_execz .LBB247_29
.LBB247_31:                             ;   in Loop: Header=BB247_4 Depth=1
	flat_load_b64 v[20:21], v[30:31] offset:128
	s_wait_xcnt 0x0
	v_mov_b64_e32 v[30:31], s[14:15]
	v_mov_b64_e32 v[36:37], s[16:17]
	;; [unrolled: 1-line block ×4, first 2 shown]
	s_delay_alu instid0(VALU_DEP_4) | instskip(NEXT) | instid1(VALU_DEP_1)
	v_pk_mul_f32 v[30:31], v[24:25], v[30:31] op_sel:[1,0] op_sel_hi:[0,1]
	v_pk_fma_f32 v[42:43], v[24:25], v[38:39], v[30:31]
	v_pk_fma_f32 v[24:25], v[24:25], v[38:39], v[30:31] neg_lo:[0,0,1] neg_hi:[0,0,1]
	s_wait_loadcnt_dscnt 0x0
	v_pk_mul_f32 v[36:37], v[20:21], v[36:37] op_sel:[1,0] op_sel_hi:[0,1]
	s_delay_alu instid0(VALU_DEP_1) | instskip(SKIP_1) | instid1(VALU_DEP_2)
	v_pk_fma_f32 v[44:45], v[20:21], v[40:41], v[36:37]
	v_pk_fma_f32 v[20:21], v[20:21], v[40:41], v[36:37] neg_lo:[0,0,1] neg_hi:[0,0,1]
	v_dual_mov_b32 v25, v43 :: v_dual_mov_b32 v21, v45
	s_delay_alu instid0(VALU_DEP_1) | instskip(SKIP_3) | instid1(SALU_CYCLE_1)
	v_pk_add_f32 v[20:21], v[24:25], v[20:21]
	flat_store_b64 v[28:29], v[20:21] offset:128
	s_wait_xcnt 0x0
	s_or_b32 exec_lo, exec_lo, s37
	s_and_b32 exec_lo, exec_lo, s4
	s_cbranch_execz .LBB247_2
.LBB247_32:                             ;   in Loop: Header=BB247_4 Depth=1
	v_lshl_add_u64 v[20:21], s[22:23], 3, v[26:27]
	v_lshl_add_u64 v[22:23], s[6:7], 3, v[22:23]
	s_delay_alu instid0(VALU_DEP_2) | instskip(NEXT) | instid1(VALU_DEP_2)
	v_add_nc_u64_e32 v[20:21], v[20:21], v[16:17]
	v_add_nc_u64_e32 v[16:17], v[22:23], v[16:17]
	s_and_saveexec_b32 s37, s2
	s_cbranch_execz .LBB247_34
; %bb.33:                               ;   in Loop: Header=BB247_4 Depth=1
	flat_load_b64 v[22:23], v[20:21]
	v_mov_b64_e32 v[24:25], s[14:15]
	v_mov_b64_e32 v[26:27], s[16:17]
	;; [unrolled: 1-line block ×4, first 2 shown]
	s_delay_alu instid0(VALU_DEP_4) | instskip(NEXT) | instid1(VALU_DEP_1)
	v_pk_mul_f32 v[24:25], v[18:19], v[24:25] op_sel:[1,0] op_sel_hi:[0,1]
	v_pk_fma_f32 v[36:37], v[18:19], v[28:29], v[24:25]
	v_pk_fma_f32 v[18:19], v[18:19], v[28:29], v[24:25] neg_lo:[0,0,1] neg_hi:[0,0,1]
	s_wait_loadcnt_dscnt 0x0
	v_pk_mul_f32 v[26:27], v[22:23], v[26:27] op_sel:[1,0] op_sel_hi:[0,1]
	s_delay_alu instid0(VALU_DEP_1) | instskip(SKIP_1) | instid1(VALU_DEP_2)
	v_pk_fma_f32 v[38:39], v[22:23], v[30:31], v[26:27]
	v_pk_fma_f32 v[22:23], v[22:23], v[30:31], v[26:27] neg_lo:[0,0,1] neg_hi:[0,0,1]
	v_dual_mov_b32 v19, v37 :: v_dual_mov_b32 v23, v39
	s_delay_alu instid0(VALU_DEP_1)
	v_pk_add_f32 v[18:19], v[18:19], v[22:23]
	flat_store_b64 v[16:17], v[18:19]
.LBB247_34:                             ;   in Loop: Header=BB247_4 Depth=1
	s_wait_xcnt 0x0
	s_or_b32 exec_lo, exec_lo, s37
	s_delay_alu instid0(SALU_CYCLE_1)
	s_and_b32 exec_lo, exec_lo, s3
	s_cbranch_execz .LBB247_2
; %bb.35:                               ;   in Loop: Header=BB247_4 Depth=1
	flat_load_b64 v[18:19], v[20:21] offset:128
	s_wait_xcnt 0x0
	v_mov_b64_e32 v[20:21], s[14:15]
	v_mov_b64_e32 v[22:23], s[16:17]
	;; [unrolled: 1-line block ×4, first 2 shown]
	s_delay_alu instid0(VALU_DEP_4) | instskip(NEXT) | instid1(VALU_DEP_1)
	v_pk_mul_f32 v[20:21], v[14:15], v[20:21] op_sel:[1,0] op_sel_hi:[0,1]
	v_pk_fma_f32 v[28:29], v[14:15], v[24:25], v[20:21]
	v_pk_fma_f32 v[14:15], v[14:15], v[24:25], v[20:21] neg_lo:[0,0,1] neg_hi:[0,0,1]
	s_wait_loadcnt_dscnt 0x0
	v_pk_mul_f32 v[22:23], v[18:19], v[22:23] op_sel:[1,0] op_sel_hi:[0,1]
	s_delay_alu instid0(VALU_DEP_1) | instskip(SKIP_1) | instid1(VALU_DEP_2)
	v_pk_fma_f32 v[30:31], v[18:19], v[26:27], v[22:23]
	v_pk_fma_f32 v[18:19], v[18:19], v[26:27], v[22:23] neg_lo:[0,0,1] neg_hi:[0,0,1]
	v_dual_mov_b32 v15, v29 :: v_dual_mov_b32 v19, v31
	s_delay_alu instid0(VALU_DEP_1)
	v_pk_add_f32 v[14:15], v[14:15], v[18:19]
	flat_store_b64 v[16:17], v[14:15] offset:128
	s_branch .LBB247_2
.LBB247_36:
	s_sendmsg sendmsg(MSG_DEALLOC_VGPRS)
	s_endpgm
	.section	.rodata,"a",@progbits
	.p2align	6, 0x0
	.amdhsa_kernel _ZN12_GLOBAL__N_135rocblas_gemm_batched_general_kernelI19rocblas_complex_numIfELi16ELi16ELi32ELi32ELi8ELi32ELi8ELi8ELi32ELc67ELc84EKPKS2_S5_KPS2_EEvlllT_PT11_llSA_llS8_PT12_llPT13_lli
		.amdhsa_group_segment_fixed_size 4096
		.amdhsa_private_segment_fixed_size 0
		.amdhsa_kernarg_size 140
		.amdhsa_user_sgpr_count 2
		.amdhsa_user_sgpr_dispatch_ptr 0
		.amdhsa_user_sgpr_queue_ptr 0
		.amdhsa_user_sgpr_kernarg_segment_ptr 1
		.amdhsa_user_sgpr_dispatch_id 0
		.amdhsa_user_sgpr_kernarg_preload_length 0
		.amdhsa_user_sgpr_kernarg_preload_offset 0
		.amdhsa_user_sgpr_private_segment_size 0
		.amdhsa_wavefront_size32 1
		.amdhsa_uses_dynamic_stack 0
		.amdhsa_enable_private_segment 0
		.amdhsa_system_sgpr_workgroup_id_x 1
		.amdhsa_system_sgpr_workgroup_id_y 1
		.amdhsa_system_sgpr_workgroup_id_z 1
		.amdhsa_system_sgpr_workgroup_info 0
		.amdhsa_system_vgpr_workitem_id 1
		.amdhsa_next_free_vgpr 114
		.amdhsa_next_free_sgpr 46
		.amdhsa_named_barrier_count 0
		.amdhsa_reserve_vcc 1
		.amdhsa_float_round_mode_32 0
		.amdhsa_float_round_mode_16_64 0
		.amdhsa_float_denorm_mode_32 3
		.amdhsa_float_denorm_mode_16_64 3
		.amdhsa_fp16_overflow 0
		.amdhsa_memory_ordered 1
		.amdhsa_forward_progress 1
		.amdhsa_inst_pref_size 28
		.amdhsa_round_robin_scheduling 0
		.amdhsa_exception_fp_ieee_invalid_op 0
		.amdhsa_exception_fp_denorm_src 0
		.amdhsa_exception_fp_ieee_div_zero 0
		.amdhsa_exception_fp_ieee_overflow 0
		.amdhsa_exception_fp_ieee_underflow 0
		.amdhsa_exception_fp_ieee_inexact 0
		.amdhsa_exception_int_div_zero 0
	.end_amdhsa_kernel
	.section	.text._ZN12_GLOBAL__N_135rocblas_gemm_batched_general_kernelI19rocblas_complex_numIfELi16ELi16ELi32ELi32ELi8ELi32ELi8ELi8ELi32ELc67ELc84EKPKS2_S5_KPS2_EEvlllT_PT11_llSA_llS8_PT12_llPT13_lli,"axG",@progbits,_ZN12_GLOBAL__N_135rocblas_gemm_batched_general_kernelI19rocblas_complex_numIfELi16ELi16ELi32ELi32ELi8ELi32ELi8ELi8ELi32ELc67ELc84EKPKS2_S5_KPS2_EEvlllT_PT11_llSA_llS8_PT12_llPT13_lli,comdat
.Lfunc_end247:
	.size	_ZN12_GLOBAL__N_135rocblas_gemm_batched_general_kernelI19rocblas_complex_numIfELi16ELi16ELi32ELi32ELi8ELi32ELi8ELi8ELi32ELc67ELc84EKPKS2_S5_KPS2_EEvlllT_PT11_llSA_llS8_PT12_llPT13_lli, .Lfunc_end247-_ZN12_GLOBAL__N_135rocblas_gemm_batched_general_kernelI19rocblas_complex_numIfELi16ELi16ELi32ELi32ELi8ELi32ELi8ELi8ELi32ELc67ELc84EKPKS2_S5_KPS2_EEvlllT_PT11_llSA_llS8_PT12_llPT13_lli
                                        ; -- End function
	.set _ZN12_GLOBAL__N_135rocblas_gemm_batched_general_kernelI19rocblas_complex_numIfELi16ELi16ELi32ELi32ELi8ELi32ELi8ELi8ELi32ELc67ELc84EKPKS2_S5_KPS2_EEvlllT_PT11_llSA_llS8_PT12_llPT13_lli.num_vgpr, 114
	.set _ZN12_GLOBAL__N_135rocblas_gemm_batched_general_kernelI19rocblas_complex_numIfELi16ELi16ELi32ELi32ELi8ELi32ELi8ELi8ELi32ELc67ELc84EKPKS2_S5_KPS2_EEvlllT_PT11_llSA_llS8_PT12_llPT13_lli.num_agpr, 0
	.set _ZN12_GLOBAL__N_135rocblas_gemm_batched_general_kernelI19rocblas_complex_numIfELi16ELi16ELi32ELi32ELi8ELi32ELi8ELi8ELi32ELc67ELc84EKPKS2_S5_KPS2_EEvlllT_PT11_llSA_llS8_PT12_llPT13_lli.numbered_sgpr, 46
	.set _ZN12_GLOBAL__N_135rocblas_gemm_batched_general_kernelI19rocblas_complex_numIfELi16ELi16ELi32ELi32ELi8ELi32ELi8ELi8ELi32ELc67ELc84EKPKS2_S5_KPS2_EEvlllT_PT11_llSA_llS8_PT12_llPT13_lli.num_named_barrier, 0
	.set _ZN12_GLOBAL__N_135rocblas_gemm_batched_general_kernelI19rocblas_complex_numIfELi16ELi16ELi32ELi32ELi8ELi32ELi8ELi8ELi32ELc67ELc84EKPKS2_S5_KPS2_EEvlllT_PT11_llSA_llS8_PT12_llPT13_lli.private_seg_size, 0
	.set _ZN12_GLOBAL__N_135rocblas_gemm_batched_general_kernelI19rocblas_complex_numIfELi16ELi16ELi32ELi32ELi8ELi32ELi8ELi8ELi32ELc67ELc84EKPKS2_S5_KPS2_EEvlllT_PT11_llSA_llS8_PT12_llPT13_lli.uses_vcc, 1
	.set _ZN12_GLOBAL__N_135rocblas_gemm_batched_general_kernelI19rocblas_complex_numIfELi16ELi16ELi32ELi32ELi8ELi32ELi8ELi8ELi32ELc67ELc84EKPKS2_S5_KPS2_EEvlllT_PT11_llSA_llS8_PT12_llPT13_lli.uses_flat_scratch, 0
	.set _ZN12_GLOBAL__N_135rocblas_gemm_batched_general_kernelI19rocblas_complex_numIfELi16ELi16ELi32ELi32ELi8ELi32ELi8ELi8ELi32ELc67ELc84EKPKS2_S5_KPS2_EEvlllT_PT11_llSA_llS8_PT12_llPT13_lli.has_dyn_sized_stack, 0
	.set _ZN12_GLOBAL__N_135rocblas_gemm_batched_general_kernelI19rocblas_complex_numIfELi16ELi16ELi32ELi32ELi8ELi32ELi8ELi8ELi32ELc67ELc84EKPKS2_S5_KPS2_EEvlllT_PT11_llSA_llS8_PT12_llPT13_lli.has_recursion, 0
	.set _ZN12_GLOBAL__N_135rocblas_gemm_batched_general_kernelI19rocblas_complex_numIfELi16ELi16ELi32ELi32ELi8ELi32ELi8ELi8ELi32ELc67ELc84EKPKS2_S5_KPS2_EEvlllT_PT11_llSA_llS8_PT12_llPT13_lli.has_indirect_call, 0
	.section	.AMDGPU.csdata,"",@progbits
; Kernel info:
; codeLenInByte = 3504
; TotalNumSgprs: 48
; NumVgprs: 114
; ScratchSize: 0
; MemoryBound: 0
; FloatMode: 240
; IeeeMode: 1
; LDSByteSize: 4096 bytes/workgroup (compile time only)
; SGPRBlocks: 0
; VGPRBlocks: 7
; NumSGPRsForWavesPerEU: 48
; NumVGPRsForWavesPerEU: 114
; NamedBarCnt: 0
; Occupancy: 8
; WaveLimiterHint : 1
; COMPUTE_PGM_RSRC2:SCRATCH_EN: 0
; COMPUTE_PGM_RSRC2:USER_SGPR: 2
; COMPUTE_PGM_RSRC2:TRAP_HANDLER: 0
; COMPUTE_PGM_RSRC2:TGID_X_EN: 1
; COMPUTE_PGM_RSRC2:TGID_Y_EN: 1
; COMPUTE_PGM_RSRC2:TGID_Z_EN: 1
; COMPUTE_PGM_RSRC2:TIDIG_COMP_CNT: 1
	.section	.text._ZN12_GLOBAL__N_135rocblas_gemm_batched_general_kernelI19rocblas_complex_numIfELi16ELi16ELi32ELi32ELi8ELi32ELi8ELi8ELi32ELc78ELc67EKPKS2_S5_KPS2_EEvlllT_PT11_llSA_llS8_PT12_llPT13_lli,"axG",@progbits,_ZN12_GLOBAL__N_135rocblas_gemm_batched_general_kernelI19rocblas_complex_numIfELi16ELi16ELi32ELi32ELi8ELi32ELi8ELi8ELi32ELc78ELc67EKPKS2_S5_KPS2_EEvlllT_PT11_llSA_llS8_PT12_llPT13_lli,comdat
	.globl	_ZN12_GLOBAL__N_135rocblas_gemm_batched_general_kernelI19rocblas_complex_numIfELi16ELi16ELi32ELi32ELi8ELi32ELi8ELi8ELi32ELc78ELc67EKPKS2_S5_KPS2_EEvlllT_PT11_llSA_llS8_PT12_llPT13_lli ; -- Begin function _ZN12_GLOBAL__N_135rocblas_gemm_batched_general_kernelI19rocblas_complex_numIfELi16ELi16ELi32ELi32ELi8ELi32ELi8ELi8ELi32ELc78ELc67EKPKS2_S5_KPS2_EEvlllT_PT11_llSA_llS8_PT12_llPT13_lli
	.p2align	8
	.type	_ZN12_GLOBAL__N_135rocblas_gemm_batched_general_kernelI19rocblas_complex_numIfELi16ELi16ELi32ELi32ELi8ELi32ELi8ELi8ELi32ELc78ELc67EKPKS2_S5_KPS2_EEvlllT_PT11_llSA_llS8_PT12_llPT13_lli,@function
_ZN12_GLOBAL__N_135rocblas_gemm_batched_general_kernelI19rocblas_complex_numIfELi16ELi16ELi32ELi32ELi8ELi32ELi8ELi8ELi32ELc78ELc67EKPKS2_S5_KPS2_EEvlllT_PT11_llSA_llS8_PT12_llPT13_lli: ; @_ZN12_GLOBAL__N_135rocblas_gemm_batched_general_kernelI19rocblas_complex_numIfELi16ELi16ELi32ELi32ELi8ELi32ELi8ELi8ELi32ELc78ELc67EKPKS2_S5_KPS2_EEvlllT_PT11_llSA_llS8_PT12_llPT13_lli
; %bb.0:
	s_load_b32 s33, s[0:1], 0x88
	s_bfe_u32 s2, ttmp6, 0x40014
	s_lshr_b32 s3, ttmp7, 16
	s_add_co_i32 s2, s2, 1
	s_bfe_u32 s5, ttmp6, 0x40008
	s_mul_i32 s4, s3, s2
	s_getreg_b32 s2, hwreg(HW_REG_IB_STS2, 6, 4)
	s_add_co_i32 s5, s5, s4
	s_cmp_eq_u32 s2, 0
	s_mov_b32 s35, 0
	s_cselect_b32 s34, s3, s5
	s_wait_kmcnt 0x0
	s_cmp_ge_i32 s34, s33
	s_cbranch_scc1 .LBB248_36
; %bb.1:
	v_bfe_u32 v6, v0, 10, 10
	v_and_b32_e32 v8, 0x3ff, v0
	s_clause 0x5
	s_load_b256 s[4:11], s[0:1], 0x0
	s_load_b256 s[12:19], s[0:1], 0x20
	s_load_b128 s[28:31], s[0:1], 0x78
	s_load_b256 s[20:27], s[0:1], 0x58
	s_load_b128 s[36:39], s[0:1], 0x40
	s_load_b64 s[40:41], s[0:1], 0x50
	s_wait_xcnt 0x0
	s_bfe_u32 s0, ttmp6, 0x4000c
	s_bfe_u32 s3, ttmp6, 0x40010
	s_add_co_i32 s0, s0, 1
	s_and_b32 s42, ttmp7, 0xffff
	s_add_co_i32 s3, s3, 1
	s_and_b32 s1, ttmp6, 15
	s_mul_i32 s0, ttmp9, s0
	s_mul_i32 s3, s42, s3
	s_bfe_u32 s43, ttmp6, 0x40004
	v_lshl_add_u32 v15, v6, 4, v8
	s_add_co_i32 s1, s1, s0
	s_add_co_i32 s43, s43, s3
	s_cmp_eq_u32 s2, 0
	s_delay_alu instid0(VALU_DEP_1) | instskip(SKIP_3) | instid1(VALU_DEP_1)
	v_dual_mov_b32 v3, 0 :: v_dual_bitop2_b32 v7, 31, v15 bitop3:0x40
	s_cselect_b32 s44, ttmp9, s1
	s_cselect_b32 s47, s42, s43
	s_ashr_i32 s45, s44, 31
	v_dual_mov_b32 v5, v3 :: v_dual_lshrrev_b32 v4, 3, v15
	s_lshl_b64 s[2:3], s[44:45], 5
	v_dual_lshrrev_b32 v2, 5, v15 :: v_dual_bitop2_b32 v0, 7, v0 bitop3:0x40
	v_dual_mov_b32 v1, v3 :: v_dual_bitop2_b32 v10, s2, v7 bitop3:0x54
	s_lshl_b32 s42, s47, 5
	s_mov_b32 s43, s35
	v_mov_b32_e32 v11, s3
	v_add_nc_u64_e32 v[12:13], s[42:43], v[4:5]
	s_wait_kmcnt 0x0
	v_mul_u64_e32 v[16:17], s[36:37], v[0:1]
	v_dual_mov_b32 v9, v3 :: v_dual_lshlrev_b32 v14, 3, v7
	v_dual_mov_b32 v7, v3 :: v_dual_lshlrev_b32 v34, 3, v8
	v_lshlrev_b32_e32 v5, 3, v0
	v_cmp_gt_i64_e32 vcc_lo, s[6:7], v[12:13]
	v_mul_u64_e32 v[12:13], s[14:15], v[2:3]
	v_cmp_gt_i64_e64 s0, s[4:5], v[10:11]
	v_add_nc_u64_e32 v[10:11], s[42:43], v[6:7]
	v_lshl_or_b32 v18, v4, 6, v5
	v_add_nc_u64_e32 v[4:5], s[2:3], v[8:9]
	v_lshl_add_u32 v35, v6, 6, 0x800
	s_or_b32 s1, s40, s41
	v_lshl_or_b32 v32, v2, 8, v14
	v_add_nc_u32_e32 v33, 0x800, v18
	v_mul_u64_e32 v[6:7], s[28:29], v[10:11]
	v_mul_u64_e32 v[8:9], s[22:23], v[10:11]
	v_add_nc_u64_e32 v[18:19], 16, v[4:5]
	s_bitset0_b32 s1, 31
	v_cmp_gt_i64_e64 s2, s[4:5], v[4:5]
	s_cmp_eq_u32 s1, 0
	v_cmp_gt_i64_e64 s1, s[6:7], v[10:11]
	s_cselect_b32 s46, -1, 0
	s_lshl_b64 s[38:39], s[38:39], 3
	v_cmp_gt_i64_e64 s3, s[4:5], v[18:19]
	s_lshl_b32 s4, s47, 8
	s_mov_b32 s5, s35
	v_add_nc_u64_e32 v[18:19], 16, v[10:11]
	s_add_nc_u64 s[38:39], s[38:39], s[4:5]
	s_lshl_b64 s[16:17], s[16:17], 3
	v_cmp_gt_i64_e64 s5, s[8:9], 0
	v_lshl_add_u64 v[10:11], v[16:17], 3, s[38:39]
	v_and_b32_e32 v16, 0x1ff8, v15
	v_dual_mov_b32 v17, v3 :: v_dual_mov_b32 v15, v3
	s_lshl_b64 s[38:39], s[44:45], 8
	v_cmp_gt_i64_e64 s4, s[6:7], v[18:19]
	s_add_nc_u64 s[16:17], s[16:17], s[38:39]
	v_add_nc_u64_e32 v[10:11], v[10:11], v[16:17]
	v_lshl_add_u64 v[12:13], v[12:13], 3, s[16:17]
	s_mov_b32 s42, s11
	s_mov_b32 s43, s11
	;; [unrolled: 1-line block ×3, first 2 shown]
	s_lshl_b64 s[6:7], s[28:29], 4
	v_add_nc_u64_e32 v[12:13], v[12:13], v[14:15]
	v_or_b32_e32 v10, 4, v10
	s_mov_b32 s28, s41
	s_mov_b32 s29, s41
	;; [unrolled: 1-line block ×3, first 2 shown]
	s_lshl_b64 s[16:17], s[22:23], 4
	s_lshl_b64 s[22:23], s[36:37], 6
	;; [unrolled: 1-line block ×3, first 2 shown]
	s_xor_b32 s38, vcc_lo, -1
	s_lshl_b64 s[30:31], s[30:31], 3
	s_lshl_b64 s[24:25], s[24:25], 3
	s_branch .LBB248_4
.LBB248_2:                              ;   in Loop: Header=BB248_4 Depth=1
	s_wait_xcnt 0x0
	s_or_b32 exec_lo, exec_lo, s36
.LBB248_3:                              ;   in Loop: Header=BB248_4 Depth=1
	s_add_co_i32 s34, s34, 0x10000
	s_delay_alu instid0(SALU_CYCLE_1)
	s_cmp_lt_i32 s34, s33
	s_cbranch_scc0 .LBB248_36
.LBB248_4:                              ; =>This Loop Header: Depth=1
                                        ;     Child Loop BB248_7 Depth 2
	v_dual_mov_b32 v14, s34 :: v_dual_mov_b32 v21, 0
	v_dual_mov_b32 v20, 0 :: v_dual_mov_b32 v25, 0
	v_dual_mov_b32 v24, 0 :: v_dual_mov_b32 v19, 0
	s_clause 0x1
	global_load_b64 v[16:17], v14, s[20:21] scale_offset
	global_load_b64 v[22:23], v14, s[26:27] scale_offset
	v_dual_mov_b32 v18, 0 :: v_dual_mov_b32 v15, 0
	s_wait_xcnt 0x0
	v_mov_b32_e32 v14, 0
	s_and_not1_b32 vcc_lo, exec_lo, s5
	s_cbranch_vccnz .LBB248_13
; %bb.5:                                ;   in Loop: Header=BB248_4 Depth=1
	s_lshl_b64 s[36:37], s[34:35], 3
	v_mov_b32_e32 v14, 0
	s_add_nc_u64 s[44:45], s[18:19], s[36:37]
	s_add_nc_u64 s[36:37], s[12:13], s[36:37]
	s_clause 0x1
	global_load_b64 v[20:21], v3, s[44:45]
	global_load_b64 v[28:29], v3, s[36:37]
	s_wait_xcnt 0x0
	s_mov_b64 s[36:37], 0
	v_dual_mov_b32 v15, v14 :: v_dual_mov_b32 v18, v14
	v_dual_mov_b32 v19, v14 :: v_dual_mov_b32 v24, v14
	v_mov_b32_e32 v25, v14
	s_wait_loadcnt 0x1
	v_add_nc_u64_e32 v[26:27], v[20:21], v[10:11]
	s_wait_loadcnt 0x0
	v_add_nc_u64_e32 v[28:29], v[28:29], v[12:13]
	v_dual_mov_b32 v20, v14 :: v_dual_mov_b32 v21, v14
	s_branch .LBB248_7
.LBB248_6:                              ;   in Loop: Header=BB248_7 Depth=2
	s_wait_xcnt 0x0
	s_or_b32 exec_lo, exec_lo, s39
	ds_store_b32 v33, v30 offset:4
	s_wait_dscnt 0x0
	s_barrier_signal -1
	s_barrier_wait -1
	ds_load_2addr_b64 v[36:39], v34 offset1:16
	ds_load_b128 v[40:43], v35
	ds_load_2addr_b64 v[44:47], v34 offset0:32 offset1:48
	ds_load_b128 v[48:51], v35 offset:1024
	ds_load_b128 v[52:55], v35 offset:16
	ds_load_2addr_b64 v[56:59], v34 offset0:64 offset1:80
	ds_load_2addr_b64 v[60:63], v34 offset0:96 offset1:112
	;; [unrolled: 1-line block ×3, first 2 shown]
	ds_load_b128 v[68:71], v35 offset:1040
	s_add_nc_u64 s[36:37], s[36:37], 8
	v_add_nc_u64_e32 v[26:27], s[22:23], v[26:27]
	v_cmp_lt_i64_e64 s39, s[36:37], s[8:9]
	v_add_nc_u64_e32 v[28:29], s[14:15], v[28:29]
	s_and_b32 vcc_lo, exec_lo, s39
	s_wait_dscnt 0x7
	v_pk_mul_f32 v[30:31], v[40:41], v[36:37] op_sel:[0,1]
	s_wait_dscnt 0x6
	v_pk_mul_f32 v[72:73], v[42:43], v[44:45] op_sel:[0,1]
	v_pk_mul_f32 v[74:75], v[40:41], v[38:39] op_sel:[0,1]
	;; [unrolled: 1-line block ×3, first 2 shown]
	s_wait_dscnt 0x5
	v_pk_mul_f32 v[78:79], v[48:49], v[36:37] op_sel:[0,1]
	v_pk_mul_f32 v[80:81], v[48:49], v[38:39] op_sel:[0,1]
	v_pk_fma_f32 v[82:83], v[40:41], v[36:37], v[30:31] op_sel:[0,0,1] op_sel_hi:[1,1,0] neg_lo:[0,0,1] neg_hi:[0,0,1]
	v_pk_fma_f32 v[30:31], v[40:41], v[36:37], v[30:31] op_sel:[0,0,1] op_sel_hi:[1,0,0]
	v_pk_fma_f32 v[84:85], v[42:43], v[44:45], v[72:73] op_sel:[0,0,1] op_sel_hi:[1,1,0] neg_lo:[0,0,1] neg_hi:[0,0,1]
	v_pk_fma_f32 v[86:87], v[42:43], v[44:45], v[72:73] op_sel:[0,0,1] op_sel_hi:[1,0,0]
	;; [unrolled: 2-line block ×3, first 2 shown]
	ds_load_b128 v[72:75], v35 offset:32
	v_pk_mul_f32 v[40:41], v[50:51], v[44:45] op_sel:[0,1]
	v_pk_fma_f32 v[92:93], v[42:43], v[46:47], v[76:77] op_sel:[0,0,1] op_sel_hi:[1,1,0] neg_lo:[0,0,1] neg_hi:[0,0,1]
	v_pk_fma_f32 v[76:77], v[42:43], v[46:47], v[76:77] op_sel:[0,0,1] op_sel_hi:[1,0,0]
	v_pk_fma_f32 v[94:95], v[48:49], v[36:37], v[78:79] op_sel:[0,0,1] op_sel_hi:[1,1,0] neg_lo:[0,0,1] neg_hi:[0,0,1]
	v_pk_fma_f32 v[78:79], v[48:49], v[36:37], v[78:79] op_sel:[0,0,1] op_sel_hi:[1,0,0]
	v_pk_fma_f32 v[96:97], v[48:49], v[38:39], v[80:81] op_sel:[0,0,1] op_sel_hi:[1,1,0] neg_lo:[0,0,1] neg_hi:[0,0,1]
	v_pk_mul_f32 v[42:43], v[50:51], v[46:47] op_sel:[0,1]
	v_pk_fma_f32 v[80:81], v[48:49], v[38:39], v[80:81] op_sel:[0,0,1] op_sel_hi:[1,0,0]
	v_pk_fma_f32 v[98:99], v[50:51], v[44:45], v[40:41] op_sel:[0,0,1] op_sel_hi:[1,1,0] neg_lo:[0,0,1] neg_hi:[0,0,1]
	s_wait_dscnt 0x4
	v_pk_mul_f32 v[48:49], v[52:53], v[56:57] op_sel:[0,1]
	v_pk_fma_f32 v[100:101], v[50:51], v[44:45], v[40:41] op_sel:[0,0,1] op_sel_hi:[1,0,0]
	ds_load_2addr_b64 v[36:39], v34 offset0:160 offset1:176
	s_wait_dscnt 0x4
	v_pk_mul_f32 v[40:41], v[54:55], v[60:61] op_sel:[0,1]
	v_pk_mul_f32 v[44:45], v[52:53], v[58:59] op_sel:[0,1]
	v_dual_mov_b32 v83, v31 :: v_dual_mov_b32 v85, v87
	v_pk_fma_f32 v[102:103], v[50:51], v[46:47], v[42:43] op_sel:[0,0,1] op_sel_hi:[1,1,0] neg_lo:[0,0,1] neg_hi:[0,0,1]
	v_pk_fma_f32 v[104:105], v[50:51], v[46:47], v[42:43] op_sel:[0,0,1] op_sel_hi:[1,0,0]
	v_pk_fma_f32 v[106:107], v[52:53], v[56:57], v[48:49] op_sel:[0,0,1] op_sel_hi:[1,1,0] neg_lo:[0,0,1] neg_hi:[0,0,1]
	v_pk_fma_f32 v[48:49], v[52:53], v[56:57], v[48:49] op_sel:[0,0,1] op_sel_hi:[1,0,0]
	;; [unrolled: 2-line block ×3, first 2 shown]
	ds_load_b128 v[40:43], v35 offset:48
	v_pk_add_f32 v[20:21], v[20:21], v[82:83]
	v_pk_fma_f32 v[82:83], v[52:53], v[58:59], v[44:45] op_sel:[0,0,1] op_sel_hi:[1,1,0] neg_lo:[0,0,1] neg_hi:[0,0,1]
	v_pk_fma_f32 v[52:53], v[52:53], v[58:59], v[44:45] op_sel:[0,0,1] op_sel_hi:[1,0,0]
	ds_load_2addr_b64 v[44:47], v34 offset0:192 offset1:208
	v_pk_mul_f32 v[30:31], v[54:55], v[62:63] op_sel:[0,1]
	s_wait_dscnt 0x3
	v_pk_mul_f32 v[112:113], v[72:73], v[64:65] op_sel:[0,1]
	v_dual_mov_b32 v89, v91 :: v_dual_mov_b32 v107, v49
	v_pk_add_f32 v[20:21], v[20:21], v[84:85]
	ds_load_2addr_b64 v[48:51], v34 offset0:224 offset1:240
	v_pk_fma_f32 v[86:87], v[54:55], v[62:63], v[30:31] op_sel:[0,0,1] op_sel_hi:[1,1,0] neg_lo:[0,0,1] neg_hi:[0,0,1]
	v_pk_fma_f32 v[30:31], v[54:55], v[62:63], v[30:31] op_sel:[0,0,1] op_sel_hi:[1,0,0]
	s_wait_dscnt 0x3
	v_pk_mul_f32 v[54:55], v[74:75], v[36:37] op_sel:[0,1]
	v_pk_add_f32 v[24:25], v[24:25], v[88:89]
	v_pk_fma_f32 v[88:89], v[72:73], v[64:65], v[112:113] op_sel:[0,0,1] op_sel_hi:[1,0,0]
	v_dual_mov_b32 v93, v77 :: v_dual_mov_b32 v109, v111
	v_pk_add_f32 v[20:21], v[20:21], v[106:107]
	v_pk_mul_f32 v[90:91], v[72:73], v[66:67] op_sel:[0,1]
	v_pk_mul_f32 v[106:107], v[74:75], v[38:39] op_sel:[0,1]
	v_pk_fma_f32 v[84:85], v[72:73], v[64:65], v[112:113] op_sel:[0,0,1] op_sel_hi:[1,1,0] neg_lo:[0,0,1] neg_hi:[0,0,1]
	v_pk_fma_f32 v[76:77], v[74:75], v[36:37], v[54:55] op_sel:[0,0,1] op_sel_hi:[1,1,0] neg_lo:[0,0,1] neg_hi:[0,0,1]
	v_pk_fma_f32 v[54:55], v[74:75], v[36:37], v[54:55] op_sel:[0,0,1] op_sel_hi:[1,0,0]
	v_pk_add_f32 v[24:25], v[24:25], v[92:93]
	v_pk_fma_f32 v[92:93], v[72:73], v[66:67], v[90:91] op_sel:[0,0,1] op_sel_hi:[1,1,0] neg_lo:[0,0,1] neg_hi:[0,0,1]
	v_pk_fma_f32 v[72:73], v[72:73], v[66:67], v[90:91] op_sel:[0,0,1] op_sel_hi:[1,0,0]
	v_dual_mov_b32 v83, v53 :: v_dual_mov_b32 v85, v89
	v_pk_fma_f32 v[90:91], v[74:75], v[38:39], v[106:107] op_sel:[0,0,1] op_sel_hi:[1,1,0] neg_lo:[0,0,1] neg_hi:[0,0,1]
	v_pk_fma_f32 v[52:53], v[74:75], v[38:39], v[106:107] op_sel:[0,0,1] op_sel_hi:[1,0,0]
	s_wait_dscnt 0x1
	v_pk_mul_f32 v[74:75], v[40:41], v[44:45] op_sel:[0,1]
	v_pk_add_f32 v[20:21], v[20:21], v[108:109]
	v_dual_mov_b32 v87, v31 :: v_dual_mov_b32 v77, v55
	v_pk_mul_f32 v[54:55], v[40:41], v[46:47] op_sel:[0,1]
	s_delay_alu instid0(VALU_DEP_4)
	v_pk_fma_f32 v[30:31], v[40:41], v[44:45], v[74:75] op_sel:[0,0,1] op_sel_hi:[1,1,0] neg_lo:[0,0,1] neg_hi:[0,0,1]
	v_pk_fma_f32 v[74:75], v[40:41], v[44:45], v[74:75] op_sel:[0,0,1] op_sel_hi:[1,0,0]
	v_pk_add_f32 v[20:21], v[20:21], v[84:85]
	v_pk_add_f32 v[24:25], v[24:25], v[82:83]
	s_wait_dscnt 0x0
	v_pk_mul_f32 v[82:83], v[42:43], v[48:49] op_sel:[0,1]
	v_dual_mov_b32 v93, v73 :: v_dual_mov_b32 v31, v75
	v_pk_add_f32 v[20:21], v[20:21], v[76:77]
	v_pk_fma_f32 v[72:73], v[40:41], v[46:47], v[54:55] op_sel:[0,0,1] op_sel_hi:[1,1,0] neg_lo:[0,0,1] neg_hi:[0,0,1]
	v_pk_fma_f32 v[40:41], v[40:41], v[46:47], v[54:55] op_sel:[0,0,1] op_sel_hi:[1,0,0]
	v_dual_mov_b32 v91, v53 :: v_dual_mov_b32 v95, v79
	ds_load_b128 v[52:55], v35 offset:1056
	v_pk_fma_f32 v[84:85], v[42:43], v[48:49], v[82:83] op_sel:[0,0,1] op_sel_hi:[1,1,0] neg_lo:[0,0,1] neg_hi:[0,0,1]
	v_pk_fma_f32 v[82:83], v[42:43], v[48:49], v[82:83] op_sel:[0,0,1] op_sel_hi:[1,0,0]
	v_pk_add_f32 v[20:21], v[20:21], v[30:31]
	v_pk_mul_f32 v[30:31], v[68:69], v[56:57] op_sel:[0,1]
	v_pk_add_f32 v[24:25], v[24:25], v[86:87]
	v_pk_add_f32 v[18:19], v[18:19], v[94:95]
	v_dual_mov_b32 v85, v83 :: v_dual_mov_b32 v99, v101
	s_delay_alu instid0(VALU_DEP_4)
	v_pk_fma_f32 v[76:77], v[68:69], v[56:57], v[30:31] op_sel:[0,0,1] op_sel_hi:[1,0,0]
	v_pk_mul_f32 v[86:87], v[42:43], v[50:51] op_sel:[0,1]
	v_pk_add_f32 v[24:25], v[24:25], v[92:93]
	v_mov_b32_e32 v73, v41
	v_pk_mul_f32 v[40:41], v[70:71], v[60:61] op_sel:[0,1]
	v_pk_fma_f32 v[30:31], v[68:69], v[56:57], v[30:31] op_sel:[0,0,1] op_sel_hi:[1,1,0] neg_lo:[0,0,1] neg_hi:[0,0,1]
	v_pk_add_f32 v[18:19], v[18:19], v[98:99]
	v_mov_b32_e32 v31, v77
	v_pk_fma_f32 v[74:75], v[42:43], v[50:51], v[86:87] op_sel:[0,0,1] op_sel_hi:[1,1,0] neg_lo:[0,0,1] neg_hi:[0,0,1]
	v_pk_add_f32 v[24:25], v[24:25], v[90:91]
	v_pk_fma_f32 v[56:57], v[42:43], v[50:51], v[86:87] op_sel:[0,0,1] op_sel_hi:[1,0,0]
	v_pk_fma_f32 v[42:43], v[70:71], v[60:61], v[40:41] op_sel:[0,0,1] op_sel_hi:[1,0,0]
	v_pk_add_f32 v[18:19], v[18:19], v[30:31]
	v_pk_fma_f32 v[30:31], v[70:71], v[60:61], v[40:41] op_sel:[0,0,1] op_sel_hi:[1,1,0] neg_lo:[0,0,1] neg_hi:[0,0,1]
	v_pk_add_f32 v[24:25], v[24:25], v[72:73]
	v_pk_mul_f32 v[60:61], v[68:69], v[58:59] op_sel:[0,1]
	v_dual_mov_b32 v31, v43 :: v_dual_mov_b32 v97, v81
	ds_load_b128 v[40:43], v35 offset:1072
	s_wait_dscnt 0x1
	v_pk_mul_f32 v[72:73], v[52:53], v[64:65] op_sel:[0,1]
	v_dual_mov_b32 v75, v57 :: v_dual_mov_b32 v103, v105
	v_pk_add_f32 v[18:19], v[18:19], v[30:31]
	v_pk_fma_f32 v[30:31], v[68:69], v[58:59], v[60:61] op_sel:[0,0,1] op_sel_hi:[1,1,0] neg_lo:[0,0,1] neg_hi:[0,0,1]
	s_delay_alu instid0(VALU_DEP_4)
	v_pk_fma_f32 v[56:57], v[52:53], v[64:65], v[72:73] op_sel:[0,0,1] op_sel_hi:[1,0,0]
	v_pk_add_f32 v[14:15], v[14:15], v[96:97]
	v_pk_mul_f32 v[76:77], v[54:55], v[36:37] op_sel:[0,1]
	v_pk_fma_f32 v[58:59], v[68:69], v[58:59], v[60:61] op_sel:[0,0,1] op_sel_hi:[1,0,0]
	v_pk_fma_f32 v[60:61], v[52:53], v[64:65], v[72:73] op_sel:[0,0,1] op_sel_hi:[1,1,0] neg_lo:[0,0,1] neg_hi:[0,0,1]
	v_mov_b32_e32 v61, v57
	v_pk_add_f32 v[14:15], v[14:15], v[102:103]
	v_pk_fma_f32 v[56:57], v[54:55], v[36:37], v[76:77] op_sel:[0,0,1] op_sel_hi:[1,0,0]
	v_pk_mul_f32 v[64:65], v[70:71], v[62:63] op_sel:[0,1]
	v_mov_b32_e32 v31, v59
	v_pk_fma_f32 v[36:37], v[54:55], v[36:37], v[76:77] op_sel:[0,0,1] op_sel_hi:[1,1,0] neg_lo:[0,0,1] neg_hi:[0,0,1]
	v_pk_add_f32 v[18:19], v[18:19], v[60:61]
	v_mov_b32_e32 v37, v57
	v_pk_fma_f32 v[56:57], v[70:71], v[62:63], v[64:65] op_sel:[0,0,1] op_sel_hi:[1,0,0]
	v_pk_add_f32 v[14:15], v[14:15], v[30:31]
	v_pk_mul_f32 v[30:31], v[52:53], v[66:67] op_sel:[0,1]
	v_pk_fma_f32 v[60:61], v[70:71], v[62:63], v[64:65] op_sel:[0,0,1] op_sel_hi:[1,1,0] neg_lo:[0,0,1] neg_hi:[0,0,1]
	s_wait_dscnt 0x0
	v_pk_mul_f32 v[58:59], v[40:41], v[44:45] op_sel:[0,1]
	v_mov_b32_e32 v61, v57
	v_pk_add_f32 v[18:19], v[18:19], v[36:37]
	v_pk_fma_f32 v[36:37], v[52:53], v[66:67], v[30:31] op_sel:[0,0,1] op_sel_hi:[1,0,0]
	v_pk_mul_f32 v[62:63], v[54:55], v[38:39] op_sel:[0,1]
	v_pk_fma_f32 v[30:31], v[52:53], v[66:67], v[30:31] op_sel:[0,0,1] op_sel_hi:[1,1,0] neg_lo:[0,0,1] neg_hi:[0,0,1]
	v_pk_add_f32 v[14:15], v[14:15], v[60:61]
	v_pk_fma_f32 v[56:57], v[40:41], v[44:45], v[58:59] op_sel:[0,0,1] op_sel_hi:[1,1,0] neg_lo:[0,0,1] neg_hi:[0,0,1]
	v_mov_b32_e32 v31, v37
	v_pk_fma_f32 v[36:37], v[40:41], v[44:45], v[58:59] op_sel:[0,0,1] op_sel_hi:[1,0,0]
	v_pk_fma_f32 v[44:45], v[54:55], v[38:39], v[62:63] op_sel:[0,0,1] op_sel_hi:[1,0,0]
	v_pk_mul_f32 v[52:53], v[42:43], v[48:49] op_sel:[0,1]
	v_pk_mul_f32 v[58:59], v[40:41], v[46:47] op_sel:[0,1]
	v_pk_add_f32 v[20:21], v[20:21], v[84:85]
	v_mov_b32_e32 v57, v37
	v_pk_add_f32 v[14:15], v[14:15], v[30:31]
	v_pk_fma_f32 v[30:31], v[54:55], v[38:39], v[62:63] op_sel:[0,0,1] op_sel_hi:[1,1,0] neg_lo:[0,0,1] neg_hi:[0,0,1]
	v_pk_fma_f32 v[38:39], v[42:43], v[48:49], v[52:53] op_sel:[0,0,1] op_sel_hi:[1,0,0]
	v_mov_b32_e32 v31, v45
	v_pk_fma_f32 v[36:37], v[40:41], v[46:47], v[58:59] op_sel:[0,0,1] op_sel_hi:[1,0,0]
	v_pk_mul_f32 v[44:45], v[42:43], v[50:51] op_sel:[0,1]
	v_pk_add_f32 v[18:19], v[18:19], v[56:57]
	v_pk_add_f32 v[24:25], v[24:25], v[74:75]
	;; [unrolled: 1-line block ×3, first 2 shown]
	v_pk_fma_f32 v[30:31], v[40:41], v[46:47], v[58:59] op_sel:[0,0,1] op_sel_hi:[1,1,0] neg_lo:[0,0,1] neg_hi:[0,0,1]
	v_mov_b32_e32 v31, v37
	v_pk_fma_f32 v[36:37], v[42:43], v[50:51], v[44:45] op_sel:[0,0,1] op_sel_hi:[1,0,0]
	v_pk_fma_f32 v[40:41], v[42:43], v[48:49], v[52:53] op_sel:[0,0,1] op_sel_hi:[1,1,0] neg_lo:[0,0,1] neg_hi:[0,0,1]
	v_mov_b32_e32 v41, v39
	s_delay_alu instid0(VALU_DEP_4) | instskip(SKIP_2) | instid1(VALU_DEP_4)
	v_pk_add_f32 v[14:15], v[14:15], v[30:31]
	v_pk_fma_f32 v[30:31], v[42:43], v[50:51], v[44:45] op_sel:[0,0,1] op_sel_hi:[1,1,0] neg_lo:[0,0,1] neg_hi:[0,0,1]
	v_mov_b32_e32 v31, v37
	v_pk_add_f32 v[18:19], v[18:19], v[40:41]
	s_barrier_signal -1
	s_barrier_wait -1
	s_delay_alu instid0(VALU_DEP_2)
	v_pk_add_f32 v[14:15], v[14:15], v[30:31]
	s_cbranch_vccz .LBB248_13
.LBB248_7:                              ;   Parent Loop BB248_4 Depth=1
                                        ; =>  This Inner Loop Header: Depth=2
	v_add_nc_u64_e32 v[30:31], s[36:37], v[2:3]
	s_delay_alu instid0(VALU_DEP_1) | instskip(SKIP_2) | instid1(SALU_CYCLE_1)
	v_cmp_gt_i64_e32 vcc_lo, s[8:9], v[30:31]
	v_dual_mov_b32 v30, 0 :: v_dual_mov_b32 v31, 0
	s_and_b32 s44, s0, vcc_lo
	s_and_saveexec_b32 s39, s44
	s_cbranch_execz .LBB248_9
; %bb.8:                                ;   in Loop: Header=BB248_7 Depth=2
	flat_load_b64 v[30:31], v[28:29]
.LBB248_9:                              ;   in Loop: Header=BB248_7 Depth=2
	s_wait_xcnt 0x0
	s_or_b32 exec_lo, exec_lo, s39
	v_add_nc_u64_e32 v[36:37], s[36:37], v[0:1]
	s_wait_loadcnt_dscnt 0x0
	ds_store_b64 v32, v[30:31]
	v_cmp_le_i64_e32 vcc_lo, s[8:9], v[36:37]
	s_or_b32 s39, vcc_lo, s38
	s_delay_alu instid0(SALU_CYCLE_1) | instskip(NEXT) | instid1(SALU_CYCLE_1)
	s_and_saveexec_b32 s44, s39
	s_xor_b32 s39, exec_lo, s44
; %bb.10:                               ;   in Loop: Header=BB248_7 Depth=2
	ds_store_b32 v33, v3
; %bb.11:                               ;   in Loop: Header=BB248_7 Depth=2
	s_or_saveexec_b32 s39, s39
	v_mov_b32_e32 v30, 0
	s_xor_b32 exec_lo, exec_lo, s39
	s_cbranch_execz .LBB248_6
; %bb.12:                               ;   in Loop: Header=BB248_7 Depth=2
	flat_load_b64 v[36:37], v[26:27] offset:-4
	s_wait_loadcnt_dscnt 0x0
	v_xor_b32_e32 v30, 0x80000000, v37
	ds_store_b32 v33, v36
	s_branch .LBB248_6
.LBB248_13:                             ;   in Loop: Header=BB248_4 Depth=1
	s_wait_loadcnt 0x0
	v_add_nc_u64_e32 v[22:23], s[30:31], v[22:23]
	s_and_not1_b32 vcc_lo, exec_lo, s46
	s_mov_b32 s36, -1
	s_cbranch_vccz .LBB248_15
; %bb.14:                               ;   in Loop: Header=BB248_4 Depth=1
	s_and_not1_b32 vcc_lo, exec_lo, s36
	s_cbranch_vccnz .LBB248_3
	s_branch .LBB248_26
.LBB248_15:                             ;   in Loop: Header=BB248_4 Depth=1
	s_and_saveexec_b32 s36, s1
	s_cbranch_execz .LBB248_25
; %bb.16:                               ;   in Loop: Header=BB248_4 Depth=1
	s_delay_alu instid0(VALU_DEP_1) | instskip(NEXT) | instid1(VALU_DEP_1)
	v_lshl_add_u64 v[26:27], v[6:7], 3, v[22:23]
	v_lshl_add_u64 v[28:29], v[4:5], 3, v[26:27]
	s_and_saveexec_b32 s37, s2
	s_cbranch_execnz .LBB248_19
; %bb.17:                               ;   in Loop: Header=BB248_4 Depth=1
	s_or_b32 exec_lo, exec_lo, s37
	s_and_saveexec_b32 s37, s3
	s_cbranch_execnz .LBB248_20
.LBB248_18:                             ;   in Loop: Header=BB248_4 Depth=1
	s_or_b32 exec_lo, exec_lo, s37
	s_delay_alu instid0(SALU_CYCLE_1)
	s_and_b32 exec_lo, exec_lo, s4
	s_cbranch_execnz .LBB248_21
	s_branch .LBB248_25
.LBB248_19:                             ;   in Loop: Header=BB248_4 Depth=1
	v_mov_b64_e32 v[30:31], s[42:43]
	v_mov_b64_e32 v[36:37], s[10:11]
	s_delay_alu instid0(VALU_DEP_2) | instskip(NEXT) | instid1(VALU_DEP_1)
	v_pk_mul_f32 v[30:31], v[20:21], v[30:31] op_sel:[1,0] op_sel_hi:[0,1]
	v_pk_fma_f32 v[38:39], v[20:21], v[36:37], v[30:31]
	v_pk_fma_f32 v[30:31], v[20:21], v[36:37], v[30:31] neg_lo:[0,0,1] neg_hi:[0,0,1]
	s_delay_alu instid0(VALU_DEP_2)
	v_mov_b32_e32 v31, v39
	flat_store_b64 v[28:29], v[30:31]
	s_wait_xcnt 0x0
	s_or_b32 exec_lo, exec_lo, s37
	s_and_saveexec_b32 s37, s3
	s_cbranch_execz .LBB248_18
.LBB248_20:                             ;   in Loop: Header=BB248_4 Depth=1
	v_mov_b64_e32 v[30:31], s[42:43]
	v_mov_b64_e32 v[36:37], s[10:11]
	s_delay_alu instid0(VALU_DEP_2) | instskip(NEXT) | instid1(VALU_DEP_1)
	v_pk_mul_f32 v[30:31], v[24:25], v[30:31] op_sel:[1,0] op_sel_hi:[0,1]
	v_pk_fma_f32 v[38:39], v[24:25], v[36:37], v[30:31]
	v_pk_fma_f32 v[30:31], v[24:25], v[36:37], v[30:31] neg_lo:[0,0,1] neg_hi:[0,0,1]
	s_delay_alu instid0(VALU_DEP_2) | instskip(SKIP_3) | instid1(SALU_CYCLE_1)
	v_mov_b32_e32 v31, v39
	flat_store_b64 v[28:29], v[30:31] offset:128
	s_wait_xcnt 0x0
	s_or_b32 exec_lo, exec_lo, s37
	s_and_b32 exec_lo, exec_lo, s4
	s_cbranch_execz .LBB248_25
.LBB248_21:                             ;   in Loop: Header=BB248_4 Depth=1
	v_lshl_add_u64 v[26:27], s[6:7], 3, v[26:27]
	s_delay_alu instid0(VALU_DEP_1)
	v_lshl_add_u64 v[26:27], v[4:5], 3, v[26:27]
	s_and_saveexec_b32 s37, s2
	s_cbranch_execz .LBB248_23
; %bb.22:                               ;   in Loop: Header=BB248_4 Depth=1
	v_mov_b64_e32 v[28:29], s[42:43]
	v_mov_b64_e32 v[30:31], s[10:11]
	s_delay_alu instid0(VALU_DEP_2) | instskip(NEXT) | instid1(VALU_DEP_1)
	v_pk_mul_f32 v[28:29], v[18:19], v[28:29] op_sel:[1,0] op_sel_hi:[0,1]
	v_pk_fma_f32 v[36:37], v[18:19], v[30:31], v[28:29]
	v_pk_fma_f32 v[28:29], v[18:19], v[30:31], v[28:29] neg_lo:[0,0,1] neg_hi:[0,0,1]
	s_delay_alu instid0(VALU_DEP_2)
	v_mov_b32_e32 v29, v37
	flat_store_b64 v[26:27], v[28:29]
.LBB248_23:                             ;   in Loop: Header=BB248_4 Depth=1
	s_wait_xcnt 0x0
	s_or_b32 exec_lo, exec_lo, s37
	s_delay_alu instid0(SALU_CYCLE_1)
	s_and_b32 exec_lo, exec_lo, s3
	s_cbranch_execz .LBB248_25
; %bb.24:                               ;   in Loop: Header=BB248_4 Depth=1
	v_mov_b64_e32 v[28:29], s[42:43]
	v_mov_b64_e32 v[30:31], s[10:11]
	s_delay_alu instid0(VALU_DEP_2) | instskip(NEXT) | instid1(VALU_DEP_1)
	v_pk_mul_f32 v[28:29], v[14:15], v[28:29] op_sel:[1,0] op_sel_hi:[0,1]
	v_pk_fma_f32 v[36:37], v[14:15], v[30:31], v[28:29]
	v_pk_fma_f32 v[28:29], v[14:15], v[30:31], v[28:29] neg_lo:[0,0,1] neg_hi:[0,0,1]
	s_delay_alu instid0(VALU_DEP_2)
	v_mov_b32_e32 v29, v37
	flat_store_b64 v[26:27], v[28:29] offset:128
.LBB248_25:                             ;   in Loop: Header=BB248_4 Depth=1
	s_wait_xcnt 0x0
	s_or_b32 exec_lo, exec_lo, s36
	s_cbranch_execnz .LBB248_3
.LBB248_26:                             ;   in Loop: Header=BB248_4 Depth=1
	s_and_saveexec_b32 s36, s1
	s_cbranch_execz .LBB248_2
; %bb.27:                               ;   in Loop: Header=BB248_4 Depth=1
	v_add_nc_u64_e32 v[26:27], s[24:25], v[16:17]
	v_lshlrev_b64_e32 v[16:17], 3, v[4:5]
	v_lshl_add_u64 v[22:23], v[6:7], 3, v[22:23]
	s_delay_alu instid0(VALU_DEP_3) | instskip(NEXT) | instid1(VALU_DEP_2)
	v_lshl_add_u64 v[26:27], v[8:9], 3, v[26:27]
	v_add_nc_u64_e32 v[28:29], v[22:23], v[16:17]
	s_delay_alu instid0(VALU_DEP_2)
	v_add_nc_u64_e32 v[30:31], v[26:27], v[16:17]
	s_and_saveexec_b32 s37, s2
	s_cbranch_execnz .LBB248_30
; %bb.28:                               ;   in Loop: Header=BB248_4 Depth=1
	s_or_b32 exec_lo, exec_lo, s37
	s_and_saveexec_b32 s37, s3
	s_cbranch_execnz .LBB248_31
.LBB248_29:                             ;   in Loop: Header=BB248_4 Depth=1
	s_or_b32 exec_lo, exec_lo, s37
	s_delay_alu instid0(SALU_CYCLE_1)
	s_and_b32 exec_lo, exec_lo, s4
	s_cbranch_execz .LBB248_2
	s_branch .LBB248_32
.LBB248_30:                             ;   in Loop: Header=BB248_4 Depth=1
	flat_load_b64 v[36:37], v[30:31]
	v_mov_b64_e32 v[38:39], s[42:43]
	v_mov_b64_e32 v[40:41], s[28:29]
	;; [unrolled: 1-line block ×4, first 2 shown]
	s_delay_alu instid0(VALU_DEP_4) | instskip(NEXT) | instid1(VALU_DEP_1)
	v_pk_mul_f32 v[38:39], v[20:21], v[38:39] op_sel:[1,0] op_sel_hi:[0,1]
	v_pk_fma_f32 v[46:47], v[20:21], v[42:43], v[38:39]
	v_pk_fma_f32 v[20:21], v[20:21], v[42:43], v[38:39] neg_lo:[0,0,1] neg_hi:[0,0,1]
	s_wait_loadcnt_dscnt 0x0
	v_pk_mul_f32 v[40:41], v[36:37], v[40:41] op_sel:[1,0] op_sel_hi:[0,1]
	s_delay_alu instid0(VALU_DEP_1) | instskip(SKIP_1) | instid1(VALU_DEP_2)
	v_pk_fma_f32 v[48:49], v[36:37], v[44:45], v[40:41]
	v_pk_fma_f32 v[36:37], v[36:37], v[44:45], v[40:41] neg_lo:[0,0,1] neg_hi:[0,0,1]
	v_dual_mov_b32 v21, v47 :: v_dual_mov_b32 v37, v49
	s_delay_alu instid0(VALU_DEP_1)
	v_pk_add_f32 v[20:21], v[20:21], v[36:37]
	flat_store_b64 v[28:29], v[20:21]
	s_wait_xcnt 0x0
	s_or_b32 exec_lo, exec_lo, s37
	s_and_saveexec_b32 s37, s3
	s_cbranch_execz .LBB248_29
.LBB248_31:                             ;   in Loop: Header=BB248_4 Depth=1
	flat_load_b64 v[20:21], v[30:31] offset:128
	s_wait_xcnt 0x0
	v_mov_b64_e32 v[30:31], s[42:43]
	v_mov_b64_e32 v[36:37], s[28:29]
	;; [unrolled: 1-line block ×4, first 2 shown]
	s_delay_alu instid0(VALU_DEP_4) | instskip(NEXT) | instid1(VALU_DEP_1)
	v_pk_mul_f32 v[30:31], v[24:25], v[30:31] op_sel:[1,0] op_sel_hi:[0,1]
	v_pk_fma_f32 v[42:43], v[24:25], v[38:39], v[30:31]
	v_pk_fma_f32 v[24:25], v[24:25], v[38:39], v[30:31] neg_lo:[0,0,1] neg_hi:[0,0,1]
	s_wait_loadcnt_dscnt 0x0
	v_pk_mul_f32 v[36:37], v[20:21], v[36:37] op_sel:[1,0] op_sel_hi:[0,1]
	s_delay_alu instid0(VALU_DEP_1) | instskip(SKIP_1) | instid1(VALU_DEP_2)
	v_pk_fma_f32 v[44:45], v[20:21], v[40:41], v[36:37]
	v_pk_fma_f32 v[20:21], v[20:21], v[40:41], v[36:37] neg_lo:[0,0,1] neg_hi:[0,0,1]
	v_dual_mov_b32 v25, v43 :: v_dual_mov_b32 v21, v45
	s_delay_alu instid0(VALU_DEP_1) | instskip(SKIP_3) | instid1(SALU_CYCLE_1)
	v_pk_add_f32 v[20:21], v[24:25], v[20:21]
	flat_store_b64 v[28:29], v[20:21] offset:128
	s_wait_xcnt 0x0
	s_or_b32 exec_lo, exec_lo, s37
	s_and_b32 exec_lo, exec_lo, s4
	s_cbranch_execz .LBB248_2
.LBB248_32:                             ;   in Loop: Header=BB248_4 Depth=1
	v_lshl_add_u64 v[20:21], s[16:17], 3, v[26:27]
	v_lshl_add_u64 v[22:23], s[6:7], 3, v[22:23]
	s_delay_alu instid0(VALU_DEP_2) | instskip(NEXT) | instid1(VALU_DEP_2)
	v_add_nc_u64_e32 v[20:21], v[20:21], v[16:17]
	v_add_nc_u64_e32 v[16:17], v[22:23], v[16:17]
	s_and_saveexec_b32 s37, s2
	s_cbranch_execz .LBB248_34
; %bb.33:                               ;   in Loop: Header=BB248_4 Depth=1
	flat_load_b64 v[22:23], v[20:21]
	v_mov_b64_e32 v[24:25], s[42:43]
	v_mov_b64_e32 v[26:27], s[28:29]
	;; [unrolled: 1-line block ×4, first 2 shown]
	s_delay_alu instid0(VALU_DEP_4) | instskip(NEXT) | instid1(VALU_DEP_1)
	v_pk_mul_f32 v[24:25], v[18:19], v[24:25] op_sel:[1,0] op_sel_hi:[0,1]
	v_pk_fma_f32 v[36:37], v[18:19], v[28:29], v[24:25]
	v_pk_fma_f32 v[18:19], v[18:19], v[28:29], v[24:25] neg_lo:[0,0,1] neg_hi:[0,0,1]
	s_wait_loadcnt_dscnt 0x0
	v_pk_mul_f32 v[26:27], v[22:23], v[26:27] op_sel:[1,0] op_sel_hi:[0,1]
	s_delay_alu instid0(VALU_DEP_1) | instskip(SKIP_1) | instid1(VALU_DEP_2)
	v_pk_fma_f32 v[38:39], v[22:23], v[30:31], v[26:27]
	v_pk_fma_f32 v[22:23], v[22:23], v[30:31], v[26:27] neg_lo:[0,0,1] neg_hi:[0,0,1]
	v_dual_mov_b32 v19, v37 :: v_dual_mov_b32 v23, v39
	s_delay_alu instid0(VALU_DEP_1)
	v_pk_add_f32 v[18:19], v[18:19], v[22:23]
	flat_store_b64 v[16:17], v[18:19]
.LBB248_34:                             ;   in Loop: Header=BB248_4 Depth=1
	s_wait_xcnt 0x0
	s_or_b32 exec_lo, exec_lo, s37
	s_delay_alu instid0(SALU_CYCLE_1)
	s_and_b32 exec_lo, exec_lo, s3
	s_cbranch_execz .LBB248_2
; %bb.35:                               ;   in Loop: Header=BB248_4 Depth=1
	flat_load_b64 v[18:19], v[20:21] offset:128
	s_wait_xcnt 0x0
	v_mov_b64_e32 v[20:21], s[42:43]
	v_mov_b64_e32 v[22:23], s[28:29]
	;; [unrolled: 1-line block ×4, first 2 shown]
	s_delay_alu instid0(VALU_DEP_4) | instskip(NEXT) | instid1(VALU_DEP_1)
	v_pk_mul_f32 v[20:21], v[14:15], v[20:21] op_sel:[1,0] op_sel_hi:[0,1]
	v_pk_fma_f32 v[28:29], v[14:15], v[24:25], v[20:21]
	v_pk_fma_f32 v[14:15], v[14:15], v[24:25], v[20:21] neg_lo:[0,0,1] neg_hi:[0,0,1]
	s_wait_loadcnt_dscnt 0x0
	v_pk_mul_f32 v[22:23], v[18:19], v[22:23] op_sel:[1,0] op_sel_hi:[0,1]
	s_delay_alu instid0(VALU_DEP_1) | instskip(SKIP_1) | instid1(VALU_DEP_2)
	v_pk_fma_f32 v[30:31], v[18:19], v[26:27], v[22:23]
	v_pk_fma_f32 v[18:19], v[18:19], v[26:27], v[22:23] neg_lo:[0,0,1] neg_hi:[0,0,1]
	v_dual_mov_b32 v15, v29 :: v_dual_mov_b32 v19, v31
	s_delay_alu instid0(VALU_DEP_1)
	v_pk_add_f32 v[14:15], v[14:15], v[18:19]
	flat_store_b64 v[16:17], v[14:15] offset:128
	s_branch .LBB248_2
.LBB248_36:
	s_sendmsg sendmsg(MSG_DEALLOC_VGPRS)
	s_endpgm
	.section	.rodata,"a",@progbits
	.p2align	6, 0x0
	.amdhsa_kernel _ZN12_GLOBAL__N_135rocblas_gemm_batched_general_kernelI19rocblas_complex_numIfELi16ELi16ELi32ELi32ELi8ELi32ELi8ELi8ELi32ELc78ELc67EKPKS2_S5_KPS2_EEvlllT_PT11_llSA_llS8_PT12_llPT13_lli
		.amdhsa_group_segment_fixed_size 4096
		.amdhsa_private_segment_fixed_size 0
		.amdhsa_kernarg_size 140
		.amdhsa_user_sgpr_count 2
		.amdhsa_user_sgpr_dispatch_ptr 0
		.amdhsa_user_sgpr_queue_ptr 0
		.amdhsa_user_sgpr_kernarg_segment_ptr 1
		.amdhsa_user_sgpr_dispatch_id 0
		.amdhsa_user_sgpr_kernarg_preload_length 0
		.amdhsa_user_sgpr_kernarg_preload_offset 0
		.amdhsa_user_sgpr_private_segment_size 0
		.amdhsa_wavefront_size32 1
		.amdhsa_uses_dynamic_stack 0
		.amdhsa_enable_private_segment 0
		.amdhsa_system_sgpr_workgroup_id_x 1
		.amdhsa_system_sgpr_workgroup_id_y 1
		.amdhsa_system_sgpr_workgroup_id_z 1
		.amdhsa_system_sgpr_workgroup_info 0
		.amdhsa_system_vgpr_workitem_id 1
		.amdhsa_next_free_vgpr 114
		.amdhsa_next_free_sgpr 48
		.amdhsa_named_barrier_count 0
		.amdhsa_reserve_vcc 1
		.amdhsa_float_round_mode_32 0
		.amdhsa_float_round_mode_16_64 0
		.amdhsa_float_denorm_mode_32 3
		.amdhsa_float_denorm_mode_16_64 3
		.amdhsa_fp16_overflow 0
		.amdhsa_memory_ordered 1
		.amdhsa_forward_progress 1
		.amdhsa_inst_pref_size 28
		.amdhsa_round_robin_scheduling 0
		.amdhsa_exception_fp_ieee_invalid_op 0
		.amdhsa_exception_fp_denorm_src 0
		.amdhsa_exception_fp_ieee_div_zero 0
		.amdhsa_exception_fp_ieee_overflow 0
		.amdhsa_exception_fp_ieee_underflow 0
		.amdhsa_exception_fp_ieee_inexact 0
		.amdhsa_exception_int_div_zero 0
	.end_amdhsa_kernel
	.section	.text._ZN12_GLOBAL__N_135rocblas_gemm_batched_general_kernelI19rocblas_complex_numIfELi16ELi16ELi32ELi32ELi8ELi32ELi8ELi8ELi32ELc78ELc67EKPKS2_S5_KPS2_EEvlllT_PT11_llSA_llS8_PT12_llPT13_lli,"axG",@progbits,_ZN12_GLOBAL__N_135rocblas_gemm_batched_general_kernelI19rocblas_complex_numIfELi16ELi16ELi32ELi32ELi8ELi32ELi8ELi8ELi32ELc78ELc67EKPKS2_S5_KPS2_EEvlllT_PT11_llSA_llS8_PT12_llPT13_lli,comdat
.Lfunc_end248:
	.size	_ZN12_GLOBAL__N_135rocblas_gemm_batched_general_kernelI19rocblas_complex_numIfELi16ELi16ELi32ELi32ELi8ELi32ELi8ELi8ELi32ELc78ELc67EKPKS2_S5_KPS2_EEvlllT_PT11_llSA_llS8_PT12_llPT13_lli, .Lfunc_end248-_ZN12_GLOBAL__N_135rocblas_gemm_batched_general_kernelI19rocblas_complex_numIfELi16ELi16ELi32ELi32ELi8ELi32ELi8ELi8ELi32ELc78ELc67EKPKS2_S5_KPS2_EEvlllT_PT11_llSA_llS8_PT12_llPT13_lli
                                        ; -- End function
	.set _ZN12_GLOBAL__N_135rocblas_gemm_batched_general_kernelI19rocblas_complex_numIfELi16ELi16ELi32ELi32ELi8ELi32ELi8ELi8ELi32ELc78ELc67EKPKS2_S5_KPS2_EEvlllT_PT11_llSA_llS8_PT12_llPT13_lli.num_vgpr, 114
	.set _ZN12_GLOBAL__N_135rocblas_gemm_batched_general_kernelI19rocblas_complex_numIfELi16ELi16ELi32ELi32ELi8ELi32ELi8ELi8ELi32ELc78ELc67EKPKS2_S5_KPS2_EEvlllT_PT11_llSA_llS8_PT12_llPT13_lli.num_agpr, 0
	.set _ZN12_GLOBAL__N_135rocblas_gemm_batched_general_kernelI19rocblas_complex_numIfELi16ELi16ELi32ELi32ELi8ELi32ELi8ELi8ELi32ELc78ELc67EKPKS2_S5_KPS2_EEvlllT_PT11_llSA_llS8_PT12_llPT13_lli.numbered_sgpr, 48
	.set _ZN12_GLOBAL__N_135rocblas_gemm_batched_general_kernelI19rocblas_complex_numIfELi16ELi16ELi32ELi32ELi8ELi32ELi8ELi8ELi32ELc78ELc67EKPKS2_S5_KPS2_EEvlllT_PT11_llSA_llS8_PT12_llPT13_lli.num_named_barrier, 0
	.set _ZN12_GLOBAL__N_135rocblas_gemm_batched_general_kernelI19rocblas_complex_numIfELi16ELi16ELi32ELi32ELi8ELi32ELi8ELi8ELi32ELc78ELc67EKPKS2_S5_KPS2_EEvlllT_PT11_llSA_llS8_PT12_llPT13_lli.private_seg_size, 0
	.set _ZN12_GLOBAL__N_135rocblas_gemm_batched_general_kernelI19rocblas_complex_numIfELi16ELi16ELi32ELi32ELi8ELi32ELi8ELi8ELi32ELc78ELc67EKPKS2_S5_KPS2_EEvlllT_PT11_llSA_llS8_PT12_llPT13_lli.uses_vcc, 1
	.set _ZN12_GLOBAL__N_135rocblas_gemm_batched_general_kernelI19rocblas_complex_numIfELi16ELi16ELi32ELi32ELi8ELi32ELi8ELi8ELi32ELc78ELc67EKPKS2_S5_KPS2_EEvlllT_PT11_llSA_llS8_PT12_llPT13_lli.uses_flat_scratch, 0
	.set _ZN12_GLOBAL__N_135rocblas_gemm_batched_general_kernelI19rocblas_complex_numIfELi16ELi16ELi32ELi32ELi8ELi32ELi8ELi8ELi32ELc78ELc67EKPKS2_S5_KPS2_EEvlllT_PT11_llSA_llS8_PT12_llPT13_lli.has_dyn_sized_stack, 0
	.set _ZN12_GLOBAL__N_135rocblas_gemm_batched_general_kernelI19rocblas_complex_numIfELi16ELi16ELi32ELi32ELi8ELi32ELi8ELi8ELi32ELc78ELc67EKPKS2_S5_KPS2_EEvlllT_PT11_llSA_llS8_PT12_llPT13_lli.has_recursion, 0
	.set _ZN12_GLOBAL__N_135rocblas_gemm_batched_general_kernelI19rocblas_complex_numIfELi16ELi16ELi32ELi32ELi8ELi32ELi8ELi8ELi32ELc78ELc67EKPKS2_S5_KPS2_EEvlllT_PT11_llSA_llS8_PT12_llPT13_lli.has_indirect_call, 0
	.section	.AMDGPU.csdata,"",@progbits
; Kernel info:
; codeLenInByte = 3492
; TotalNumSgprs: 50
; NumVgprs: 114
; ScratchSize: 0
; MemoryBound: 0
; FloatMode: 240
; IeeeMode: 1
; LDSByteSize: 4096 bytes/workgroup (compile time only)
; SGPRBlocks: 0
; VGPRBlocks: 7
; NumSGPRsForWavesPerEU: 50
; NumVGPRsForWavesPerEU: 114
; NamedBarCnt: 0
; Occupancy: 8
; WaveLimiterHint : 1
; COMPUTE_PGM_RSRC2:SCRATCH_EN: 0
; COMPUTE_PGM_RSRC2:USER_SGPR: 2
; COMPUTE_PGM_RSRC2:TRAP_HANDLER: 0
; COMPUTE_PGM_RSRC2:TGID_X_EN: 1
; COMPUTE_PGM_RSRC2:TGID_Y_EN: 1
; COMPUTE_PGM_RSRC2:TGID_Z_EN: 1
; COMPUTE_PGM_RSRC2:TIDIG_COMP_CNT: 1
	.section	.text._ZN12_GLOBAL__N_135rocblas_gemm_batched_general_kernelI19rocblas_complex_numIfELi16ELi16ELi32ELi32ELi8ELi32ELi8ELi8ELi32ELc84ELc67EKPKS2_S5_KPS2_EEvlllT_PT11_llSA_llS8_PT12_llPT13_lli,"axG",@progbits,_ZN12_GLOBAL__N_135rocblas_gemm_batched_general_kernelI19rocblas_complex_numIfELi16ELi16ELi32ELi32ELi8ELi32ELi8ELi8ELi32ELc84ELc67EKPKS2_S5_KPS2_EEvlllT_PT11_llSA_llS8_PT12_llPT13_lli,comdat
	.globl	_ZN12_GLOBAL__N_135rocblas_gemm_batched_general_kernelI19rocblas_complex_numIfELi16ELi16ELi32ELi32ELi8ELi32ELi8ELi8ELi32ELc84ELc67EKPKS2_S5_KPS2_EEvlllT_PT11_llSA_llS8_PT12_llPT13_lli ; -- Begin function _ZN12_GLOBAL__N_135rocblas_gemm_batched_general_kernelI19rocblas_complex_numIfELi16ELi16ELi32ELi32ELi8ELi32ELi8ELi8ELi32ELc84ELc67EKPKS2_S5_KPS2_EEvlllT_PT11_llSA_llS8_PT12_llPT13_lli
	.p2align	8
	.type	_ZN12_GLOBAL__N_135rocblas_gemm_batched_general_kernelI19rocblas_complex_numIfELi16ELi16ELi32ELi32ELi8ELi32ELi8ELi8ELi32ELc84ELc67EKPKS2_S5_KPS2_EEvlllT_PT11_llSA_llS8_PT12_llPT13_lli,@function
_ZN12_GLOBAL__N_135rocblas_gemm_batched_general_kernelI19rocblas_complex_numIfELi16ELi16ELi32ELi32ELi8ELi32ELi8ELi8ELi32ELc84ELc67EKPKS2_S5_KPS2_EEvlllT_PT11_llSA_llS8_PT12_llPT13_lli: ; @_ZN12_GLOBAL__N_135rocblas_gemm_batched_general_kernelI19rocblas_complex_numIfELi16ELi16ELi32ELi32ELi8ELi32ELi8ELi8ELi32ELc84ELc67EKPKS2_S5_KPS2_EEvlllT_PT11_llSA_llS8_PT12_llPT13_lli
; %bb.0:
	s_load_b32 s33, s[0:1], 0x88
	s_bfe_u32 s2, ttmp6, 0x40014
	s_lshr_b32 s3, ttmp7, 16
	s_add_co_i32 s2, s2, 1
	s_bfe_u32 s5, ttmp6, 0x40008
	s_mul_i32 s4, s3, s2
	s_getreg_b32 s2, hwreg(HW_REG_IB_STS2, 6, 4)
	s_add_co_i32 s5, s5, s4
	s_cmp_eq_u32 s2, 0
	s_mov_b32 s35, 0
	s_cselect_b32 s34, s3, s5
	s_wait_kmcnt 0x0
	s_cmp_ge_i32 s34, s33
	s_cbranch_scc1 .LBB249_36
; %bb.1:
	v_bfe_u32 v6, v0, 10, 10
	v_and_b32_e32 v8, 0x3ff, v0
	s_clause 0x5
	s_load_b256 s[4:11], s[0:1], 0x0
	s_load_b256 s[12:19], s[0:1], 0x20
	s_load_b128 s[28:31], s[0:1], 0x78
	s_load_b256 s[20:27], s[0:1], 0x58
	s_load_b128 s[36:39], s[0:1], 0x40
	s_load_b64 s[40:41], s[0:1], 0x50
	s_wait_xcnt 0x0
	s_bfe_u32 s0, ttmp6, 0x4000c
	s_bfe_u32 s3, ttmp6, 0x40010
	s_add_co_i32 s0, s0, 1
	s_and_b32 s42, ttmp7, 0xffff
	s_add_co_i32 s3, s3, 1
	s_and_b32 s1, ttmp6, 15
	s_mul_i32 s0, ttmp9, s0
	s_mul_i32 s3, s42, s3
	s_bfe_u32 s43, ttmp6, 0x40004
	v_lshl_add_u32 v18, v6, 4, v8
	s_add_co_i32 s1, s1, s0
	s_add_co_i32 s43, s43, s3
	s_cmp_eq_u32 s2, 0
	s_delay_alu instid0(VALU_DEP_1)
	v_dual_mov_b32 v3, 0 :: v_dual_bitop2_b32 v7, 31, v18 bitop3:0x40
	s_cselect_b32 s0, ttmp9, s1
	s_cselect_b32 s44, s42, s43
	s_ashr_i32 s1, s0, 31
	v_dual_lshrrev_b32 v2, 5, v18 :: v_dual_bitop2_b32 v0, 7, v0 bitop3:0x40
	s_lshl_b64 s[2:3], s[0:1], 5
	v_dual_mov_b32 v5, v3 :: v_dual_lshrrev_b32 v4, 3, v18
	v_dual_mov_b32 v1, v3 :: v_dual_bitop2_b32 v10, s2, v7 bitop3:0x54
	s_lshl_b32 s42, s44, 5
	s_mov_b32 s43, s35
	v_mov_b32_e32 v11, s3
	v_add_nc_u64_e32 v[12:13], s[42:43], v[4:5]
	s_wait_kmcnt 0x0
	v_mul_u64_e32 v[14:15], s[36:37], v[0:1]
	v_dual_lshlrev_b32 v5, 3, v0 :: v_dual_lshlrev_b32 v16, 3, v7
	v_dual_mov_b32 v9, v3 :: v_dual_mov_b32 v7, v3
	v_lshlrev_b32_e32 v34, 3, v8
	v_cmp_gt_i64_e32 vcc_lo, s[6:7], v[12:13]
	v_mul_u64_e32 v[12:13], s[14:15], v[10:11]
	v_cmp_gt_i64_e64 s0, s[4:5], v[10:11]
	v_add_nc_u64_e32 v[10:11], s[42:43], v[6:7]
	v_lshl_or_b32 v17, v4, 6, v5
	v_add_nc_u64_e32 v[4:5], s[2:3], v[8:9]
	v_lshl_add_u32 v35, v6, 6, 0x800
	v_lshl_or_b32 v32, v2, 8, v16
	s_or_b32 s1, s40, s41
	v_add_nc_u32_e32 v33, 0x800, v17
	v_mul_u64_e32 v[6:7], s[28:29], v[10:11]
	v_mul_u64_e32 v[8:9], s[22:23], v[10:11]
	v_add_nc_u64_e32 v[16:17], 16, v[4:5]
	s_bitset0_b32 s1, 31
	v_cmp_gt_i64_e64 s2, s[4:5], v[4:5]
	s_cmp_eq_u32 s1, 0
	v_cmp_gt_i64_e64 s1, s[6:7], v[10:11]
	s_cselect_b32 s42, -1, 0
	s_lshl_b64 s[38:39], s[38:39], 3
	v_cmp_gt_i64_e64 s3, s[4:5], v[16:17]
	s_lshl_b32 s4, s44, 8
	s_mov_b32 s5, s35
	v_add_nc_u64_e32 v[10:11], 16, v[10:11]
	s_add_nc_u64 s[4:5], s[38:39], s[4:5]
	v_and_b32_e32 v16, 0x1ff8, v18
	v_mov_b32_e32 v17, v3
	v_lshl_add_u64 v[14:15], v[14:15], 3, s[4:5]
	s_lshl_b64 s[16:17], s[16:17], 3
	v_cmp_gt_i64_e64 s5, s[8:9], 0
	v_cmp_gt_i64_e64 s4, s[6:7], v[10:11]
	s_mov_b32 s14, s11
	v_add_nc_u64_e32 v[10:11], v[14:15], v[16:17]
	v_lshlrev_b32_e32 v14, 3, v2
	v_lshl_add_u64 v[12:13], v[12:13], 3, s[16:17]
	v_mov_b32_e32 v15, v3
	s_mov_b32 s15, s11
	s_mov_b32 s11, s10
	s_lshl_b64 s[6:7], s[28:29], 4
	v_or_b32_e32 v10, 4, v10
	v_add_nc_u64_e32 v[12:13], v[12:13], v[14:15]
	s_mov_b32 s28, s41
	s_mov_b32 s29, s41
	;; [unrolled: 1-line block ×3, first 2 shown]
	s_lshl_b64 s[16:17], s[22:23], 4
	s_lshl_b64 s[22:23], s[36:37], 6
	s_xor_b32 s38, vcc_lo, -1
	s_lshl_b64 s[30:31], s[30:31], 3
	s_lshl_b64 s[24:25], s[24:25], 3
	s_branch .LBB249_4
.LBB249_2:                              ;   in Loop: Header=BB249_4 Depth=1
	s_wait_xcnt 0x0
	s_or_b32 exec_lo, exec_lo, s36
.LBB249_3:                              ;   in Loop: Header=BB249_4 Depth=1
	s_add_co_i32 s34, s34, 0x10000
	s_delay_alu instid0(SALU_CYCLE_1)
	s_cmp_lt_i32 s34, s33
	s_cbranch_scc0 .LBB249_36
.LBB249_4:                              ; =>This Loop Header: Depth=1
                                        ;     Child Loop BB249_7 Depth 2
	v_dual_mov_b32 v14, s34 :: v_dual_mov_b32 v21, 0
	v_dual_mov_b32 v20, 0 :: v_dual_mov_b32 v25, 0
	;; [unrolled: 1-line block ×3, first 2 shown]
	s_clause 0x1
	global_load_b64 v[16:17], v14, s[20:21] scale_offset
	global_load_b64 v[22:23], v14, s[26:27] scale_offset
	v_dual_mov_b32 v18, 0 :: v_dual_mov_b32 v15, 0
	s_wait_xcnt 0x0
	v_mov_b32_e32 v14, 0
	s_and_not1_b32 vcc_lo, exec_lo, s5
	s_cbranch_vccnz .LBB249_13
; %bb.5:                                ;   in Loop: Header=BB249_4 Depth=1
	s_lshl_b64 s[36:37], s[34:35], 3
	v_mov_b32_e32 v14, 0
	s_add_nc_u64 s[44:45], s[18:19], s[36:37]
	s_add_nc_u64 s[36:37], s[12:13], s[36:37]
	s_clause 0x1
	global_load_b64 v[20:21], v3, s[44:45]
	global_load_b64 v[28:29], v3, s[36:37]
	s_wait_xcnt 0x0
	s_mov_b64 s[36:37], 0
	v_dual_mov_b32 v15, v14 :: v_dual_mov_b32 v18, v14
	v_dual_mov_b32 v19, v14 :: v_dual_mov_b32 v24, v14
	v_mov_b32_e32 v25, v14
	s_wait_loadcnt 0x1
	v_add_nc_u64_e32 v[26:27], v[20:21], v[10:11]
	s_wait_loadcnt 0x0
	v_add_nc_u64_e32 v[28:29], v[28:29], v[12:13]
	v_dual_mov_b32 v20, v14 :: v_dual_mov_b32 v21, v14
	s_branch .LBB249_7
.LBB249_6:                              ;   in Loop: Header=BB249_7 Depth=2
	s_wait_xcnt 0x0
	s_or_b32 exec_lo, exec_lo, s39
	ds_store_b32 v33, v30 offset:4
	s_wait_dscnt 0x0
	s_barrier_signal -1
	s_barrier_wait -1
	ds_load_2addr_b64 v[36:39], v34 offset1:16
	ds_load_b128 v[40:43], v35
	ds_load_2addr_b64 v[44:47], v34 offset0:32 offset1:48
	ds_load_b128 v[48:51], v35 offset:1024
	ds_load_b128 v[52:55], v35 offset:16
	ds_load_2addr_b64 v[56:59], v34 offset0:64 offset1:80
	ds_load_2addr_b64 v[60:63], v34 offset0:96 offset1:112
	;; [unrolled: 1-line block ×3, first 2 shown]
	ds_load_b128 v[68:71], v35 offset:1040
	s_add_nc_u64 s[36:37], s[36:37], 8
	v_add_nc_u64_e32 v[26:27], s[22:23], v[26:27]
	v_cmp_lt_i64_e64 s39, s[36:37], s[8:9]
	v_add_nc_u64_e32 v[28:29], 64, v[28:29]
	s_and_b32 vcc_lo, exec_lo, s39
	s_wait_dscnt 0x7
	v_pk_mul_f32 v[30:31], v[40:41], v[36:37] op_sel:[0,1]
	s_wait_dscnt 0x6
	v_pk_mul_f32 v[72:73], v[42:43], v[44:45] op_sel:[0,1]
	v_pk_mul_f32 v[74:75], v[40:41], v[38:39] op_sel:[0,1]
	;; [unrolled: 1-line block ×3, first 2 shown]
	s_wait_dscnt 0x5
	v_pk_mul_f32 v[78:79], v[48:49], v[36:37] op_sel:[0,1]
	v_pk_mul_f32 v[80:81], v[48:49], v[38:39] op_sel:[0,1]
	v_pk_fma_f32 v[82:83], v[40:41], v[36:37], v[30:31] op_sel:[0,0,1] op_sel_hi:[1,1,0] neg_lo:[0,0,1] neg_hi:[0,0,1]
	v_pk_fma_f32 v[30:31], v[40:41], v[36:37], v[30:31] op_sel:[0,0,1] op_sel_hi:[1,0,0]
	v_pk_fma_f32 v[84:85], v[42:43], v[44:45], v[72:73] op_sel:[0,0,1] op_sel_hi:[1,1,0] neg_lo:[0,0,1] neg_hi:[0,0,1]
	v_pk_fma_f32 v[86:87], v[42:43], v[44:45], v[72:73] op_sel:[0,0,1] op_sel_hi:[1,0,0]
	;; [unrolled: 2-line block ×3, first 2 shown]
	ds_load_b128 v[72:75], v35 offset:32
	v_pk_mul_f32 v[40:41], v[50:51], v[44:45] op_sel:[0,1]
	v_pk_fma_f32 v[92:93], v[42:43], v[46:47], v[76:77] op_sel:[0,0,1] op_sel_hi:[1,1,0] neg_lo:[0,0,1] neg_hi:[0,0,1]
	v_pk_fma_f32 v[76:77], v[42:43], v[46:47], v[76:77] op_sel:[0,0,1] op_sel_hi:[1,0,0]
	v_pk_fma_f32 v[94:95], v[48:49], v[36:37], v[78:79] op_sel:[0,0,1] op_sel_hi:[1,1,0] neg_lo:[0,0,1] neg_hi:[0,0,1]
	v_pk_fma_f32 v[78:79], v[48:49], v[36:37], v[78:79] op_sel:[0,0,1] op_sel_hi:[1,0,0]
	v_pk_fma_f32 v[96:97], v[48:49], v[38:39], v[80:81] op_sel:[0,0,1] op_sel_hi:[1,1,0] neg_lo:[0,0,1] neg_hi:[0,0,1]
	v_pk_mul_f32 v[42:43], v[50:51], v[46:47] op_sel:[0,1]
	v_pk_fma_f32 v[80:81], v[48:49], v[38:39], v[80:81] op_sel:[0,0,1] op_sel_hi:[1,0,0]
	v_pk_fma_f32 v[98:99], v[50:51], v[44:45], v[40:41] op_sel:[0,0,1] op_sel_hi:[1,1,0] neg_lo:[0,0,1] neg_hi:[0,0,1]
	s_wait_dscnt 0x4
	v_pk_mul_f32 v[48:49], v[52:53], v[56:57] op_sel:[0,1]
	v_pk_fma_f32 v[100:101], v[50:51], v[44:45], v[40:41] op_sel:[0,0,1] op_sel_hi:[1,0,0]
	ds_load_2addr_b64 v[36:39], v34 offset0:160 offset1:176
	s_wait_dscnt 0x4
	v_pk_mul_f32 v[40:41], v[54:55], v[60:61] op_sel:[0,1]
	v_pk_mul_f32 v[44:45], v[52:53], v[58:59] op_sel:[0,1]
	v_dual_mov_b32 v83, v31 :: v_dual_mov_b32 v85, v87
	v_pk_fma_f32 v[102:103], v[50:51], v[46:47], v[42:43] op_sel:[0,0,1] op_sel_hi:[1,1,0] neg_lo:[0,0,1] neg_hi:[0,0,1]
	v_pk_fma_f32 v[104:105], v[50:51], v[46:47], v[42:43] op_sel:[0,0,1] op_sel_hi:[1,0,0]
	v_pk_fma_f32 v[106:107], v[52:53], v[56:57], v[48:49] op_sel:[0,0,1] op_sel_hi:[1,1,0] neg_lo:[0,0,1] neg_hi:[0,0,1]
	v_pk_fma_f32 v[48:49], v[52:53], v[56:57], v[48:49] op_sel:[0,0,1] op_sel_hi:[1,0,0]
	;; [unrolled: 2-line block ×3, first 2 shown]
	ds_load_b128 v[40:43], v35 offset:48
	v_pk_add_f32 v[20:21], v[20:21], v[82:83]
	v_pk_fma_f32 v[82:83], v[52:53], v[58:59], v[44:45] op_sel:[0,0,1] op_sel_hi:[1,1,0] neg_lo:[0,0,1] neg_hi:[0,0,1]
	v_pk_fma_f32 v[52:53], v[52:53], v[58:59], v[44:45] op_sel:[0,0,1] op_sel_hi:[1,0,0]
	ds_load_2addr_b64 v[44:47], v34 offset0:192 offset1:208
	v_pk_mul_f32 v[30:31], v[54:55], v[62:63] op_sel:[0,1]
	s_wait_dscnt 0x3
	v_pk_mul_f32 v[112:113], v[72:73], v[64:65] op_sel:[0,1]
	v_dual_mov_b32 v89, v91 :: v_dual_mov_b32 v107, v49
	v_pk_add_f32 v[20:21], v[20:21], v[84:85]
	ds_load_2addr_b64 v[48:51], v34 offset0:224 offset1:240
	v_pk_fma_f32 v[86:87], v[54:55], v[62:63], v[30:31] op_sel:[0,0,1] op_sel_hi:[1,1,0] neg_lo:[0,0,1] neg_hi:[0,0,1]
	v_pk_fma_f32 v[30:31], v[54:55], v[62:63], v[30:31] op_sel:[0,0,1] op_sel_hi:[1,0,0]
	s_wait_dscnt 0x3
	v_pk_mul_f32 v[54:55], v[74:75], v[36:37] op_sel:[0,1]
	v_pk_add_f32 v[24:25], v[24:25], v[88:89]
	v_pk_fma_f32 v[88:89], v[72:73], v[64:65], v[112:113] op_sel:[0,0,1] op_sel_hi:[1,0,0]
	v_dual_mov_b32 v93, v77 :: v_dual_mov_b32 v109, v111
	v_pk_add_f32 v[20:21], v[20:21], v[106:107]
	v_pk_mul_f32 v[90:91], v[72:73], v[66:67] op_sel:[0,1]
	v_pk_mul_f32 v[106:107], v[74:75], v[38:39] op_sel:[0,1]
	v_pk_fma_f32 v[84:85], v[72:73], v[64:65], v[112:113] op_sel:[0,0,1] op_sel_hi:[1,1,0] neg_lo:[0,0,1] neg_hi:[0,0,1]
	v_pk_fma_f32 v[76:77], v[74:75], v[36:37], v[54:55] op_sel:[0,0,1] op_sel_hi:[1,1,0] neg_lo:[0,0,1] neg_hi:[0,0,1]
	v_pk_fma_f32 v[54:55], v[74:75], v[36:37], v[54:55] op_sel:[0,0,1] op_sel_hi:[1,0,0]
	v_pk_add_f32 v[24:25], v[24:25], v[92:93]
	v_pk_fma_f32 v[92:93], v[72:73], v[66:67], v[90:91] op_sel:[0,0,1] op_sel_hi:[1,1,0] neg_lo:[0,0,1] neg_hi:[0,0,1]
	v_pk_fma_f32 v[72:73], v[72:73], v[66:67], v[90:91] op_sel:[0,0,1] op_sel_hi:[1,0,0]
	v_dual_mov_b32 v83, v53 :: v_dual_mov_b32 v85, v89
	v_pk_fma_f32 v[90:91], v[74:75], v[38:39], v[106:107] op_sel:[0,0,1] op_sel_hi:[1,1,0] neg_lo:[0,0,1] neg_hi:[0,0,1]
	v_pk_fma_f32 v[52:53], v[74:75], v[38:39], v[106:107] op_sel:[0,0,1] op_sel_hi:[1,0,0]
	s_wait_dscnt 0x1
	v_pk_mul_f32 v[74:75], v[40:41], v[44:45] op_sel:[0,1]
	v_pk_add_f32 v[20:21], v[20:21], v[108:109]
	v_dual_mov_b32 v87, v31 :: v_dual_mov_b32 v77, v55
	v_pk_mul_f32 v[54:55], v[40:41], v[46:47] op_sel:[0,1]
	s_delay_alu instid0(VALU_DEP_4)
	v_pk_fma_f32 v[30:31], v[40:41], v[44:45], v[74:75] op_sel:[0,0,1] op_sel_hi:[1,1,0] neg_lo:[0,0,1] neg_hi:[0,0,1]
	v_pk_fma_f32 v[74:75], v[40:41], v[44:45], v[74:75] op_sel:[0,0,1] op_sel_hi:[1,0,0]
	v_pk_add_f32 v[20:21], v[20:21], v[84:85]
	v_pk_add_f32 v[24:25], v[24:25], v[82:83]
	s_wait_dscnt 0x0
	v_pk_mul_f32 v[82:83], v[42:43], v[48:49] op_sel:[0,1]
	v_dual_mov_b32 v93, v73 :: v_dual_mov_b32 v31, v75
	v_pk_add_f32 v[20:21], v[20:21], v[76:77]
	v_pk_fma_f32 v[72:73], v[40:41], v[46:47], v[54:55] op_sel:[0,0,1] op_sel_hi:[1,1,0] neg_lo:[0,0,1] neg_hi:[0,0,1]
	v_pk_fma_f32 v[40:41], v[40:41], v[46:47], v[54:55] op_sel:[0,0,1] op_sel_hi:[1,0,0]
	v_dual_mov_b32 v91, v53 :: v_dual_mov_b32 v95, v79
	ds_load_b128 v[52:55], v35 offset:1056
	v_pk_fma_f32 v[84:85], v[42:43], v[48:49], v[82:83] op_sel:[0,0,1] op_sel_hi:[1,1,0] neg_lo:[0,0,1] neg_hi:[0,0,1]
	v_pk_fma_f32 v[82:83], v[42:43], v[48:49], v[82:83] op_sel:[0,0,1] op_sel_hi:[1,0,0]
	v_pk_add_f32 v[20:21], v[20:21], v[30:31]
	v_pk_mul_f32 v[30:31], v[68:69], v[56:57] op_sel:[0,1]
	v_pk_add_f32 v[24:25], v[24:25], v[86:87]
	v_pk_add_f32 v[18:19], v[18:19], v[94:95]
	v_dual_mov_b32 v85, v83 :: v_dual_mov_b32 v99, v101
	s_delay_alu instid0(VALU_DEP_4)
	v_pk_fma_f32 v[76:77], v[68:69], v[56:57], v[30:31] op_sel:[0,0,1] op_sel_hi:[1,0,0]
	v_pk_mul_f32 v[86:87], v[42:43], v[50:51] op_sel:[0,1]
	v_pk_add_f32 v[24:25], v[24:25], v[92:93]
	v_mov_b32_e32 v73, v41
	v_pk_mul_f32 v[40:41], v[70:71], v[60:61] op_sel:[0,1]
	v_pk_fma_f32 v[30:31], v[68:69], v[56:57], v[30:31] op_sel:[0,0,1] op_sel_hi:[1,1,0] neg_lo:[0,0,1] neg_hi:[0,0,1]
	v_pk_add_f32 v[18:19], v[18:19], v[98:99]
	v_mov_b32_e32 v31, v77
	v_pk_fma_f32 v[74:75], v[42:43], v[50:51], v[86:87] op_sel:[0,0,1] op_sel_hi:[1,1,0] neg_lo:[0,0,1] neg_hi:[0,0,1]
	v_pk_add_f32 v[24:25], v[24:25], v[90:91]
	v_pk_fma_f32 v[56:57], v[42:43], v[50:51], v[86:87] op_sel:[0,0,1] op_sel_hi:[1,0,0]
	v_pk_fma_f32 v[42:43], v[70:71], v[60:61], v[40:41] op_sel:[0,0,1] op_sel_hi:[1,0,0]
	v_pk_add_f32 v[18:19], v[18:19], v[30:31]
	v_pk_fma_f32 v[30:31], v[70:71], v[60:61], v[40:41] op_sel:[0,0,1] op_sel_hi:[1,1,0] neg_lo:[0,0,1] neg_hi:[0,0,1]
	v_pk_add_f32 v[24:25], v[24:25], v[72:73]
	v_pk_mul_f32 v[60:61], v[68:69], v[58:59] op_sel:[0,1]
	v_dual_mov_b32 v31, v43 :: v_dual_mov_b32 v97, v81
	ds_load_b128 v[40:43], v35 offset:1072
	s_wait_dscnt 0x1
	v_pk_mul_f32 v[72:73], v[52:53], v[64:65] op_sel:[0,1]
	v_dual_mov_b32 v75, v57 :: v_dual_mov_b32 v103, v105
	v_pk_add_f32 v[18:19], v[18:19], v[30:31]
	v_pk_fma_f32 v[30:31], v[68:69], v[58:59], v[60:61] op_sel:[0,0,1] op_sel_hi:[1,1,0] neg_lo:[0,0,1] neg_hi:[0,0,1]
	s_delay_alu instid0(VALU_DEP_4)
	v_pk_fma_f32 v[56:57], v[52:53], v[64:65], v[72:73] op_sel:[0,0,1] op_sel_hi:[1,0,0]
	v_pk_add_f32 v[14:15], v[14:15], v[96:97]
	v_pk_mul_f32 v[76:77], v[54:55], v[36:37] op_sel:[0,1]
	v_pk_fma_f32 v[58:59], v[68:69], v[58:59], v[60:61] op_sel:[0,0,1] op_sel_hi:[1,0,0]
	v_pk_fma_f32 v[60:61], v[52:53], v[64:65], v[72:73] op_sel:[0,0,1] op_sel_hi:[1,1,0] neg_lo:[0,0,1] neg_hi:[0,0,1]
	v_mov_b32_e32 v61, v57
	v_pk_add_f32 v[14:15], v[14:15], v[102:103]
	v_pk_fma_f32 v[56:57], v[54:55], v[36:37], v[76:77] op_sel:[0,0,1] op_sel_hi:[1,0,0]
	v_pk_mul_f32 v[64:65], v[70:71], v[62:63] op_sel:[0,1]
	v_mov_b32_e32 v31, v59
	v_pk_fma_f32 v[36:37], v[54:55], v[36:37], v[76:77] op_sel:[0,0,1] op_sel_hi:[1,1,0] neg_lo:[0,0,1] neg_hi:[0,0,1]
	v_pk_add_f32 v[18:19], v[18:19], v[60:61]
	v_mov_b32_e32 v37, v57
	v_pk_fma_f32 v[56:57], v[70:71], v[62:63], v[64:65] op_sel:[0,0,1] op_sel_hi:[1,0,0]
	v_pk_add_f32 v[14:15], v[14:15], v[30:31]
	v_pk_mul_f32 v[30:31], v[52:53], v[66:67] op_sel:[0,1]
	v_pk_fma_f32 v[60:61], v[70:71], v[62:63], v[64:65] op_sel:[0,0,1] op_sel_hi:[1,1,0] neg_lo:[0,0,1] neg_hi:[0,0,1]
	s_wait_dscnt 0x0
	v_pk_mul_f32 v[58:59], v[40:41], v[44:45] op_sel:[0,1]
	v_mov_b32_e32 v61, v57
	v_pk_add_f32 v[18:19], v[18:19], v[36:37]
	v_pk_fma_f32 v[36:37], v[52:53], v[66:67], v[30:31] op_sel:[0,0,1] op_sel_hi:[1,0,0]
	v_pk_mul_f32 v[62:63], v[54:55], v[38:39] op_sel:[0,1]
	v_pk_fma_f32 v[30:31], v[52:53], v[66:67], v[30:31] op_sel:[0,0,1] op_sel_hi:[1,1,0] neg_lo:[0,0,1] neg_hi:[0,0,1]
	v_pk_add_f32 v[14:15], v[14:15], v[60:61]
	v_pk_fma_f32 v[56:57], v[40:41], v[44:45], v[58:59] op_sel:[0,0,1] op_sel_hi:[1,1,0] neg_lo:[0,0,1] neg_hi:[0,0,1]
	v_mov_b32_e32 v31, v37
	v_pk_fma_f32 v[36:37], v[40:41], v[44:45], v[58:59] op_sel:[0,0,1] op_sel_hi:[1,0,0]
	v_pk_fma_f32 v[44:45], v[54:55], v[38:39], v[62:63] op_sel:[0,0,1] op_sel_hi:[1,0,0]
	v_pk_mul_f32 v[52:53], v[42:43], v[48:49] op_sel:[0,1]
	v_pk_mul_f32 v[58:59], v[40:41], v[46:47] op_sel:[0,1]
	v_pk_add_f32 v[20:21], v[20:21], v[84:85]
	v_mov_b32_e32 v57, v37
	v_pk_add_f32 v[14:15], v[14:15], v[30:31]
	v_pk_fma_f32 v[30:31], v[54:55], v[38:39], v[62:63] op_sel:[0,0,1] op_sel_hi:[1,1,0] neg_lo:[0,0,1] neg_hi:[0,0,1]
	v_pk_fma_f32 v[38:39], v[42:43], v[48:49], v[52:53] op_sel:[0,0,1] op_sel_hi:[1,0,0]
	v_mov_b32_e32 v31, v45
	v_pk_fma_f32 v[36:37], v[40:41], v[46:47], v[58:59] op_sel:[0,0,1] op_sel_hi:[1,0,0]
	v_pk_mul_f32 v[44:45], v[42:43], v[50:51] op_sel:[0,1]
	v_pk_add_f32 v[18:19], v[18:19], v[56:57]
	v_pk_add_f32 v[24:25], v[24:25], v[74:75]
	;; [unrolled: 1-line block ×3, first 2 shown]
	v_pk_fma_f32 v[30:31], v[40:41], v[46:47], v[58:59] op_sel:[0,0,1] op_sel_hi:[1,1,0] neg_lo:[0,0,1] neg_hi:[0,0,1]
	v_mov_b32_e32 v31, v37
	v_pk_fma_f32 v[36:37], v[42:43], v[50:51], v[44:45] op_sel:[0,0,1] op_sel_hi:[1,0,0]
	v_pk_fma_f32 v[40:41], v[42:43], v[48:49], v[52:53] op_sel:[0,0,1] op_sel_hi:[1,1,0] neg_lo:[0,0,1] neg_hi:[0,0,1]
	v_mov_b32_e32 v41, v39
	s_delay_alu instid0(VALU_DEP_4) | instskip(SKIP_2) | instid1(VALU_DEP_4)
	v_pk_add_f32 v[14:15], v[14:15], v[30:31]
	v_pk_fma_f32 v[30:31], v[42:43], v[50:51], v[44:45] op_sel:[0,0,1] op_sel_hi:[1,1,0] neg_lo:[0,0,1] neg_hi:[0,0,1]
	v_mov_b32_e32 v31, v37
	v_pk_add_f32 v[18:19], v[18:19], v[40:41]
	s_barrier_signal -1
	s_barrier_wait -1
	s_delay_alu instid0(VALU_DEP_2)
	v_pk_add_f32 v[14:15], v[14:15], v[30:31]
	s_cbranch_vccz .LBB249_13
.LBB249_7:                              ;   Parent Loop BB249_4 Depth=1
                                        ; =>  This Inner Loop Header: Depth=2
	v_add_nc_u64_e32 v[30:31], s[36:37], v[2:3]
	s_delay_alu instid0(VALU_DEP_1) | instskip(SKIP_2) | instid1(SALU_CYCLE_1)
	v_cmp_gt_i64_e32 vcc_lo, s[8:9], v[30:31]
	v_dual_mov_b32 v30, 0 :: v_dual_mov_b32 v31, 0
	s_and_b32 s43, s0, vcc_lo
	s_and_saveexec_b32 s39, s43
	s_cbranch_execz .LBB249_9
; %bb.8:                                ;   in Loop: Header=BB249_7 Depth=2
	flat_load_b64 v[30:31], v[28:29]
.LBB249_9:                              ;   in Loop: Header=BB249_7 Depth=2
	s_wait_xcnt 0x0
	s_or_b32 exec_lo, exec_lo, s39
	v_add_nc_u64_e32 v[36:37], s[36:37], v[0:1]
	s_wait_loadcnt_dscnt 0x0
	ds_store_b64 v32, v[30:31]
	v_cmp_le_i64_e32 vcc_lo, s[8:9], v[36:37]
	s_or_b32 s39, vcc_lo, s38
	s_delay_alu instid0(SALU_CYCLE_1) | instskip(NEXT) | instid1(SALU_CYCLE_1)
	s_and_saveexec_b32 s43, s39
	s_xor_b32 s39, exec_lo, s43
; %bb.10:                               ;   in Loop: Header=BB249_7 Depth=2
	ds_store_b32 v33, v3
; %bb.11:                               ;   in Loop: Header=BB249_7 Depth=2
	s_or_saveexec_b32 s39, s39
	v_mov_b32_e32 v30, 0
	s_xor_b32 exec_lo, exec_lo, s39
	s_cbranch_execz .LBB249_6
; %bb.12:                               ;   in Loop: Header=BB249_7 Depth=2
	flat_load_b64 v[36:37], v[26:27] offset:-4
	s_wait_loadcnt_dscnt 0x0
	v_xor_b32_e32 v30, 0x80000000, v37
	ds_store_b32 v33, v36
	s_branch .LBB249_6
.LBB249_13:                             ;   in Loop: Header=BB249_4 Depth=1
	s_wait_loadcnt 0x0
	v_add_nc_u64_e32 v[22:23], s[30:31], v[22:23]
	s_and_not1_b32 vcc_lo, exec_lo, s42
	s_mov_b32 s36, -1
	s_cbranch_vccz .LBB249_15
; %bb.14:                               ;   in Loop: Header=BB249_4 Depth=1
	s_and_not1_b32 vcc_lo, exec_lo, s36
	s_cbranch_vccnz .LBB249_3
	s_branch .LBB249_26
.LBB249_15:                             ;   in Loop: Header=BB249_4 Depth=1
	s_and_saveexec_b32 s36, s1
	s_cbranch_execz .LBB249_25
; %bb.16:                               ;   in Loop: Header=BB249_4 Depth=1
	s_delay_alu instid0(VALU_DEP_1) | instskip(NEXT) | instid1(VALU_DEP_1)
	v_lshl_add_u64 v[26:27], v[6:7], 3, v[22:23]
	v_lshl_add_u64 v[28:29], v[4:5], 3, v[26:27]
	s_and_saveexec_b32 s37, s2
	s_cbranch_execnz .LBB249_19
; %bb.17:                               ;   in Loop: Header=BB249_4 Depth=1
	s_or_b32 exec_lo, exec_lo, s37
	s_and_saveexec_b32 s37, s3
	s_cbranch_execnz .LBB249_20
.LBB249_18:                             ;   in Loop: Header=BB249_4 Depth=1
	s_or_b32 exec_lo, exec_lo, s37
	s_delay_alu instid0(SALU_CYCLE_1)
	s_and_b32 exec_lo, exec_lo, s4
	s_cbranch_execnz .LBB249_21
	s_branch .LBB249_25
.LBB249_19:                             ;   in Loop: Header=BB249_4 Depth=1
	v_mov_b64_e32 v[30:31], s[14:15]
	v_mov_b64_e32 v[36:37], s[10:11]
	s_delay_alu instid0(VALU_DEP_2) | instskip(NEXT) | instid1(VALU_DEP_1)
	v_pk_mul_f32 v[30:31], v[20:21], v[30:31] op_sel:[1,0] op_sel_hi:[0,1]
	v_pk_fma_f32 v[38:39], v[20:21], v[36:37], v[30:31]
	v_pk_fma_f32 v[30:31], v[20:21], v[36:37], v[30:31] neg_lo:[0,0,1] neg_hi:[0,0,1]
	s_delay_alu instid0(VALU_DEP_2)
	v_mov_b32_e32 v31, v39
	flat_store_b64 v[28:29], v[30:31]
	s_wait_xcnt 0x0
	s_or_b32 exec_lo, exec_lo, s37
	s_and_saveexec_b32 s37, s3
	s_cbranch_execz .LBB249_18
.LBB249_20:                             ;   in Loop: Header=BB249_4 Depth=1
	v_mov_b64_e32 v[30:31], s[14:15]
	v_mov_b64_e32 v[36:37], s[10:11]
	s_delay_alu instid0(VALU_DEP_2) | instskip(NEXT) | instid1(VALU_DEP_1)
	v_pk_mul_f32 v[30:31], v[24:25], v[30:31] op_sel:[1,0] op_sel_hi:[0,1]
	v_pk_fma_f32 v[38:39], v[24:25], v[36:37], v[30:31]
	v_pk_fma_f32 v[30:31], v[24:25], v[36:37], v[30:31] neg_lo:[0,0,1] neg_hi:[0,0,1]
	s_delay_alu instid0(VALU_DEP_2) | instskip(SKIP_3) | instid1(SALU_CYCLE_1)
	v_mov_b32_e32 v31, v39
	flat_store_b64 v[28:29], v[30:31] offset:128
	s_wait_xcnt 0x0
	s_or_b32 exec_lo, exec_lo, s37
	s_and_b32 exec_lo, exec_lo, s4
	s_cbranch_execz .LBB249_25
.LBB249_21:                             ;   in Loop: Header=BB249_4 Depth=1
	v_lshl_add_u64 v[26:27], s[6:7], 3, v[26:27]
	s_delay_alu instid0(VALU_DEP_1)
	v_lshl_add_u64 v[26:27], v[4:5], 3, v[26:27]
	s_and_saveexec_b32 s37, s2
	s_cbranch_execz .LBB249_23
; %bb.22:                               ;   in Loop: Header=BB249_4 Depth=1
	v_mov_b64_e32 v[28:29], s[14:15]
	v_mov_b64_e32 v[30:31], s[10:11]
	s_delay_alu instid0(VALU_DEP_2) | instskip(NEXT) | instid1(VALU_DEP_1)
	v_pk_mul_f32 v[28:29], v[18:19], v[28:29] op_sel:[1,0] op_sel_hi:[0,1]
	v_pk_fma_f32 v[36:37], v[18:19], v[30:31], v[28:29]
	v_pk_fma_f32 v[28:29], v[18:19], v[30:31], v[28:29] neg_lo:[0,0,1] neg_hi:[0,0,1]
	s_delay_alu instid0(VALU_DEP_2)
	v_mov_b32_e32 v29, v37
	flat_store_b64 v[26:27], v[28:29]
.LBB249_23:                             ;   in Loop: Header=BB249_4 Depth=1
	s_wait_xcnt 0x0
	s_or_b32 exec_lo, exec_lo, s37
	s_delay_alu instid0(SALU_CYCLE_1)
	s_and_b32 exec_lo, exec_lo, s3
	s_cbranch_execz .LBB249_25
; %bb.24:                               ;   in Loop: Header=BB249_4 Depth=1
	v_mov_b64_e32 v[28:29], s[14:15]
	v_mov_b64_e32 v[30:31], s[10:11]
	s_delay_alu instid0(VALU_DEP_2) | instskip(NEXT) | instid1(VALU_DEP_1)
	v_pk_mul_f32 v[28:29], v[14:15], v[28:29] op_sel:[1,0] op_sel_hi:[0,1]
	v_pk_fma_f32 v[36:37], v[14:15], v[30:31], v[28:29]
	v_pk_fma_f32 v[28:29], v[14:15], v[30:31], v[28:29] neg_lo:[0,0,1] neg_hi:[0,0,1]
	s_delay_alu instid0(VALU_DEP_2)
	v_mov_b32_e32 v29, v37
	flat_store_b64 v[26:27], v[28:29] offset:128
.LBB249_25:                             ;   in Loop: Header=BB249_4 Depth=1
	s_wait_xcnt 0x0
	s_or_b32 exec_lo, exec_lo, s36
	s_cbranch_execnz .LBB249_3
.LBB249_26:                             ;   in Loop: Header=BB249_4 Depth=1
	s_and_saveexec_b32 s36, s1
	s_cbranch_execz .LBB249_2
; %bb.27:                               ;   in Loop: Header=BB249_4 Depth=1
	v_add_nc_u64_e32 v[26:27], s[24:25], v[16:17]
	v_lshlrev_b64_e32 v[16:17], 3, v[4:5]
	v_lshl_add_u64 v[22:23], v[6:7], 3, v[22:23]
	s_delay_alu instid0(VALU_DEP_3) | instskip(NEXT) | instid1(VALU_DEP_2)
	v_lshl_add_u64 v[26:27], v[8:9], 3, v[26:27]
	v_add_nc_u64_e32 v[28:29], v[22:23], v[16:17]
	s_delay_alu instid0(VALU_DEP_2)
	v_add_nc_u64_e32 v[30:31], v[26:27], v[16:17]
	s_and_saveexec_b32 s37, s2
	s_cbranch_execnz .LBB249_30
; %bb.28:                               ;   in Loop: Header=BB249_4 Depth=1
	s_or_b32 exec_lo, exec_lo, s37
	s_and_saveexec_b32 s37, s3
	s_cbranch_execnz .LBB249_31
.LBB249_29:                             ;   in Loop: Header=BB249_4 Depth=1
	s_or_b32 exec_lo, exec_lo, s37
	s_delay_alu instid0(SALU_CYCLE_1)
	s_and_b32 exec_lo, exec_lo, s4
	s_cbranch_execz .LBB249_2
	s_branch .LBB249_32
.LBB249_30:                             ;   in Loop: Header=BB249_4 Depth=1
	flat_load_b64 v[36:37], v[30:31]
	v_mov_b64_e32 v[38:39], s[14:15]
	v_mov_b64_e32 v[40:41], s[28:29]
	;; [unrolled: 1-line block ×4, first 2 shown]
	s_delay_alu instid0(VALU_DEP_4) | instskip(NEXT) | instid1(VALU_DEP_1)
	v_pk_mul_f32 v[38:39], v[20:21], v[38:39] op_sel:[1,0] op_sel_hi:[0,1]
	v_pk_fma_f32 v[46:47], v[20:21], v[42:43], v[38:39]
	v_pk_fma_f32 v[20:21], v[20:21], v[42:43], v[38:39] neg_lo:[0,0,1] neg_hi:[0,0,1]
	s_wait_loadcnt_dscnt 0x0
	v_pk_mul_f32 v[40:41], v[36:37], v[40:41] op_sel:[1,0] op_sel_hi:[0,1]
	s_delay_alu instid0(VALU_DEP_1) | instskip(SKIP_1) | instid1(VALU_DEP_2)
	v_pk_fma_f32 v[48:49], v[36:37], v[44:45], v[40:41]
	v_pk_fma_f32 v[36:37], v[36:37], v[44:45], v[40:41] neg_lo:[0,0,1] neg_hi:[0,0,1]
	v_dual_mov_b32 v21, v47 :: v_dual_mov_b32 v37, v49
	s_delay_alu instid0(VALU_DEP_1)
	v_pk_add_f32 v[20:21], v[20:21], v[36:37]
	flat_store_b64 v[28:29], v[20:21]
	s_wait_xcnt 0x0
	s_or_b32 exec_lo, exec_lo, s37
	s_and_saveexec_b32 s37, s3
	s_cbranch_execz .LBB249_29
.LBB249_31:                             ;   in Loop: Header=BB249_4 Depth=1
	flat_load_b64 v[20:21], v[30:31] offset:128
	s_wait_xcnt 0x0
	v_mov_b64_e32 v[30:31], s[14:15]
	v_mov_b64_e32 v[36:37], s[28:29]
	v_mov_b64_e32 v[38:39], s[10:11]
	v_mov_b64_e32 v[40:41], s[40:41]
	s_delay_alu instid0(VALU_DEP_4) | instskip(NEXT) | instid1(VALU_DEP_1)
	v_pk_mul_f32 v[30:31], v[24:25], v[30:31] op_sel:[1,0] op_sel_hi:[0,1]
	v_pk_fma_f32 v[42:43], v[24:25], v[38:39], v[30:31]
	v_pk_fma_f32 v[24:25], v[24:25], v[38:39], v[30:31] neg_lo:[0,0,1] neg_hi:[0,0,1]
	s_wait_loadcnt_dscnt 0x0
	v_pk_mul_f32 v[36:37], v[20:21], v[36:37] op_sel:[1,0] op_sel_hi:[0,1]
	s_delay_alu instid0(VALU_DEP_1) | instskip(SKIP_1) | instid1(VALU_DEP_2)
	v_pk_fma_f32 v[44:45], v[20:21], v[40:41], v[36:37]
	v_pk_fma_f32 v[20:21], v[20:21], v[40:41], v[36:37] neg_lo:[0,0,1] neg_hi:[0,0,1]
	v_dual_mov_b32 v25, v43 :: v_dual_mov_b32 v21, v45
	s_delay_alu instid0(VALU_DEP_1) | instskip(SKIP_3) | instid1(SALU_CYCLE_1)
	v_pk_add_f32 v[20:21], v[24:25], v[20:21]
	flat_store_b64 v[28:29], v[20:21] offset:128
	s_wait_xcnt 0x0
	s_or_b32 exec_lo, exec_lo, s37
	s_and_b32 exec_lo, exec_lo, s4
	s_cbranch_execz .LBB249_2
.LBB249_32:                             ;   in Loop: Header=BB249_4 Depth=1
	v_lshl_add_u64 v[20:21], s[16:17], 3, v[26:27]
	v_lshl_add_u64 v[22:23], s[6:7], 3, v[22:23]
	s_delay_alu instid0(VALU_DEP_2) | instskip(NEXT) | instid1(VALU_DEP_2)
	v_add_nc_u64_e32 v[20:21], v[20:21], v[16:17]
	v_add_nc_u64_e32 v[16:17], v[22:23], v[16:17]
	s_and_saveexec_b32 s37, s2
	s_cbranch_execz .LBB249_34
; %bb.33:                               ;   in Loop: Header=BB249_4 Depth=1
	flat_load_b64 v[22:23], v[20:21]
	v_mov_b64_e32 v[24:25], s[14:15]
	v_mov_b64_e32 v[26:27], s[28:29]
	v_mov_b64_e32 v[28:29], s[10:11]
	v_mov_b64_e32 v[30:31], s[40:41]
	s_delay_alu instid0(VALU_DEP_4) | instskip(NEXT) | instid1(VALU_DEP_1)
	v_pk_mul_f32 v[24:25], v[18:19], v[24:25] op_sel:[1,0] op_sel_hi:[0,1]
	v_pk_fma_f32 v[36:37], v[18:19], v[28:29], v[24:25]
	v_pk_fma_f32 v[18:19], v[18:19], v[28:29], v[24:25] neg_lo:[0,0,1] neg_hi:[0,0,1]
	s_wait_loadcnt_dscnt 0x0
	v_pk_mul_f32 v[26:27], v[22:23], v[26:27] op_sel:[1,0] op_sel_hi:[0,1]
	s_delay_alu instid0(VALU_DEP_1) | instskip(SKIP_1) | instid1(VALU_DEP_2)
	v_pk_fma_f32 v[38:39], v[22:23], v[30:31], v[26:27]
	v_pk_fma_f32 v[22:23], v[22:23], v[30:31], v[26:27] neg_lo:[0,0,1] neg_hi:[0,0,1]
	v_dual_mov_b32 v19, v37 :: v_dual_mov_b32 v23, v39
	s_delay_alu instid0(VALU_DEP_1)
	v_pk_add_f32 v[18:19], v[18:19], v[22:23]
	flat_store_b64 v[16:17], v[18:19]
.LBB249_34:                             ;   in Loop: Header=BB249_4 Depth=1
	s_wait_xcnt 0x0
	s_or_b32 exec_lo, exec_lo, s37
	s_delay_alu instid0(SALU_CYCLE_1)
	s_and_b32 exec_lo, exec_lo, s3
	s_cbranch_execz .LBB249_2
; %bb.35:                               ;   in Loop: Header=BB249_4 Depth=1
	flat_load_b64 v[18:19], v[20:21] offset:128
	s_wait_xcnt 0x0
	v_mov_b64_e32 v[20:21], s[14:15]
	v_mov_b64_e32 v[22:23], s[28:29]
	;; [unrolled: 1-line block ×4, first 2 shown]
	s_delay_alu instid0(VALU_DEP_4) | instskip(NEXT) | instid1(VALU_DEP_1)
	v_pk_mul_f32 v[20:21], v[14:15], v[20:21] op_sel:[1,0] op_sel_hi:[0,1]
	v_pk_fma_f32 v[28:29], v[14:15], v[24:25], v[20:21]
	v_pk_fma_f32 v[14:15], v[14:15], v[24:25], v[20:21] neg_lo:[0,0,1] neg_hi:[0,0,1]
	s_wait_loadcnt_dscnt 0x0
	v_pk_mul_f32 v[22:23], v[18:19], v[22:23] op_sel:[1,0] op_sel_hi:[0,1]
	s_delay_alu instid0(VALU_DEP_1) | instskip(SKIP_1) | instid1(VALU_DEP_2)
	v_pk_fma_f32 v[30:31], v[18:19], v[26:27], v[22:23]
	v_pk_fma_f32 v[18:19], v[18:19], v[26:27], v[22:23] neg_lo:[0,0,1] neg_hi:[0,0,1]
	v_dual_mov_b32 v15, v29 :: v_dual_mov_b32 v19, v31
	s_delay_alu instid0(VALU_DEP_1)
	v_pk_add_f32 v[14:15], v[14:15], v[18:19]
	flat_store_b64 v[16:17], v[14:15] offset:128
	s_branch .LBB249_2
.LBB249_36:
	s_sendmsg sendmsg(MSG_DEALLOC_VGPRS)
	s_endpgm
	.section	.rodata,"a",@progbits
	.p2align	6, 0x0
	.amdhsa_kernel _ZN12_GLOBAL__N_135rocblas_gemm_batched_general_kernelI19rocblas_complex_numIfELi16ELi16ELi32ELi32ELi8ELi32ELi8ELi8ELi32ELc84ELc67EKPKS2_S5_KPS2_EEvlllT_PT11_llSA_llS8_PT12_llPT13_lli
		.amdhsa_group_segment_fixed_size 4096
		.amdhsa_private_segment_fixed_size 0
		.amdhsa_kernarg_size 140
		.amdhsa_user_sgpr_count 2
		.amdhsa_user_sgpr_dispatch_ptr 0
		.amdhsa_user_sgpr_queue_ptr 0
		.amdhsa_user_sgpr_kernarg_segment_ptr 1
		.amdhsa_user_sgpr_dispatch_id 0
		.amdhsa_user_sgpr_kernarg_preload_length 0
		.amdhsa_user_sgpr_kernarg_preload_offset 0
		.amdhsa_user_sgpr_private_segment_size 0
		.amdhsa_wavefront_size32 1
		.amdhsa_uses_dynamic_stack 0
		.amdhsa_enable_private_segment 0
		.amdhsa_system_sgpr_workgroup_id_x 1
		.amdhsa_system_sgpr_workgroup_id_y 1
		.amdhsa_system_sgpr_workgroup_id_z 1
		.amdhsa_system_sgpr_workgroup_info 0
		.amdhsa_system_vgpr_workitem_id 1
		.amdhsa_next_free_vgpr 114
		.amdhsa_next_free_sgpr 46
		.amdhsa_named_barrier_count 0
		.amdhsa_reserve_vcc 1
		.amdhsa_float_round_mode_32 0
		.amdhsa_float_round_mode_16_64 0
		.amdhsa_float_denorm_mode_32 3
		.amdhsa_float_denorm_mode_16_64 3
		.amdhsa_fp16_overflow 0
		.amdhsa_memory_ordered 1
		.amdhsa_forward_progress 1
		.amdhsa_inst_pref_size 28
		.amdhsa_round_robin_scheduling 0
		.amdhsa_exception_fp_ieee_invalid_op 0
		.amdhsa_exception_fp_denorm_src 0
		.amdhsa_exception_fp_ieee_div_zero 0
		.amdhsa_exception_fp_ieee_overflow 0
		.amdhsa_exception_fp_ieee_underflow 0
		.amdhsa_exception_fp_ieee_inexact 0
		.amdhsa_exception_int_div_zero 0
	.end_amdhsa_kernel
	.section	.text._ZN12_GLOBAL__N_135rocblas_gemm_batched_general_kernelI19rocblas_complex_numIfELi16ELi16ELi32ELi32ELi8ELi32ELi8ELi8ELi32ELc84ELc67EKPKS2_S5_KPS2_EEvlllT_PT11_llSA_llS8_PT12_llPT13_lli,"axG",@progbits,_ZN12_GLOBAL__N_135rocblas_gemm_batched_general_kernelI19rocblas_complex_numIfELi16ELi16ELi32ELi32ELi8ELi32ELi8ELi8ELi32ELc84ELc67EKPKS2_S5_KPS2_EEvlllT_PT11_llSA_llS8_PT12_llPT13_lli,comdat
.Lfunc_end249:
	.size	_ZN12_GLOBAL__N_135rocblas_gemm_batched_general_kernelI19rocblas_complex_numIfELi16ELi16ELi32ELi32ELi8ELi32ELi8ELi8ELi32ELc84ELc67EKPKS2_S5_KPS2_EEvlllT_PT11_llSA_llS8_PT12_llPT13_lli, .Lfunc_end249-_ZN12_GLOBAL__N_135rocblas_gemm_batched_general_kernelI19rocblas_complex_numIfELi16ELi16ELi32ELi32ELi8ELi32ELi8ELi8ELi32ELc84ELc67EKPKS2_S5_KPS2_EEvlllT_PT11_llSA_llS8_PT12_llPT13_lli
                                        ; -- End function
	.set _ZN12_GLOBAL__N_135rocblas_gemm_batched_general_kernelI19rocblas_complex_numIfELi16ELi16ELi32ELi32ELi8ELi32ELi8ELi8ELi32ELc84ELc67EKPKS2_S5_KPS2_EEvlllT_PT11_llSA_llS8_PT12_llPT13_lli.num_vgpr, 114
	.set _ZN12_GLOBAL__N_135rocblas_gemm_batched_general_kernelI19rocblas_complex_numIfELi16ELi16ELi32ELi32ELi8ELi32ELi8ELi8ELi32ELc84ELc67EKPKS2_S5_KPS2_EEvlllT_PT11_llSA_llS8_PT12_llPT13_lli.num_agpr, 0
	.set _ZN12_GLOBAL__N_135rocblas_gemm_batched_general_kernelI19rocblas_complex_numIfELi16ELi16ELi32ELi32ELi8ELi32ELi8ELi8ELi32ELc84ELc67EKPKS2_S5_KPS2_EEvlllT_PT11_llSA_llS8_PT12_llPT13_lli.numbered_sgpr, 46
	.set _ZN12_GLOBAL__N_135rocblas_gemm_batched_general_kernelI19rocblas_complex_numIfELi16ELi16ELi32ELi32ELi8ELi32ELi8ELi8ELi32ELc84ELc67EKPKS2_S5_KPS2_EEvlllT_PT11_llSA_llS8_PT12_llPT13_lli.num_named_barrier, 0
	.set _ZN12_GLOBAL__N_135rocblas_gemm_batched_general_kernelI19rocblas_complex_numIfELi16ELi16ELi32ELi32ELi8ELi32ELi8ELi8ELi32ELc84ELc67EKPKS2_S5_KPS2_EEvlllT_PT11_llSA_llS8_PT12_llPT13_lli.private_seg_size, 0
	.set _ZN12_GLOBAL__N_135rocblas_gemm_batched_general_kernelI19rocblas_complex_numIfELi16ELi16ELi32ELi32ELi8ELi32ELi8ELi8ELi32ELc84ELc67EKPKS2_S5_KPS2_EEvlllT_PT11_llSA_llS8_PT12_llPT13_lli.uses_vcc, 1
	.set _ZN12_GLOBAL__N_135rocblas_gemm_batched_general_kernelI19rocblas_complex_numIfELi16ELi16ELi32ELi32ELi8ELi32ELi8ELi8ELi32ELc84ELc67EKPKS2_S5_KPS2_EEvlllT_PT11_llSA_llS8_PT12_llPT13_lli.uses_flat_scratch, 0
	.set _ZN12_GLOBAL__N_135rocblas_gemm_batched_general_kernelI19rocblas_complex_numIfELi16ELi16ELi32ELi32ELi8ELi32ELi8ELi8ELi32ELc84ELc67EKPKS2_S5_KPS2_EEvlllT_PT11_llSA_llS8_PT12_llPT13_lli.has_dyn_sized_stack, 0
	.set _ZN12_GLOBAL__N_135rocblas_gemm_batched_general_kernelI19rocblas_complex_numIfELi16ELi16ELi32ELi32ELi8ELi32ELi8ELi8ELi32ELc84ELc67EKPKS2_S5_KPS2_EEvlllT_PT11_llSA_llS8_PT12_llPT13_lli.has_recursion, 0
	.set _ZN12_GLOBAL__N_135rocblas_gemm_batched_general_kernelI19rocblas_complex_numIfELi16ELi16ELi32ELi32ELi8ELi32ELi8ELi8ELi32ELc84ELc67EKPKS2_S5_KPS2_EEvlllT_PT11_llSA_llS8_PT12_llPT13_lli.has_indirect_call, 0
	.section	.AMDGPU.csdata,"",@progbits
; Kernel info:
; codeLenInByte = 3488
; TotalNumSgprs: 48
; NumVgprs: 114
; ScratchSize: 0
; MemoryBound: 0
; FloatMode: 240
; IeeeMode: 1
; LDSByteSize: 4096 bytes/workgroup (compile time only)
; SGPRBlocks: 0
; VGPRBlocks: 7
; NumSGPRsForWavesPerEU: 48
; NumVGPRsForWavesPerEU: 114
; NamedBarCnt: 0
; Occupancy: 8
; WaveLimiterHint : 1
; COMPUTE_PGM_RSRC2:SCRATCH_EN: 0
; COMPUTE_PGM_RSRC2:USER_SGPR: 2
; COMPUTE_PGM_RSRC2:TRAP_HANDLER: 0
; COMPUTE_PGM_RSRC2:TGID_X_EN: 1
; COMPUTE_PGM_RSRC2:TGID_Y_EN: 1
; COMPUTE_PGM_RSRC2:TGID_Z_EN: 1
; COMPUTE_PGM_RSRC2:TIDIG_COMP_CNT: 1
	.section	.text._ZN12_GLOBAL__N_120gemm_ex_scale_kernelILi32ELi32E19rocblas_complex_numIdEPKPKS2_PKPS2_EEviiT1_T2_lllT3_llli,"axG",@progbits,_ZN12_GLOBAL__N_120gemm_ex_scale_kernelILi32ELi32E19rocblas_complex_numIdEPKPKS2_PKPS2_EEviiT1_T2_lllT3_llli,comdat
	.globl	_ZN12_GLOBAL__N_120gemm_ex_scale_kernelILi32ELi32E19rocblas_complex_numIdEPKPKS2_PKPS2_EEviiT1_T2_lllT3_llli ; -- Begin function _ZN12_GLOBAL__N_120gemm_ex_scale_kernelILi32ELi32E19rocblas_complex_numIdEPKPKS2_PKPS2_EEviiT1_T2_lllT3_llli
	.p2align	8
	.type	_ZN12_GLOBAL__N_120gemm_ex_scale_kernelILi32ELi32E19rocblas_complex_numIdEPKPKS2_PKPS2_EEviiT1_T2_lllT3_llli,@function
_ZN12_GLOBAL__N_120gemm_ex_scale_kernelILi32ELi32E19rocblas_complex_numIdEPKPKS2_PKPS2_EEviiT1_T2_lllT3_llli: ; @_ZN12_GLOBAL__N_120gemm_ex_scale_kernelILi32ELi32E19rocblas_complex_numIdEPKPKS2_PKPS2_EEviiT1_T2_lllT3_llli
; %bb.0:
	s_load_b32 s16, s[0:1], 0x58
	s_bfe_u32 s2, ttmp6, 0x40014
	s_lshr_b32 s3, ttmp7, 16
	s_add_co_i32 s2, s2, 1
	s_bfe_u32 s4, ttmp6, 0x40008
	s_mul_i32 s2, s3, s2
	s_getreg_b32 s12, hwreg(HW_REG_IB_STS2, 6, 4)
	s_add_co_i32 s4, s4, s2
	s_cmp_eq_u32 s12, 0
	s_cselect_b32 s2, s3, s4
	s_mov_b32 s3, 0
	s_wait_kmcnt 0x0
	s_cmp_ge_u32 s2, s16
	s_cbranch_scc1 .LBB250_9
; %bb.1:
	s_clause 0x2
	s_load_b256 s[4:11], s[0:1], 0x8
	s_load_b64 s[18:19], s[0:1], 0x28
	s_load_b64 s[20:21], s[0:1], 0x48
	s_bfe_u32 s17, ttmp6, 0x40010
	s_bfe_u32 s24, ttmp6, 0x4000c
	s_and_b32 s15, ttmp7, 0xffff
	s_add_co_i32 s17, s17, 1
	s_add_co_i32 s24, s24, 1
	s_bfe_u32 s22, ttmp6, 0x40004
	s_and_b32 s23, ttmp6, 15
	s_mul_i32 s17, s15, s17
	s_mul_i32 s24, ttmp9, s24
	v_bfe_u32 v1, v0, 10, 10
	s_add_co_i32 s22, s22, s17
	s_add_co_i32 s23, s23, s24
	v_mov_b32_e32 v3, 0
	v_and_b32_e32 v0, 0x3ff, v0
	s_delay_alu instid0(VALU_DEP_2)
	v_mov_b32_e32 v9, v3
	s_wait_kmcnt 0x0
	v_cmp_neq_f64_e64 s13, s[4:5], 0
	v_cmp_neq_f64_e64 s14, s[6:7], 0
	s_or_b32 s17, s13, s14
	s_cmp_eq_u32 s12, 0
	s_cselect_b32 s12, s15, s22
	s_delay_alu instid0(SALU_CYCLE_1) | instskip(SKIP_1) | instid1(VALU_DEP_1)
	v_lshl_add_u32 v2, s12, 5, v1
	s_load_b128 s[12:15], s[0:1], 0x38
	v_mul_u64_e32 v[4:5], s[18:19], v[2:3]
	v_mul_u64_e32 v[6:7], s[20:21], v[2:3]
	s_wait_xcnt 0x0
	s_load_b64 s[0:1], s[0:1], 0x0
	s_cselect_b32 s18, ttmp9, s23
	s_delay_alu instid0(SALU_CYCLE_1) | instskip(SKIP_1) | instid1(VALU_DEP_1)
	v_lshl_add_u32 v8, s18, 5, v0
	s_wait_kmcnt 0x0
	v_cmp_gt_u32_e32 vcc_lo, s0, v8
	v_cmp_gt_u32_e64 s0, s1, v2
	s_and_b32 s18, vcc_lo, s0
	s_lshl_b64 s[0:1], s[10:11], 4
	s_lshl_b64 s[10:11], s[14:15], 4
	s_branch .LBB250_4
.LBB250_2:                              ;   in Loop: Header=BB250_4 Depth=1
	s_lshl_b64 s[14:15], s[2:3], 3
	s_delay_alu instid0(SALU_CYCLE_1) | instskip(SKIP_4) | instid1(SALU_CYCLE_1)
	s_add_nc_u64 s[14:15], s[12:13], s[14:15]
	s_load_b64 s[14:15], s[14:15], 0x0
	s_wait_kmcnt 0x0
	s_wait_xcnt 0x0
	s_add_nc_u64 s[14:15], s[14:15], s[10:11]
	v_lshl_add_u64 v[10:11], v[6:7], 4, s[14:15]
	s_delay_alu instid0(VALU_DEP_1)
	v_lshl_add_u64 v[10:11], v[8:9], 4, v[10:11]
	flat_store_b128 v[10:11], v[0:3]
.LBB250_3:                              ;   in Loop: Header=BB250_4 Depth=1
	s_wait_xcnt 0x0
	s_or_b32 exec_lo, exec_lo, s19
	s_add_co_i32 s2, s2, 0x10000
	s_delay_alu instid0(SALU_CYCLE_1)
	s_cmp_lt_u32 s2, s16
	s_cbranch_scc0 .LBB250_9
.LBB250_4:                              ; =>This Inner Loop Header: Depth=1
	s_and_not1_b32 vcc_lo, exec_lo, s17
	s_mov_b64 s[14:15], 0
	s_cbranch_vccz .LBB250_6
; %bb.5:                                ;   in Loop: Header=BB250_4 Depth=1
	s_and_saveexec_b32 s19, s18
	s_cbranch_execz .LBB250_3
	s_branch .LBB250_7
.LBB250_6:                              ;   in Loop: Header=BB250_4 Depth=1
	s_lshl_b64 s[14:15], s[2:3], 3
	s_delay_alu instid0(SALU_CYCLE_1)
	s_add_nc_u64 s[14:15], s[8:9], s[14:15]
	s_load_b64 s[14:15], s[14:15], 0x0
	s_wait_kmcnt 0x0
	s_wait_xcnt 0x0
	s_add_nc_u64 s[14:15], s[14:15], s[0:1]
	s_and_saveexec_b32 s19, s18
	s_cbranch_execz .LBB250_3
.LBB250_7:                              ;   in Loop: Header=BB250_4 Depth=1
	v_mov_b64_e32 v[2:3], 0
	v_mov_b64_e32 v[0:1], 0
	s_and_not1_b32 vcc_lo, exec_lo, s17
	s_cbranch_vccnz .LBB250_2
; %bb.8:                                ;   in Loop: Header=BB250_4 Depth=1
	v_lshl_add_u64 v[0:1], v[4:5], 4, s[14:15]
	s_delay_alu instid0(VALU_DEP_1)
	v_lshl_add_u64 v[0:1], v[8:9], 4, v[0:1]
	flat_load_b128 v[10:13], v[0:1]
	s_wait_loadcnt_dscnt 0x0
	s_wait_xcnt 0x0
	v_mul_f64_e32 v[0:1], s[6:7], v[12:13]
	v_mul_f64_e32 v[2:3], s[4:5], v[12:13]
	s_delay_alu instid0(VALU_DEP_2) | instskip(NEXT) | instid1(VALU_DEP_2)
	v_fma_f64 v[0:1], s[4:5], v[10:11], -v[0:1]
	v_fmac_f64_e32 v[2:3], s[6:7], v[10:11]
	s_branch .LBB250_2
.LBB250_9:
	s_endpgm
	.section	.rodata,"a",@progbits
	.p2align	6, 0x0
	.amdhsa_kernel _ZN12_GLOBAL__N_120gemm_ex_scale_kernelILi32ELi32E19rocblas_complex_numIdEPKPKS2_PKPS2_EEviiT1_T2_lllT3_llli
		.amdhsa_group_segment_fixed_size 0
		.amdhsa_private_segment_fixed_size 0
		.amdhsa_kernarg_size 92
		.amdhsa_user_sgpr_count 2
		.amdhsa_user_sgpr_dispatch_ptr 0
		.amdhsa_user_sgpr_queue_ptr 0
		.amdhsa_user_sgpr_kernarg_segment_ptr 1
		.amdhsa_user_sgpr_dispatch_id 0
		.amdhsa_user_sgpr_kernarg_preload_length 0
		.amdhsa_user_sgpr_kernarg_preload_offset 0
		.amdhsa_user_sgpr_private_segment_size 0
		.amdhsa_wavefront_size32 1
		.amdhsa_uses_dynamic_stack 0
		.amdhsa_enable_private_segment 0
		.amdhsa_system_sgpr_workgroup_id_x 1
		.amdhsa_system_sgpr_workgroup_id_y 1
		.amdhsa_system_sgpr_workgroup_id_z 1
		.amdhsa_system_sgpr_workgroup_info 0
		.amdhsa_system_vgpr_workitem_id 1
		.amdhsa_next_free_vgpr 14
		.amdhsa_next_free_sgpr 25
		.amdhsa_named_barrier_count 0
		.amdhsa_reserve_vcc 1
		.amdhsa_float_round_mode_32 0
		.amdhsa_float_round_mode_16_64 0
		.amdhsa_float_denorm_mode_32 3
		.amdhsa_float_denorm_mode_16_64 3
		.amdhsa_fp16_overflow 0
		.amdhsa_memory_ordered 1
		.amdhsa_forward_progress 1
		.amdhsa_inst_pref_size 5
		.amdhsa_round_robin_scheduling 0
		.amdhsa_exception_fp_ieee_invalid_op 0
		.amdhsa_exception_fp_denorm_src 0
		.amdhsa_exception_fp_ieee_div_zero 0
		.amdhsa_exception_fp_ieee_overflow 0
		.amdhsa_exception_fp_ieee_underflow 0
		.amdhsa_exception_fp_ieee_inexact 0
		.amdhsa_exception_int_div_zero 0
	.end_amdhsa_kernel
	.section	.text._ZN12_GLOBAL__N_120gemm_ex_scale_kernelILi32ELi32E19rocblas_complex_numIdEPKPKS2_PKPS2_EEviiT1_T2_lllT3_llli,"axG",@progbits,_ZN12_GLOBAL__N_120gemm_ex_scale_kernelILi32ELi32E19rocblas_complex_numIdEPKPKS2_PKPS2_EEviiT1_T2_lllT3_llli,comdat
.Lfunc_end250:
	.size	_ZN12_GLOBAL__N_120gemm_ex_scale_kernelILi32ELi32E19rocblas_complex_numIdEPKPKS2_PKPS2_EEviiT1_T2_lllT3_llli, .Lfunc_end250-_ZN12_GLOBAL__N_120gemm_ex_scale_kernelILi32ELi32E19rocblas_complex_numIdEPKPKS2_PKPS2_EEviiT1_T2_lllT3_llli
                                        ; -- End function
	.set _ZN12_GLOBAL__N_120gemm_ex_scale_kernelILi32ELi32E19rocblas_complex_numIdEPKPKS2_PKPS2_EEviiT1_T2_lllT3_llli.num_vgpr, 14
	.set _ZN12_GLOBAL__N_120gemm_ex_scale_kernelILi32ELi32E19rocblas_complex_numIdEPKPKS2_PKPS2_EEviiT1_T2_lllT3_llli.num_agpr, 0
	.set _ZN12_GLOBAL__N_120gemm_ex_scale_kernelILi32ELi32E19rocblas_complex_numIdEPKPKS2_PKPS2_EEviiT1_T2_lllT3_llli.numbered_sgpr, 25
	.set _ZN12_GLOBAL__N_120gemm_ex_scale_kernelILi32ELi32E19rocblas_complex_numIdEPKPKS2_PKPS2_EEviiT1_T2_lllT3_llli.num_named_barrier, 0
	.set _ZN12_GLOBAL__N_120gemm_ex_scale_kernelILi32ELi32E19rocblas_complex_numIdEPKPKS2_PKPS2_EEviiT1_T2_lllT3_llli.private_seg_size, 0
	.set _ZN12_GLOBAL__N_120gemm_ex_scale_kernelILi32ELi32E19rocblas_complex_numIdEPKPKS2_PKPS2_EEviiT1_T2_lllT3_llli.uses_vcc, 1
	.set _ZN12_GLOBAL__N_120gemm_ex_scale_kernelILi32ELi32E19rocblas_complex_numIdEPKPKS2_PKPS2_EEviiT1_T2_lllT3_llli.uses_flat_scratch, 0
	.set _ZN12_GLOBAL__N_120gemm_ex_scale_kernelILi32ELi32E19rocblas_complex_numIdEPKPKS2_PKPS2_EEviiT1_T2_lllT3_llli.has_dyn_sized_stack, 0
	.set _ZN12_GLOBAL__N_120gemm_ex_scale_kernelILi32ELi32E19rocblas_complex_numIdEPKPKS2_PKPS2_EEviiT1_T2_lllT3_llli.has_recursion, 0
	.set _ZN12_GLOBAL__N_120gemm_ex_scale_kernelILi32ELi32E19rocblas_complex_numIdEPKPKS2_PKPS2_EEviiT1_T2_lllT3_llli.has_indirect_call, 0
	.section	.AMDGPU.csdata,"",@progbits
; Kernel info:
; codeLenInByte = 548
; TotalNumSgprs: 27
; NumVgprs: 14
; ScratchSize: 0
; MemoryBound: 0
; FloatMode: 240
; IeeeMode: 1
; LDSByteSize: 0 bytes/workgroup (compile time only)
; SGPRBlocks: 0
; VGPRBlocks: 0
; NumSGPRsForWavesPerEU: 27
; NumVGPRsForWavesPerEU: 14
; NamedBarCnt: 0
; Occupancy: 16
; WaveLimiterHint : 1
; COMPUTE_PGM_RSRC2:SCRATCH_EN: 0
; COMPUTE_PGM_RSRC2:USER_SGPR: 2
; COMPUTE_PGM_RSRC2:TRAP_HANDLER: 0
; COMPUTE_PGM_RSRC2:TGID_X_EN: 1
; COMPUTE_PGM_RSRC2:TGID_Y_EN: 1
; COMPUTE_PGM_RSRC2:TGID_Z_EN: 1
; COMPUTE_PGM_RSRC2:TIDIG_COMP_CNT: 1
	.section	.text._ZN12_GLOBAL__N_127rocblas_gemm_batched_kernelI19rocblas_complex_numIdELi16ELi16ELi64ELi64ELi4ELi64ELi4ELi4ELi64ELc78ELc78EKPKS2_S5_KPS2_EEvlllT_PT11_llSA_llS8_PT12_llPT13_lli,"axG",@progbits,_ZN12_GLOBAL__N_127rocblas_gemm_batched_kernelI19rocblas_complex_numIdELi16ELi16ELi64ELi64ELi4ELi64ELi4ELi4ELi64ELc78ELc78EKPKS2_S5_KPS2_EEvlllT_PT11_llSA_llS8_PT12_llPT13_lli,comdat
	.globl	_ZN12_GLOBAL__N_127rocblas_gemm_batched_kernelI19rocblas_complex_numIdELi16ELi16ELi64ELi64ELi4ELi64ELi4ELi4ELi64ELc78ELc78EKPKS2_S5_KPS2_EEvlllT_PT11_llSA_llS8_PT12_llPT13_lli ; -- Begin function _ZN12_GLOBAL__N_127rocblas_gemm_batched_kernelI19rocblas_complex_numIdELi16ELi16ELi64ELi64ELi4ELi64ELi4ELi4ELi64ELc78ELc78EKPKS2_S5_KPS2_EEvlllT_PT11_llSA_llS8_PT12_llPT13_lli
	.p2align	8
	.type	_ZN12_GLOBAL__N_127rocblas_gemm_batched_kernelI19rocblas_complex_numIdELi16ELi16ELi64ELi64ELi4ELi64ELi4ELi4ELi64ELc78ELc78EKPKS2_S5_KPS2_EEvlllT_PT11_llSA_llS8_PT12_llPT13_lli,@function
_ZN12_GLOBAL__N_127rocblas_gemm_batched_kernelI19rocblas_complex_numIdELi16ELi16ELi64ELi64ELi4ELi64ELi4ELi4ELi64ELc78ELc78EKPKS2_S5_KPS2_EEvlllT_PT11_llSA_llS8_PT12_llPT13_lli: ; @_ZN12_GLOBAL__N_127rocblas_gemm_batched_kernelI19rocblas_complex_numIdELi16ELi16ELi64ELi64ELi4ELi64ELi4ELi4ELi64ELc78ELc78EKPKS2_S5_KPS2_EEvlllT_PT11_llSA_llS8_PT12_llPT13_lli
; %bb.0:
	s_load_b32 s26, s[0:1], 0x98
	s_bfe_u32 s2, ttmp6, 0x40014
	s_lshr_b32 s3, ttmp7, 16
	s_add_co_i32 s2, s2, 1
	s_bfe_u32 s4, ttmp6, 0x40008
	s_mul_i32 s2, s3, s2
	s_getreg_b32 s20, hwreg(HW_REG_IB_STS2, 6, 4)
	s_add_co_i32 s4, s4, s2
	s_cmp_eq_u32 s20, 0
	s_cselect_b32 s2, s3, s4
	s_mov_b32 s3, 0
	s_wait_kmcnt 0x0
	s_cmp_ge_i32 s2, s26
	s_cbranch_scc1 .LBB251_11
; %bb.1:
	v_bfe_u32 v24, v0, 10, 10
	v_and_b32_e32 v2, 0x3ff, v0
	s_bfe_u32 s22, ttmp6, 0x4000c
	s_bfe_u32 s23, ttmp6, 0x40010
	s_clause 0x1
	s_load_b512 s[4:19], s[0:1], 0x10
	s_load_b512 s[36:51], s[0:1], 0x50
	s_add_co_i32 s22, s22, 1
	s_and_b32 s24, ttmp7, 0xffff
	s_add_co_i32 s23, s23, 1
	v_lshl_add_u32 v1, v24, 4, v2
	v_mov_b32_e32 v25, 0
	s_and_b32 s21, ttmp6, 15
	s_mul_i32 s22, ttmp9, s22
	s_mul_i32 s23, s24, s23
	s_bfe_u32 s25, ttmp6, 0x40004
	s_add_co_i32 s21, s21, s22
	s_add_co_i32 s25, s25, s23
	s_cmp_eq_u32 s20, 0
	v_dual_mov_b32 v5, v25 :: v_dual_lshrrev_b32 v4, 2, v1
	v_lshlrev_b32_e32 v3, 4, v0
	s_cselect_b32 s22, s24, s25
	s_cselect_b32 s20, ttmp9, s21
	s_lshl_b32 s22, s22, 6
	s_mov_b32 s23, s3
	s_ashr_i32 s21, s20, 31
	v_add_nc_u64_e32 v[6:7], s[22:23], v[4:5]
	v_dual_lshrrev_b32 v5, 6, v1 :: v_dual_bitop2_b32 v0, 63, v1 bitop3:0x40
	s_lshl_b64 s[20:21], s[20:21], 6
	v_add_nc_u64_e32 v[10:11], s[22:23], v[24:25]
	s_wait_kmcnt 0x0
	v_cmp_eq_f64_e64 s24, s[38:39], 0
	v_mad_nc_u64_u32 v[8:9], s12, v5, s[20:21]
	v_mul_u64_e32 v[6:7], s[18:19], v[6:7]
	v_cmp_eq_f64_e64 s25, s[40:41], 0
	v_mov_b32_e32 v1, v25
	s_load_b64 s[18:19], s[0:1], 0x90
	v_mul_u64_e32 v[26:27], s[50:51], v[10:11]
	v_mul_u64_e32 v[28:29], s[44:45], v[10:11]
	v_dual_mov_b32 v3, v25 :: v_dual_bitop2_b32 v10, 48, v3 bitop3:0x40
	v_lshlrev_b32_e32 v11, 4, v0
	s_wait_xcnt 0x0
	v_cmp_gt_i64_e64 s0, s[4:5], 0
	v_mad_u32 v9, s13, v5, v9
	v_lshl_or_b32 v4, v4, 6, v10
	v_add_nc_u64_e32 v[30:31], s[20:21], v[2:3]
	s_lshl_b64 s[20:21], s[36:37], 4
	v_lshlrev_b32_e32 v104, 4, v2
	v_lshl_or_b32 v105, v5, 10, v11
	v_dual_mov_b32 v11, v25 :: v_dual_add_nc_u32 v106, 0x1000, v4
	v_cndmask_b32_e64 v4, 0, 1, s0
	v_lshl_add_u32 v24, v24, 6, 0x1000
	s_lshl_b64 s[22:23], s[50:51], 4
	v_add_nc_u64_e32 v[0:1], v[8:9], v[0:1]
	s_lshl_b64 s[12:13], s[12:13], 6
	v_cmp_ne_u32_e64 s0, 1, v4
	s_lshl_b64 s[22:23], s[22:23], 4
	v_lshlrev_b64_e32 v[0:1], 4, v[0:1]
	v_lshl_add_u64 v[2:3], v[6:7], 4, s[20:21]
	s_and_b32 s1, s24, s25
	s_lshl_b64 s[24:25], s[44:45], 4
	s_delay_alu instid0(VALU_DEP_2)
	v_lshl_add_u64 v[32:33], s[14:15], 4, v[0:1]
	s_wait_kmcnt 0x0
	s_lshl_b64 s[14:15], s[18:19], 4
	v_add_nc_u64_e32 v[34:35], v[2:3], v[10:11]
	s_lshl_b64 s[18:19], s[46:47], 4
	s_lshl_b64 s[20:21], s[24:25], 4
	s_branch .LBB251_3
.LBB251_2:                              ;   in Loop: Header=BB251_3 Depth=1
	s_add_co_i32 s2, s2, 0x10000
	flat_store_b64 v[4:5], v[2:3] offset:8
	s_cmp_lt_i32 s2, s26
	s_cbranch_scc0 .LBB251_11
.LBB251_3:                              ; =>This Loop Header: Depth=1
                                        ;     Child Loop BB251_5 Depth 2
	s_wait_xcnt 0x1
	v_mov_b32_e32 v0, s2
	s_and_b32 vcc_lo, exec_lo, s0
	s_clause 0x1
	global_load_b64 v[36:37], v0, s[42:43] scale_offset
	global_load_b64 v[38:39], v0, s[48:49] scale_offset
	s_cbranch_vccnz .LBB251_8
; %bb.4:                                ;   in Loop: Header=BB251_3 Depth=1
	s_lshl_b64 s[24:25], s[2:3], 3
	v_mov_b64_e32 v[90:91], 0
	s_add_nc_u64 s[28:29], s[10:11], s[24:25]
	s_add_nc_u64 s[24:25], s[16:17], s[24:25]
	s_clause 0x1
	global_load_b64 v[0:1], v25, s[28:29]
	global_load_b64 v[2:3], v25, s[24:25]
	v_mov_b64_e32 v[88:89], 0
	v_mov_b64_e32 v[10:11], 0
	v_mov_b64_e32 v[8:9], 0
	v_mov_b64_e32 v[14:15], 0
	v_mov_b64_e32 v[12:13], 0
	v_mov_b64_e32 v[18:19], 0
	v_mov_b64_e32 v[16:17], 0
	v_mov_b64_e32 v[54:55], 0
	v_mov_b64_e32 v[50:51], 0
	v_mov_b64_e32 v[62:63], 0
	v_mov_b64_e32 v[58:59], 0
	v_mov_b64_e32 v[74:75], 0
	v_mov_b64_e32 v[70:71], 0
	v_mov_b64_e32 v[82:83], 0
	v_mov_b64_e32 v[78:79], 0
	v_mov_b64_e32 v[60:61], 0
	v_mov_b64_e32 v[56:57], 0
	v_mov_b64_e32 v[72:73], 0
	v_mov_b64_e32 v[68:69], 0
	v_mov_b64_e32 v[80:81], 0
	v_mov_b64_e32 v[76:77], 0
	v_mov_b64_e32 v[86:87], 0
	v_mov_b64_e32 v[84:85], 0
	v_mov_b64_e32 v[22:23], 0
	v_mov_b64_e32 v[20:21], 0
	v_mov_b64_e32 v[46:47], 0
	v_mov_b64_e32 v[44:45], 0
	v_mov_b64_e32 v[52:53], 0
	v_mov_b64_e32 v[48:49], 0
	v_mov_b64_e32 v[66:67], 0
	v_mov_b64_e32 v[64:65], 0
	s_wait_xcnt 0x0
	s_mov_b64 s[24:25], 0
	s_wait_loadcnt 0x1
	v_add_nc_u64_e32 v[40:41], v[0:1], v[32:33]
	s_wait_loadcnt 0x0
	v_add_nc_u64_e32 v[42:43], v[2:3], v[34:35]
.LBB251_5:                              ;   Parent Loop BB251_3 Depth=1
                                        ; =>  This Inner Loop Header: Depth=2
	flat_load_b128 v[0:3], v[40:41]
	s_add_nc_u64 s[24:25], s[24:25], 4
	s_wait_xcnt 0x0
	v_add_nc_u64_e32 v[40:41], s[12:13], v[40:41]
	v_cmp_lt_i64_e64 s27, s[24:25], s[4:5]
	s_and_b32 vcc_lo, exec_lo, s27
	s_wait_loadcnt_dscnt 0x0
	ds_store_2addr_b64 v105, v[0:1], v[2:3] offset1:1
	flat_load_b128 v[0:3], v[42:43]
	s_wait_xcnt 0x0
	v_add_nc_u64_e32 v[42:43], 64, v[42:43]
	s_wait_loadcnt_dscnt 0x0
	ds_store_2addr_b64 v106, v[0:1], v[2:3] offset1:1
	s_wait_dscnt 0x0
	s_barrier_signal -1
	s_barrier_wait -1
	ds_load_b128 v[92:95], v24
	ds_load_b128 v[96:99], v24 offset:16
	ds_load_b128 v[4:7], v24 offset:32
	;; [unrolled: 1-line block ×3, first 2 shown]
	ds_load_b128 v[100:103], v104
	s_wait_dscnt 0x0
	v_mul_f64_e32 v[108:109], v[94:95], v[102:103]
	v_mul_f64_e32 v[110:111], v[92:93], v[102:103]
	s_delay_alu instid0(VALU_DEP_2) | instskip(NEXT) | instid1(VALU_DEP_2)
	v_fma_f64 v[108:109], v[92:93], v[100:101], -v[108:109]
	v_fmac_f64_e32 v[110:111], v[94:95], v[100:101]
	s_delay_alu instid0(VALU_DEP_2) | instskip(NEXT) | instid1(VALU_DEP_2)
	v_add_f64_e32 v[112:113], v[64:65], v[108:109]
	v_add_f64_e32 v[114:115], v[110:111], v[66:67]
	ds_load_b128 v[64:67], v104 offset:256
	s_wait_dscnt 0x0
	v_mul_f64_e32 v[108:109], v[94:95], v[66:67]
	v_mul_f64_e32 v[110:111], v[92:93], v[66:67]
	s_delay_alu instid0(VALU_DEP_2) | instskip(NEXT) | instid1(VALU_DEP_2)
	v_fma_f64 v[108:109], v[92:93], v[64:65], -v[108:109]
	v_fmac_f64_e32 v[110:111], v[94:95], v[64:65]
	s_delay_alu instid0(VALU_DEP_2) | instskip(NEXT) | instid1(VALU_DEP_2)
	v_add_f64_e32 v[48:49], v[48:49], v[108:109]
	v_add_f64_e32 v[116:117], v[110:111], v[52:53]
	ds_load_b128 v[108:111], v104 offset:512
	;; [unrolled: 10-line block ×3, first 2 shown]
	s_wait_dscnt 0x0
	v_mul_f64_e32 v[52:53], v[94:95], v[46:47]
	s_delay_alu instid0(VALU_DEP_1) | instskip(SKIP_1) | instid1(VALU_DEP_1)
	v_fma_f64 v[52:53], v[92:93], v[44:45], -v[52:53]
	v_mul_f64_e32 v[92:93], v[92:93], v[46:47]
	v_fmac_f64_e32 v[92:93], v[94:95], v[44:45]
	s_delay_alu instid0(VALU_DEP_3) | instskip(NEXT) | instid1(VALU_DEP_2)
	v_add_f64_e32 v[94:95], v[20:21], v[52:53]
	v_add_f64_e32 v[92:93], v[92:93], v[22:23]
	ds_load_b128 v[20:23], v24 offset:1024
	s_wait_dscnt 0x0
	v_mul_f64_e32 v[52:53], v[22:23], v[102:103]
	v_mul_f64_e32 v[122:123], v[20:21], v[102:103]
	s_delay_alu instid0(VALU_DEP_2) | instskip(NEXT) | instid1(VALU_DEP_2)
	v_fma_f64 v[52:53], v[20:21], v[100:101], -v[52:53]
	v_fmac_f64_e32 v[122:123], v[22:23], v[100:101]
	s_delay_alu instid0(VALU_DEP_2) | instskip(SKIP_1) | instid1(VALU_DEP_3)
	v_add_f64_e32 v[84:85], v[84:85], v[52:53]
	v_mul_f64_e32 v[52:53], v[22:23], v[66:67]
	v_add_f64_e32 v[86:87], v[122:123], v[86:87]
	v_mul_f64_e32 v[122:123], v[20:21], v[66:67]
	s_delay_alu instid0(VALU_DEP_3) | instskip(NEXT) | instid1(VALU_DEP_2)
	v_fma_f64 v[52:53], v[20:21], v[64:65], -v[52:53]
	v_fmac_f64_e32 v[122:123], v[22:23], v[64:65]
	s_delay_alu instid0(VALU_DEP_2) | instskip(SKIP_2) | instid1(VALU_DEP_4)
	v_add_f64_e32 v[124:125], v[76:77], v[52:53]
	v_mul_f64_e32 v[52:53], v[22:23], v[110:111]
	v_mul_f64_e32 v[76:77], v[20:21], v[110:111]
	v_add_f64_e32 v[122:123], v[122:123], v[80:81]
	s_delay_alu instid0(VALU_DEP_3) | instskip(NEXT) | instid1(VALU_DEP_3)
	v_fma_f64 v[52:53], v[20:21], v[108:109], -v[52:53]
	v_fmac_f64_e32 v[76:77], v[22:23], v[108:109]
	s_delay_alu instid0(VALU_DEP_2) | instskip(SKIP_1) | instid1(VALU_DEP_3)
	v_add_f64_e32 v[126:127], v[68:69], v[52:53]
	v_mul_f64_e32 v[52:53], v[22:23], v[46:47]
	v_add_f64_e32 v[128:129], v[76:77], v[72:73]
	s_delay_alu instid0(VALU_DEP_2) | instskip(SKIP_1) | instid1(VALU_DEP_2)
	v_fma_f64 v[52:53], v[20:21], v[44:45], -v[52:53]
	v_mul_f64_e32 v[20:21], v[20:21], v[46:47]
	v_add_f64_e32 v[130:131], v[56:57], v[52:53]
	s_delay_alu instid0(VALU_DEP_2) | instskip(NEXT) | instid1(VALU_DEP_1)
	v_fmac_f64_e32 v[20:21], v[22:23], v[44:45]
	v_add_f64_e32 v[132:133], v[20:21], v[60:61]
	ds_load_b128 v[20:23], v24 offset:2048
	s_wait_dscnt 0x0
	v_mul_f64_e32 v[52:53], v[22:23], v[102:103]
	v_mul_f64_e32 v[56:57], v[20:21], v[102:103]
	s_delay_alu instid0(VALU_DEP_2) | instskip(NEXT) | instid1(VALU_DEP_2)
	v_fma_f64 v[52:53], v[20:21], v[100:101], -v[52:53]
	v_fmac_f64_e32 v[56:57], v[22:23], v[100:101]
	s_delay_alu instid0(VALU_DEP_2) | instskip(SKIP_1) | instid1(VALU_DEP_3)
	v_add_f64_e32 v[134:135], v[78:79], v[52:53]
	v_mul_f64_e32 v[52:53], v[22:23], v[66:67]
	v_add_f64_e32 v[136:137], v[56:57], v[82:83]
	v_mul_f64_e32 v[56:57], v[20:21], v[66:67]
	s_delay_alu instid0(VALU_DEP_3) | instskip(NEXT) | instid1(VALU_DEP_2)
	v_fma_f64 v[52:53], v[20:21], v[64:65], -v[52:53]
	v_fmac_f64_e32 v[56:57], v[22:23], v[64:65]
	s_delay_alu instid0(VALU_DEP_2) | instskip(SKIP_1) | instid1(VALU_DEP_3)
	v_add_f64_e32 v[138:139], v[70:71], v[52:53]
	v_mul_f64_e32 v[52:53], v[22:23], v[110:111]
	v_add_f64_e32 v[140:141], v[56:57], v[74:75]
	v_mul_f64_e32 v[56:57], v[20:21], v[110:111]
	s_delay_alu instid0(VALU_DEP_3) | instskip(NEXT) | instid1(VALU_DEP_2)
	v_fma_f64 v[52:53], v[20:21], v[108:109], -v[52:53]
	v_fmac_f64_e32 v[56:57], v[22:23], v[108:109]
	s_delay_alu instid0(VALU_DEP_2) | instskip(SKIP_1) | instid1(VALU_DEP_3)
	v_add_f64_e32 v[142:143], v[58:59], v[52:53]
	v_mul_f64_e32 v[52:53], v[22:23], v[46:47]
	v_add_f64_e32 v[144:145], v[56:57], v[62:63]
	s_delay_alu instid0(VALU_DEP_2) | instskip(SKIP_1) | instid1(VALU_DEP_2)
	v_fma_f64 v[52:53], v[20:21], v[44:45], -v[52:53]
	v_mul_f64_e32 v[20:21], v[20:21], v[46:47]
	v_add_f64_e32 v[146:147], v[50:51], v[52:53]
	s_delay_alu instid0(VALU_DEP_2) | instskip(NEXT) | instid1(VALU_DEP_1)
	v_fmac_f64_e32 v[20:21], v[22:23], v[44:45]
	v_add_f64_e32 v[148:149], v[20:21], v[54:55]
	ds_load_b128 v[20:23], v24 offset:3072
	s_wait_dscnt 0x0
	v_mul_f64_e32 v[50:51], v[22:23], v[102:103]
	v_mul_f64_e32 v[52:53], v[20:21], v[102:103]
	s_delay_alu instid0(VALU_DEP_2) | instskip(NEXT) | instid1(VALU_DEP_2)
	v_fma_f64 v[50:51], v[20:21], v[100:101], -v[50:51]
	v_fmac_f64_e32 v[52:53], v[22:23], v[100:101]
	s_delay_alu instid0(VALU_DEP_2) | instskip(NEXT) | instid1(VALU_DEP_2)
	v_add_f64_e32 v[72:73], v[16:17], v[50:51]
	v_add_f64_e32 v[74:75], v[52:53], v[18:19]
	v_mul_f64_e32 v[16:17], v[22:23], v[66:67]
	v_mul_f64_e32 v[18:19], v[20:21], v[66:67]
	s_delay_alu instid0(VALU_DEP_2) | instskip(NEXT) | instid1(VALU_DEP_2)
	v_fma_f64 v[16:17], v[20:21], v[64:65], -v[16:17]
	v_fmac_f64_e32 v[18:19], v[22:23], v[64:65]
	s_delay_alu instid0(VALU_DEP_2) | instskip(NEXT) | instid1(VALU_DEP_2)
	v_add_f64_e32 v[68:69], v[12:13], v[16:17]
	v_add_f64_e32 v[70:71], v[18:19], v[14:15]
	v_mul_f64_e32 v[12:13], v[22:23], v[110:111]
	v_mul_f64_e32 v[14:15], v[20:21], v[110:111]
	ds_load_b128 v[16:19], v104 offset:1280
	v_fma_f64 v[12:13], v[20:21], v[108:109], -v[12:13]
	v_fmac_f64_e32 v[14:15], v[22:23], v[108:109]
	s_delay_alu instid0(VALU_DEP_2) | instskip(NEXT) | instid1(VALU_DEP_2)
	v_add_f64_e32 v[64:65], v[8:9], v[12:13]
	v_add_f64_e32 v[66:67], v[14:15], v[10:11]
	v_mul_f64_e32 v[8:9], v[22:23], v[46:47]
	v_mul_f64_e32 v[10:11], v[20:21], v[46:47]
	ds_load_b128 v[12:15], v104 offset:1536
	v_fma_f64 v[8:9], v[20:21], v[44:45], -v[8:9]
	v_fmac_f64_e32 v[10:11], v[22:23], v[44:45]
	ds_load_b128 v[20:23], v104 offset:1024
	v_add_f64_e32 v[60:61], v[88:89], v[8:9]
	v_add_f64_e32 v[62:63], v[10:11], v[90:91]
	ds_load_b128 v[88:91], v24 offset:1040
	s_wait_dscnt 0x1
	v_mul_f64_e32 v[8:9], v[98:99], v[22:23]
	v_mul_f64_e32 v[10:11], v[96:97], v[22:23]
	s_wait_dscnt 0x0
	v_mul_f64_e32 v[76:77], v[90:91], v[22:23]
	v_mul_f64_e32 v[78:79], v[88:89], v[22:23]
	;; [unrolled: 1-line block ×4, first 2 shown]
	v_fma_f64 v[8:9], v[96:97], v[20:21], -v[8:9]
	v_fmac_f64_e32 v[10:11], v[98:99], v[20:21]
	v_fma_f64 v[76:77], v[88:89], v[20:21], -v[76:77]
	v_fmac_f64_e32 v[78:79], v[90:91], v[20:21]
	;; [unrolled: 2-line block ×3, first 2 shown]
	v_add_f64_e32 v[56:57], v[112:113], v[8:9]
	v_add_f64_e32 v[58:59], v[10:11], v[114:115]
	v_mul_f64_e32 v[8:9], v[98:99], v[18:19]
	v_mul_f64_e32 v[10:11], v[96:97], v[18:19]
	v_add_f64_e32 v[76:77], v[84:85], v[76:77]
	v_add_f64_e32 v[78:79], v[78:79], v[86:87]
	v_mul_f64_e32 v[84:85], v[90:91], v[14:15]
	v_mul_f64_e32 v[86:87], v[88:89], v[14:15]
	v_add_f64_e32 v[80:81], v[124:125], v[80:81]
	v_add_f64_e32 v[82:83], v[82:83], v[122:123]
	v_fma_f64 v[8:9], v[96:97], v[16:17], -v[8:9]
	v_fmac_f64_e32 v[10:11], v[98:99], v[16:17]
	v_fma_f64 v[84:85], v[88:89], v[12:13], -v[84:85]
	v_fmac_f64_e32 v[86:87], v[90:91], v[12:13]
	s_delay_alu instid0(VALU_DEP_4) | instskip(NEXT) | instid1(VALU_DEP_4)
	v_add_f64_e32 v[52:53], v[48:49], v[8:9]
	v_add_f64_e32 v[54:55], v[10:11], v[116:117]
	v_mul_f64_e32 v[8:9], v[98:99], v[14:15]
	v_mul_f64_e32 v[10:11], v[96:97], v[14:15]
	v_add_f64_e32 v[84:85], v[126:127], v[84:85]
	v_add_f64_e32 v[86:87], v[86:87], v[128:129]
	s_delay_alu instid0(VALU_DEP_4) | instskip(NEXT) | instid1(VALU_DEP_4)
	v_fma_f64 v[8:9], v[96:97], v[12:13], -v[8:9]
	v_fmac_f64_e32 v[10:11], v[98:99], v[12:13]
	s_delay_alu instid0(VALU_DEP_2) | instskip(NEXT) | instid1(VALU_DEP_2)
	v_add_f64_e32 v[48:49], v[120:121], v[8:9]
	v_add_f64_e32 v[50:51], v[10:11], v[118:119]
	ds_load_b128 v[8:11], v104 offset:1792
	s_wait_dscnt 0x0
	v_mul_f64_e32 v[44:45], v[98:99], v[10:11]
	v_mul_f64_e32 v[46:47], v[96:97], v[10:11]
	s_delay_alu instid0(VALU_DEP_2) | instskip(NEXT) | instid1(VALU_DEP_2)
	v_fma_f64 v[44:45], v[96:97], v[8:9], -v[44:45]
	v_fmac_f64_e32 v[46:47], v[98:99], v[8:9]
	s_delay_alu instid0(VALU_DEP_2) | instskip(NEXT) | instid1(VALU_DEP_2)
	v_add_f64_e32 v[44:45], v[94:95], v[44:45]
	v_add_f64_e32 v[46:47], v[46:47], v[92:93]
	v_mul_f64_e32 v[92:93], v[90:91], v[10:11]
	v_mul_f64_e32 v[94:95], v[88:89], v[10:11]
	s_delay_alu instid0(VALU_DEP_2) | instskip(NEXT) | instid1(VALU_DEP_2)
	v_fma_f64 v[92:93], v[88:89], v[8:9], -v[92:93]
	v_fmac_f64_e32 v[94:95], v[90:91], v[8:9]
	s_delay_alu instid0(VALU_DEP_2) | instskip(NEXT) | instid1(VALU_DEP_2)
	v_add_f64_e32 v[88:89], v[130:131], v[92:93]
	v_add_f64_e32 v[90:91], v[94:95], v[132:133]
	ds_load_b128 v[92:95], v24 offset:2064
	s_wait_dscnt 0x0
	v_mul_f64_e32 v[96:97], v[94:95], v[22:23]
	v_mul_f64_e32 v[100:101], v[94:95], v[18:19]
	;; [unrolled: 1-line block ×7, first 2 shown]
	v_fma_f64 v[96:97], v[92:93], v[20:21], -v[96:97]
	v_fma_f64 v[100:101], v[92:93], v[16:17], -v[100:101]
	;; [unrolled: 1-line block ×4, first 2 shown]
	v_mul_f64_e32 v[92:93], v[92:93], v[10:11]
	v_fmac_f64_e32 v[98:99], v[94:95], v[20:21]
	v_fmac_f64_e32 v[102:103], v[94:95], v[16:17]
	;; [unrolled: 1-line block ×3, first 2 shown]
	v_add_f64_e32 v[96:97], v[134:135], v[96:97]
	v_add_f64_e32 v[100:101], v[138:139], v[100:101]
	;; [unrolled: 1-line block ×4, first 2 shown]
	v_fmac_f64_e32 v[92:93], v[94:95], v[8:9]
	v_add_f64_e32 v[98:99], v[98:99], v[136:137]
	v_add_f64_e32 v[102:103], v[102:103], v[140:141]
	;; [unrolled: 1-line block ×3, first 2 shown]
	s_delay_alu instid0(VALU_DEP_4) | instskip(SKIP_4) | instid1(VALU_DEP_2)
	v_add_f64_e32 v[114:115], v[92:93], v[148:149]
	ds_load_b128 v[92:95], v24 offset:3088
	s_wait_dscnt 0x0
	v_mul_f64_e32 v[116:117], v[94:95], v[22:23]
	v_mul_f64_e32 v[22:23], v[92:93], v[22:23]
	v_fma_f64 v[116:117], v[92:93], v[20:21], -v[116:117]
	s_delay_alu instid0(VALU_DEP_2) | instskip(SKIP_2) | instid1(VALU_DEP_4)
	v_fmac_f64_e32 v[22:23], v[94:95], v[20:21]
	v_mul_f64_e32 v[20:21], v[94:95], v[18:19]
	v_mul_f64_e32 v[18:19], v[92:93], v[18:19]
	v_add_f64_e32 v[72:73], v[72:73], v[116:117]
	s_delay_alu instid0(VALU_DEP_4) | instskip(NEXT) | instid1(VALU_DEP_4)
	v_add_f64_e32 v[74:75], v[22:23], v[74:75]
	v_fma_f64 v[20:21], v[92:93], v[16:17], -v[20:21]
	s_delay_alu instid0(VALU_DEP_4) | instskip(SKIP_2) | instid1(VALU_DEP_4)
	v_fmac_f64_e32 v[18:19], v[94:95], v[16:17]
	v_mul_f64_e32 v[16:17], v[94:95], v[14:15]
	v_mul_f64_e32 v[14:15], v[92:93], v[14:15]
	v_add_f64_e32 v[68:69], v[68:69], v[20:21]
	s_delay_alu instid0(VALU_DEP_4) | instskip(NEXT) | instid1(VALU_DEP_4)
	v_add_f64_e32 v[70:71], v[18:19], v[70:71]
	v_fma_f64 v[16:17], v[92:93], v[12:13], -v[16:17]
	s_delay_alu instid0(VALU_DEP_4) | instskip(SKIP_2) | instid1(VALU_DEP_4)
	v_fmac_f64_e32 v[14:15], v[94:95], v[12:13]
	v_mul_f64_e32 v[12:13], v[94:95], v[10:11]
	v_mul_f64_e32 v[10:11], v[92:93], v[10:11]
	v_add_f64_e32 v[64:65], v[64:65], v[16:17]
	s_delay_alu instid0(VALU_DEP_4) | instskip(NEXT) | instid1(VALU_DEP_4)
	v_add_f64_e32 v[66:67], v[14:15], v[66:67]
	v_fma_f64 v[12:13], v[92:93], v[8:9], -v[12:13]
	s_delay_alu instid0(VALU_DEP_4) | instskip(NEXT) | instid1(VALU_DEP_2)
	v_fmac_f64_e32 v[10:11], v[94:95], v[8:9]
	v_add_f64_e32 v[60:61], v[60:61], v[12:13]
	s_delay_alu instid0(VALU_DEP_2) | instskip(SKIP_4) | instid1(VALU_DEP_2)
	v_add_f64_e32 v[62:63], v[10:11], v[62:63]
	ds_load_b128 v[8:11], v104 offset:2048
	s_wait_dscnt 0x0
	v_mul_f64_e32 v[12:13], v[6:7], v[10:11]
	v_mul_f64_e32 v[14:15], v[4:5], v[10:11]
	v_fma_f64 v[12:13], v[4:5], v[8:9], -v[12:13]
	s_delay_alu instid0(VALU_DEP_2) | instskip(NEXT) | instid1(VALU_DEP_2)
	v_fmac_f64_e32 v[14:15], v[6:7], v[8:9]
	v_add_f64_e32 v[56:57], v[56:57], v[12:13]
	s_delay_alu instid0(VALU_DEP_2) | instskip(SKIP_4) | instid1(VALU_DEP_2)
	v_add_f64_e32 v[58:59], v[14:15], v[58:59]
	ds_load_b128 v[12:15], v104 offset:2304
	s_wait_dscnt 0x0
	v_mul_f64_e32 v[16:17], v[6:7], v[14:15]
	v_mul_f64_e32 v[18:19], v[4:5], v[14:15]
	v_fma_f64 v[16:17], v[4:5], v[12:13], -v[16:17]
	s_delay_alu instid0(VALU_DEP_2) | instskip(NEXT) | instid1(VALU_DEP_2)
	;; [unrolled: 10-line block ×3, first 2 shown]
	v_fmac_f64_e32 v[22:23], v[6:7], v[16:17]
	v_add_f64_e32 v[116:117], v[48:49], v[20:21]
	s_delay_alu instid0(VALU_DEP_2) | instskip(SKIP_3) | instid1(VALU_DEP_1)
	v_add_f64_e32 v[50:51], v[22:23], v[50:51]
	ds_load_b128 v[20:23], v104 offset:2816
	s_wait_dscnt 0x0
	v_mul_f64_e32 v[48:49], v[6:7], v[22:23]
	v_fma_f64 v[48:49], v[4:5], v[20:21], -v[48:49]
	v_mul_f64_e32 v[4:5], v[4:5], v[22:23]
	s_delay_alu instid0(VALU_DEP_2) | instskip(NEXT) | instid1(VALU_DEP_2)
	v_add_f64_e32 v[118:119], v[44:45], v[48:49]
	v_fmac_f64_e32 v[4:5], v[6:7], v[20:21]
	s_delay_alu instid0(VALU_DEP_1) | instskip(SKIP_4) | instid1(VALU_DEP_2)
	v_add_f64_e32 v[120:121], v[4:5], v[46:47]
	ds_load_b128 v[4:7], v24 offset:1056
	s_wait_dscnt 0x0
	v_mul_f64_e32 v[44:45], v[6:7], v[10:11]
	v_mul_f64_e32 v[46:47], v[4:5], v[10:11]
	v_fma_f64 v[44:45], v[4:5], v[8:9], -v[44:45]
	s_delay_alu instid0(VALU_DEP_2) | instskip(NEXT) | instid1(VALU_DEP_2)
	v_fmac_f64_e32 v[46:47], v[6:7], v[8:9]
	v_add_f64_e32 v[76:77], v[76:77], v[44:45]
	v_mul_f64_e32 v[44:45], v[6:7], v[14:15]
	s_delay_alu instid0(VALU_DEP_3) | instskip(SKIP_1) | instid1(VALU_DEP_3)
	v_add_f64_e32 v[78:79], v[46:47], v[78:79]
	v_mul_f64_e32 v[46:47], v[4:5], v[14:15]
	v_fma_f64 v[44:45], v[4:5], v[12:13], -v[44:45]
	s_delay_alu instid0(VALU_DEP_2) | instskip(NEXT) | instid1(VALU_DEP_2)
	v_fmac_f64_e32 v[46:47], v[6:7], v[12:13]
	v_add_f64_e32 v[80:81], v[80:81], v[44:45]
	v_mul_f64_e32 v[44:45], v[6:7], v[18:19]
	s_delay_alu instid0(VALU_DEP_3) | instskip(SKIP_1) | instid1(VALU_DEP_3)
	v_add_f64_e32 v[82:83], v[46:47], v[82:83]
	v_mul_f64_e32 v[46:47], v[4:5], v[18:19]
	v_fma_f64 v[44:45], v[4:5], v[16:17], -v[44:45]
	s_delay_alu instid0(VALU_DEP_2) | instskip(NEXT) | instid1(VALU_DEP_2)
	v_fmac_f64_e32 v[46:47], v[6:7], v[16:17]
	v_add_f64_e32 v[122:123], v[84:85], v[44:45]
	v_mul_f64_e32 v[44:45], v[6:7], v[22:23]
	s_delay_alu instid0(VALU_DEP_3) | instskip(NEXT) | instid1(VALU_DEP_2)
	v_add_f64_e32 v[124:125], v[46:47], v[86:87]
	v_fma_f64 v[44:45], v[4:5], v[20:21], -v[44:45]
	v_mul_f64_e32 v[4:5], v[4:5], v[22:23]
	s_delay_alu instid0(VALU_DEP_2) | instskip(NEXT) | instid1(VALU_DEP_2)
	v_add_f64_e32 v[126:127], v[88:89], v[44:45]
	v_fmac_f64_e32 v[4:5], v[6:7], v[20:21]
	s_delay_alu instid0(VALU_DEP_1) | instskip(SKIP_4) | instid1(VALU_DEP_2)
	v_add_f64_e32 v[128:129], v[4:5], v[90:91]
	ds_load_b128 v[4:7], v24 offset:2080
	s_wait_dscnt 0x0
	v_mul_f64_e32 v[44:45], v[6:7], v[10:11]
	v_mul_f64_e32 v[46:47], v[4:5], v[10:11]
	v_fma_f64 v[44:45], v[4:5], v[8:9], -v[44:45]
	s_delay_alu instid0(VALU_DEP_2) | instskip(NEXT) | instid1(VALU_DEP_2)
	v_fmac_f64_e32 v[46:47], v[6:7], v[8:9]
	v_add_f64_e32 v[130:131], v[96:97], v[44:45]
	v_mul_f64_e32 v[44:45], v[6:7], v[14:15]
	s_delay_alu instid0(VALU_DEP_3) | instskip(SKIP_1) | instid1(VALU_DEP_3)
	v_add_f64_e32 v[132:133], v[46:47], v[98:99]
	v_mul_f64_e32 v[46:47], v[4:5], v[14:15]
	v_fma_f64 v[44:45], v[4:5], v[12:13], -v[44:45]
	s_delay_alu instid0(VALU_DEP_2) | instskip(NEXT) | instid1(VALU_DEP_2)
	v_fmac_f64_e32 v[46:47], v[6:7], v[12:13]
	v_add_f64_e32 v[134:135], v[100:101], v[44:45]
	v_mul_f64_e32 v[44:45], v[6:7], v[18:19]
	s_delay_alu instid0(VALU_DEP_3) | instskip(SKIP_1) | instid1(VALU_DEP_3)
	v_add_f64_e32 v[136:137], v[46:47], v[102:103]
	v_mul_f64_e32 v[46:47], v[4:5], v[18:19]
	v_fma_f64 v[44:45], v[4:5], v[16:17], -v[44:45]
	s_delay_alu instid0(VALU_DEP_2) | instskip(NEXT) | instid1(VALU_DEP_2)
	v_fmac_f64_e32 v[46:47], v[6:7], v[16:17]
	v_add_f64_e32 v[108:109], v[108:109], v[44:45]
	v_mul_f64_e32 v[44:45], v[6:7], v[22:23]
	s_delay_alu instid0(VALU_DEP_3) | instskip(NEXT) | instid1(VALU_DEP_2)
	v_add_f64_e32 v[110:111], v[46:47], v[110:111]
	v_fma_f64 v[44:45], v[4:5], v[20:21], -v[44:45]
	v_mul_f64_e32 v[4:5], v[4:5], v[22:23]
	s_delay_alu instid0(VALU_DEP_2) | instskip(NEXT) | instid1(VALU_DEP_2)
	v_add_f64_e32 v[112:113], v[112:113], v[44:45]
	v_fmac_f64_e32 v[4:5], v[6:7], v[20:21]
	s_delay_alu instid0(VALU_DEP_1) | instskip(SKIP_4) | instid1(VALU_DEP_2)
	v_add_f64_e32 v[114:115], v[4:5], v[114:115]
	ds_load_b128 v[4:7], v24 offset:3104
	s_wait_dscnt 0x0
	v_mul_f64_e32 v[44:45], v[6:7], v[10:11]
	v_mul_f64_e32 v[10:11], v[4:5], v[10:11]
	v_fma_f64 v[44:45], v[4:5], v[8:9], -v[44:45]
	s_delay_alu instid0(VALU_DEP_2) | instskip(SKIP_1) | instid1(VALU_DEP_3)
	v_fmac_f64_e32 v[10:11], v[6:7], v[8:9]
	v_mul_f64_e32 v[8:9], v[6:7], v[14:15]
	v_add_f64_e32 v[100:101], v[72:73], v[44:45]
	s_delay_alu instid0(VALU_DEP_3) | instskip(NEXT) | instid1(VALU_DEP_3)
	v_add_f64_e32 v[102:103], v[10:11], v[74:75]
	v_fma_f64 v[8:9], v[4:5], v[12:13], -v[8:9]
	v_mul_f64_e32 v[10:11], v[4:5], v[14:15]
	s_delay_alu instid0(VALU_DEP_2) | instskip(SKIP_1) | instid1(VALU_DEP_3)
	v_add_f64_e32 v[96:97], v[68:69], v[8:9]
	v_mul_f64_e32 v[8:9], v[6:7], v[18:19]
	v_fmac_f64_e32 v[10:11], v[6:7], v[12:13]
	ds_load_b128 v[12:15], v104 offset:3328
	v_fma_f64 v[8:9], v[4:5], v[16:17], -v[8:9]
	v_add_f64_e32 v[98:99], v[10:11], v[70:71]
	v_mul_f64_e32 v[10:11], v[4:5], v[18:19]
	s_delay_alu instid0(VALU_DEP_3) | instskip(SKIP_1) | instid1(VALU_DEP_3)
	v_add_f64_e32 v[92:93], v[64:65], v[8:9]
	v_mul_f64_e32 v[8:9], v[6:7], v[22:23]
	v_fmac_f64_e32 v[10:11], v[6:7], v[16:17]
	ds_load_b128 v[16:19], v104 offset:3072
	v_fma_f64 v[8:9], v[4:5], v[20:21], -v[8:9]
	v_mul_f64_e32 v[4:5], v[4:5], v[22:23]
	v_add_f64_e32 v[94:95], v[10:11], v[66:67]
	s_delay_alu instid0(VALU_DEP_3) | instskip(NEXT) | instid1(VALU_DEP_3)
	v_add_f64_e32 v[88:89], v[60:61], v[8:9]
	v_fmac_f64_e32 v[4:5], v[6:7], v[20:21]
	s_wait_dscnt 0x0
	v_mul_f64_e32 v[6:7], v[0:1], v[18:19]
	ds_load_b128 v[8:11], v104 offset:3584
	v_add_f64_e32 v[90:91], v[4:5], v[62:63]
	v_mul_f64_e32 v[4:5], v[2:3], v[18:19]
	v_fmac_f64_e32 v[6:7], v[2:3], v[16:17]
	s_delay_alu instid0(VALU_DEP_2) | instskip(NEXT) | instid1(VALU_DEP_2)
	v_fma_f64 v[4:5], v[0:1], v[16:17], -v[4:5]
	v_add_f64_e32 v[66:67], v[6:7], v[58:59]
	v_mul_f64_e32 v[6:7], v[0:1], v[14:15]
	s_delay_alu instid0(VALU_DEP_3) | instskip(SKIP_1) | instid1(VALU_DEP_3)
	v_add_f64_e32 v[64:65], v[56:57], v[4:5]
	v_mul_f64_e32 v[4:5], v[2:3], v[14:15]
	v_fmac_f64_e32 v[6:7], v[2:3], v[12:13]
	s_delay_alu instid0(VALU_DEP_2) | instskip(NEXT) | instid1(VALU_DEP_1)
	v_fma_f64 v[4:5], v[0:1], v[12:13], -v[4:5]
	v_add_f64_e32 v[48:49], v[52:53], v[4:5]
	s_delay_alu instid0(VALU_DEP_3) | instskip(SKIP_3) | instid1(VALU_DEP_2)
	v_add_f64_e32 v[52:53], v[6:7], v[54:55]
	s_wait_dscnt 0x0
	v_mul_f64_e32 v[4:5], v[2:3], v[10:11]
	v_mul_f64_e32 v[6:7], v[0:1], v[10:11]
	v_fma_f64 v[4:5], v[0:1], v[8:9], -v[4:5]
	s_delay_alu instid0(VALU_DEP_2) | instskip(NEXT) | instid1(VALU_DEP_2)
	v_fmac_f64_e32 v[6:7], v[2:3], v[8:9]
	v_add_f64_e32 v[44:45], v[116:117], v[4:5]
	s_delay_alu instid0(VALU_DEP_2) | instskip(SKIP_3) | instid1(VALU_DEP_1)
	v_add_f64_e32 v[46:47], v[6:7], v[50:51]
	ds_load_b128 v[4:7], v104 offset:3840
	s_wait_dscnt 0x0
	v_mul_f64_e32 v[20:21], v[2:3], v[6:7]
	v_fma_f64 v[20:21], v[0:1], v[4:5], -v[20:21]
	v_mul_f64_e32 v[0:1], v[0:1], v[6:7]
	s_delay_alu instid0(VALU_DEP_2) | instskip(NEXT) | instid1(VALU_DEP_2)
	v_add_f64_e32 v[20:21], v[118:119], v[20:21]
	v_fmac_f64_e32 v[0:1], v[2:3], v[4:5]
	s_delay_alu instid0(VALU_DEP_1) | instskip(SKIP_4) | instid1(VALU_DEP_2)
	v_add_f64_e32 v[22:23], v[0:1], v[120:121]
	ds_load_b128 v[0:3], v24 offset:1072
	s_wait_dscnt 0x0
	v_mul_f64_e32 v[50:51], v[2:3], v[18:19]
	v_mul_f64_e32 v[54:55], v[0:1], v[18:19]
	v_fma_f64 v[50:51], v[0:1], v[16:17], -v[50:51]
	s_delay_alu instid0(VALU_DEP_2) | instskip(NEXT) | instid1(VALU_DEP_2)
	v_fmac_f64_e32 v[54:55], v[2:3], v[16:17]
	v_add_f64_e32 v[84:85], v[76:77], v[50:51]
	v_mul_f64_e32 v[50:51], v[2:3], v[14:15]
	s_delay_alu instid0(VALU_DEP_3) | instskip(SKIP_1) | instid1(VALU_DEP_3)
	v_add_f64_e32 v[86:87], v[54:55], v[78:79]
	v_mul_f64_e32 v[54:55], v[0:1], v[14:15]
	v_fma_f64 v[50:51], v[0:1], v[12:13], -v[50:51]
	s_delay_alu instid0(VALU_DEP_2) | instskip(NEXT) | instid1(VALU_DEP_2)
	v_fmac_f64_e32 v[54:55], v[2:3], v[12:13]
	v_add_f64_e32 v[76:77], v[80:81], v[50:51]
	v_mul_f64_e32 v[50:51], v[2:3], v[10:11]
	s_delay_alu instid0(VALU_DEP_3) | instskip(SKIP_1) | instid1(VALU_DEP_3)
	v_add_f64_e32 v[80:81], v[54:55], v[82:83]
	v_mul_f64_e32 v[54:55], v[0:1], v[10:11]
	v_fma_f64 v[50:51], v[0:1], v[8:9], -v[50:51]
	s_delay_alu instid0(VALU_DEP_2) | instskip(NEXT) | instid1(VALU_DEP_2)
	v_fmac_f64_e32 v[54:55], v[2:3], v[8:9]
	v_add_f64_e32 v[68:69], v[122:123], v[50:51]
	v_mul_f64_e32 v[50:51], v[2:3], v[6:7]
	s_delay_alu instid0(VALU_DEP_3) | instskip(NEXT) | instid1(VALU_DEP_2)
	v_add_f64_e32 v[72:73], v[54:55], v[124:125]
	v_fma_f64 v[50:51], v[0:1], v[4:5], -v[50:51]
	v_mul_f64_e32 v[0:1], v[0:1], v[6:7]
	s_delay_alu instid0(VALU_DEP_2) | instskip(NEXT) | instid1(VALU_DEP_2)
	v_add_f64_e32 v[56:57], v[126:127], v[50:51]
	v_fmac_f64_e32 v[0:1], v[2:3], v[4:5]
	s_delay_alu instid0(VALU_DEP_1) | instskip(SKIP_4) | instid1(VALU_DEP_2)
	v_add_f64_e32 v[60:61], v[0:1], v[128:129]
	ds_load_b128 v[0:3], v24 offset:2096
	s_wait_dscnt 0x0
	v_mul_f64_e32 v[50:51], v[2:3], v[18:19]
	v_mul_f64_e32 v[54:55], v[0:1], v[18:19]
	v_fma_f64 v[50:51], v[0:1], v[16:17], -v[50:51]
	s_delay_alu instid0(VALU_DEP_2) | instskip(NEXT) | instid1(VALU_DEP_2)
	v_fmac_f64_e32 v[54:55], v[2:3], v[16:17]
	v_add_f64_e32 v[78:79], v[130:131], v[50:51]
	v_mul_f64_e32 v[50:51], v[2:3], v[14:15]
	s_delay_alu instid0(VALU_DEP_3) | instskip(SKIP_1) | instid1(VALU_DEP_3)
	v_add_f64_e32 v[82:83], v[54:55], v[132:133]
	v_mul_f64_e32 v[54:55], v[0:1], v[14:15]
	v_fma_f64 v[50:51], v[0:1], v[12:13], -v[50:51]
	s_delay_alu instid0(VALU_DEP_2) | instskip(NEXT) | instid1(VALU_DEP_2)
	v_fmac_f64_e32 v[54:55], v[2:3], v[12:13]
	v_add_f64_e32 v[70:71], v[134:135], v[50:51]
	v_mul_f64_e32 v[50:51], v[2:3], v[10:11]
	s_delay_alu instid0(VALU_DEP_3) | instskip(SKIP_1) | instid1(VALU_DEP_3)
	v_add_f64_e32 v[74:75], v[54:55], v[136:137]
	v_mul_f64_e32 v[54:55], v[0:1], v[10:11]
	v_fma_f64 v[50:51], v[0:1], v[8:9], -v[50:51]
	s_delay_alu instid0(VALU_DEP_2) | instskip(NEXT) | instid1(VALU_DEP_2)
	v_fmac_f64_e32 v[54:55], v[2:3], v[8:9]
	v_add_f64_e32 v[58:59], v[108:109], v[50:51]
	v_mul_f64_e32 v[50:51], v[2:3], v[6:7]
	s_delay_alu instid0(VALU_DEP_3) | instskip(NEXT) | instid1(VALU_DEP_2)
	v_add_f64_e32 v[62:63], v[54:55], v[110:111]
	v_fma_f64 v[50:51], v[0:1], v[4:5], -v[50:51]
	v_mul_f64_e32 v[0:1], v[0:1], v[6:7]
	s_delay_alu instid0(VALU_DEP_2) | instskip(NEXT) | instid1(VALU_DEP_2)
	v_add_f64_e32 v[50:51], v[112:113], v[50:51]
	v_fmac_f64_e32 v[0:1], v[2:3], v[4:5]
	s_delay_alu instid0(VALU_DEP_1)
	v_add_f64_e32 v[54:55], v[0:1], v[114:115]
	ds_load_b128 v[0:3], v24 offset:3120
	s_wait_dscnt 0x0
	s_barrier_signal -1
	s_barrier_wait -1
	v_mul_f64_e32 v[108:109], v[2:3], v[18:19]
	v_mul_f64_e32 v[18:19], v[0:1], v[18:19]
	s_delay_alu instid0(VALU_DEP_2) | instskip(NEXT) | instid1(VALU_DEP_2)
	v_fma_f64 v[108:109], v[0:1], v[16:17], -v[108:109]
	v_fmac_f64_e32 v[18:19], v[2:3], v[16:17]
	s_delay_alu instid0(VALU_DEP_2) | instskip(SKIP_2) | instid1(VALU_DEP_4)
	v_add_f64_e32 v[16:17], v[100:101], v[108:109]
	v_mul_f64_e32 v[100:101], v[2:3], v[14:15]
	v_mul_f64_e32 v[14:15], v[0:1], v[14:15]
	v_add_f64_e32 v[18:19], v[18:19], v[102:103]
	s_delay_alu instid0(VALU_DEP_3) | instskip(NEXT) | instid1(VALU_DEP_3)
	v_fma_f64 v[100:101], v[0:1], v[12:13], -v[100:101]
	v_fmac_f64_e32 v[14:15], v[2:3], v[12:13]
	s_delay_alu instid0(VALU_DEP_2) | instskip(SKIP_2) | instid1(VALU_DEP_4)
	v_add_f64_e32 v[12:13], v[96:97], v[100:101]
	v_mul_f64_e32 v[96:97], v[2:3], v[10:11]
	v_mul_f64_e32 v[10:11], v[0:1], v[10:11]
	v_add_f64_e32 v[14:15], v[14:15], v[98:99]
	s_delay_alu instid0(VALU_DEP_3) | instskip(NEXT) | instid1(VALU_DEP_3)
	v_fma_f64 v[96:97], v[0:1], v[8:9], -v[96:97]
	v_fmac_f64_e32 v[10:11], v[2:3], v[8:9]
	s_delay_alu instid0(VALU_DEP_2) | instskip(SKIP_1) | instid1(VALU_DEP_3)
	v_add_f64_e32 v[8:9], v[92:93], v[96:97]
	v_mul_f64_e32 v[92:93], v[2:3], v[6:7]
	v_add_f64_e32 v[10:11], v[10:11], v[94:95]
	s_delay_alu instid0(VALU_DEP_2) | instskip(SKIP_1) | instid1(VALU_DEP_2)
	v_fma_f64 v[92:93], v[0:1], v[4:5], -v[92:93]
	v_mul_f64_e32 v[0:1], v[0:1], v[6:7]
	v_add_f64_e32 v[88:89], v[88:89], v[92:93]
	s_delay_alu instid0(VALU_DEP_2) | instskip(NEXT) | instid1(VALU_DEP_1)
	v_fmac_f64_e32 v[0:1], v[2:3], v[4:5]
	v_add_f64_e32 v[90:91], v[0:1], v[90:91]
	s_cbranch_vccnz .LBB251_5
; %bb.6:                                ;   in Loop: Header=BB251_3 Depth=1
	v_add_nc_u64_e32 v[0:1], s[14:15], v[38:39]
	s_and_not1_b32 vcc_lo, exec_lo, s1
	s_mov_b32 s24, -1
                                        ; implicit-def: $vgpr2_vgpr3
                                        ; implicit-def: $vgpr4_vgpr5
	s_cbranch_vccnz .LBB251_9
.LBB251_7:                              ;   in Loop: Header=BB251_3 Depth=1
	v_mul_f64_e32 v[2:3], s[8:9], v[66:67]
	v_mul_f64_e32 v[42:43], s[8:9], v[46:47]
	;; [unrolled: 1-line block ×30, first 2 shown]
	v_lshlrev_b64_e32 v[148:149], 4, v[30:31]
	v_lshl_add_u64 v[150:151], v[26:27], 4, v[0:1]
	v_fma_f64 v[4:5], s[6:7], v[64:65], -v[2:3]
	v_mul_f64_e32 v[2:3], s[6:7], v[90:91]
	v_fma_f64 v[92:93], s[6:7], v[44:45], -v[42:43]
	v_mul_f64_e32 v[42:43], s[8:9], v[90:91]
	v_fmac_f64_e32 v[6:7], s[8:9], v[64:65]
	v_fma_f64 v[38:39], s[6:7], v[48:49], -v[38:39]
	v_fmac_f64_e32 v[40:41], s[8:9], v[48:49]
	v_add_nc_u64_e32 v[152:153], v[150:151], v[148:149]
	v_add_nc_u64_e32 v[150:151], s[22:23], v[150:151]
	v_fma_f64 v[100:101], s[6:7], v[84:85], -v[100:101]
	v_fma_f64 v[128:129], s[6:7], v[58:59], -v[128:129]
	v_fmac_f64_e32 v[94:95], s[8:9], v[44:45]
	v_fma_f64 v[144:145], s[6:7], v[8:9], -v[144:145]
	v_fmac_f64_e32 v[102:103], s[8:9], v[84:85]
	v_fmac_f64_e32 v[130:131], s[8:9], v[58:59]
	;; [unrolled: 1-line block ×3, first 2 shown]
	v_fma_f64 v[96:97], s[6:7], v[20:21], -v[96:97]
	v_fma_f64 v[108:109], s[6:7], v[76:77], -v[108:109]
	;; [unrolled: 1-line block ×3, first 2 shown]
	v_fmac_f64_e32 v[98:99], s[8:9], v[20:21]
	v_fmac_f64_e32 v[110:111], s[8:9], v[76:77]
	;; [unrolled: 1-line block ×3, first 2 shown]
	v_fma_f64 v[112:113], s[6:7], v[68:69], -v[112:113]
	v_fma_f64 v[136:137], s[6:7], v[16:17], -v[136:137]
	v_fmac_f64_e32 v[114:115], s[8:9], v[68:69]
	v_fmac_f64_e32 v[138:139], s[8:9], v[16:17]
	v_fma_f64 v[116:117], s[6:7], v[56:57], -v[116:117]
	v_fma_f64 v[140:141], s[6:7], v[12:13], -v[140:141]
	v_fmac_f64_e32 v[118:119], s[8:9], v[56:57]
	v_fmac_f64_e32 v[142:143], s[8:9], v[12:13]
	v_fma_f64 v[120:121], s[6:7], v[78:79], -v[120:121]
	v_fmac_f64_e32 v[122:123], s[8:9], v[78:79]
	v_fma_f64 v[124:125], s[6:7], v[70:71], -v[124:125]
	v_fmac_f64_e32 v[2:3], s[8:9], v[88:89]
	v_fmac_f64_e32 v[126:127], s[8:9], v[70:71]
	v_fma_f64 v[42:43], s[6:7], v[88:89], -v[42:43]
	flat_store_b128 v[152:153], v[4:7]
	s_wait_xcnt 0x0
	v_add_nc_u64_e32 v[4:5], s[22:23], v[150:151]
	v_add_nc_u64_e32 v[150:151], v[150:151], v[148:149]
	flat_store_b128 v[152:153], v[38:41] offset:256
	s_clause 0x1
	flat_store_b128 v[152:153], v[92:95] offset:512
	flat_store_b128 v[152:153], v[96:99] offset:768
	v_add_nc_u64_e32 v[6:7], s[22:23], v[4:5]
	s_wait_xcnt 0x2
	v_add_nc_u64_e32 v[38:39], v[4:5], v[148:149]
	s_clause 0x5
	flat_store_b128 v[150:151], v[100:103]
	flat_store_b128 v[150:151], v[108:111] offset:256
	flat_store_b128 v[150:151], v[112:115] offset:512
	;; [unrolled: 1-line block ×3, first 2 shown]
	flat_store_b128 v[38:39], v[120:123]
	flat_store_b128 v[38:39], v[124:127] offset:256
	v_add_nc_u64_e32 v[6:7], v[6:7], v[148:149]
	s_clause 0x5
	flat_store_b128 v[38:39], v[128:131] offset:512
	flat_store_b128 v[38:39], v[132:135] offset:768
	flat_store_b128 v[6:7], v[136:139]
	flat_store_b128 v[6:7], v[140:143] offset:256
	flat_store_b128 v[6:7], v[144:147] offset:512
	flat_store_b64 v[6:7], v[42:43] offset:768
	v_add_nc_u64_e32 v[4:5], 0x300, v[6:7]
	s_cbranch_execnz .LBB251_2
	s_branch .LBB251_10
.LBB251_8:                              ;   in Loop: Header=BB251_3 Depth=1
	v_mov_b64_e32 v[64:65], 0
	v_mov_b64_e32 v[66:67], 0
	v_mov_b64_e32 v[48:49], 0
	v_mov_b64_e32 v[52:53], 0
	v_mov_b64_e32 v[44:45], 0
	v_mov_b64_e32 v[46:47], 0
	v_mov_b64_e32 v[20:21], 0
	v_mov_b64_e32 v[22:23], 0
	v_mov_b64_e32 v[84:85], 0
	v_mov_b64_e32 v[86:87], 0
	v_mov_b64_e32 v[76:77], 0
	v_mov_b64_e32 v[80:81], 0
	v_mov_b64_e32 v[68:69], 0
	v_mov_b64_e32 v[72:73], 0
	v_mov_b64_e32 v[56:57], 0
	v_mov_b64_e32 v[60:61], 0
	v_mov_b64_e32 v[78:79], 0
	v_mov_b64_e32 v[82:83], 0
	v_mov_b64_e32 v[70:71], 0
	v_mov_b64_e32 v[74:75], 0
	v_mov_b64_e32 v[58:59], 0
	v_mov_b64_e32 v[62:63], 0
	v_mov_b64_e32 v[50:51], 0
	v_mov_b64_e32 v[54:55], 0
	v_mov_b64_e32 v[16:17], 0
	v_mov_b64_e32 v[18:19], 0
	v_mov_b64_e32 v[12:13], 0
	v_mov_b64_e32 v[14:15], 0
	v_mov_b64_e32 v[8:9], 0
	v_mov_b64_e32 v[10:11], 0
	v_mov_b64_e32 v[88:89], 0
	v_mov_b64_e32 v[90:91], 0
	s_wait_loadcnt 0x0
	s_wait_xcnt 0x0
	v_add_nc_u64_e32 v[0:1], s[14:15], v[38:39]
	s_and_not1_b32 vcc_lo, exec_lo, s1
	s_mov_b32 s24, -1
                                        ; implicit-def: $vgpr2_vgpr3
                                        ; implicit-def: $vgpr4_vgpr5
	s_cbranch_vccz .LBB251_7
.LBB251_9:                              ;   in Loop: Header=BB251_3 Depth=1
	s_and_not1_b32 vcc_lo, exec_lo, s24
	s_cbranch_vccnz .LBB251_2
.LBB251_10:                             ;   in Loop: Header=BB251_3 Depth=1
	v_add_nc_u64_e32 v[2:3], s[18:19], v[36:37]
	s_wait_xcnt 0x0
	v_lshlrev_b64_e32 v[6:7], 4, v[30:31]
	v_mul_f64_e32 v[40:41], s[8:9], v[66:67]
	v_mul_f64_e32 v[42:43], s[6:7], v[66:67]
	s_delay_alu instid0(VALU_DEP_4) | instskip(NEXT) | instid1(VALU_DEP_1)
	v_lshl_add_u64 v[36:37], v[28:29], 4, v[2:3]
	v_add_nc_u64_e32 v[38:39], v[36:37], v[6:7]
	flat_load_b128 v[2:5], v[38:39]
	v_fma_f64 v[40:41], s[6:7], v[64:65], -v[40:41]
	v_fmac_f64_e32 v[42:43], s[8:9], v[64:65]
	s_wait_loadcnt_dscnt 0x0
	v_mul_f64_e32 v[66:67], s[40:41], v[4:5]
	v_mul_f64_e32 v[4:5], s[38:39], v[4:5]
	s_delay_alu instid0(VALU_DEP_2) | instskip(NEXT) | instid1(VALU_DEP_2)
	v_fma_f64 v[64:65], s[38:39], v[2:3], -v[66:67]
	v_fmac_f64_e32 v[4:5], s[40:41], v[2:3]
	s_delay_alu instid0(VALU_DEP_2) | instskip(NEXT) | instid1(VALU_DEP_2)
	v_add_f64_e32 v[2:3], v[40:41], v[64:65]
	v_add_f64_e32 v[4:5], v[42:43], v[4:5]
	v_lshl_add_u64 v[40:41], v[26:27], 4, v[0:1]
	s_delay_alu instid0(VALU_DEP_1) | instskip(SKIP_4) | instid1(VALU_DEP_2)
	v_add_nc_u64_e32 v[42:43], v[40:41], v[6:7]
	flat_store_b128 v[42:43], v[2:5]
	flat_load_b128 v[0:3], v[38:39] offset:256
	v_mul_f64_e32 v[4:5], s[8:9], v[52:53]
	v_mul_f64_e32 v[52:53], s[6:7], v[52:53]
	v_fma_f64 v[4:5], s[6:7], v[48:49], -v[4:5]
	s_delay_alu instid0(VALU_DEP_2) | instskip(SKIP_3) | instid1(VALU_DEP_2)
	v_fmac_f64_e32 v[52:53], s[8:9], v[48:49]
	s_wait_loadcnt_dscnt 0x0
	v_mul_f64_e32 v[64:65], s[40:41], v[2:3]
	v_mul_f64_e32 v[2:3], s[38:39], v[2:3]
	v_fma_f64 v[48:49], s[38:39], v[0:1], -v[64:65]
	s_delay_alu instid0(VALU_DEP_2) | instskip(NEXT) | instid1(VALU_DEP_2)
	v_fmac_f64_e32 v[2:3], s[40:41], v[0:1]
	v_add_f64_e32 v[0:1], v[4:5], v[48:49]
	s_delay_alu instid0(VALU_DEP_2)
	v_add_f64_e32 v[2:3], v[52:53], v[2:3]
	v_mul_f64_e32 v[4:5], s[8:9], v[46:47]
	v_mul_f64_e32 v[46:47], s[6:7], v[46:47]
	flat_store_b128 v[42:43], v[0:3] offset:256
	flat_load_b128 v[0:3], v[38:39] offset:512
	v_fma_f64 v[4:5], s[6:7], v[44:45], -v[4:5]
	v_fmac_f64_e32 v[46:47], s[8:9], v[44:45]
	s_wait_loadcnt_dscnt 0x0
	v_mul_f64_e32 v[48:49], s[40:41], v[2:3]
	v_mul_f64_e32 v[2:3], s[38:39], v[2:3]
	s_delay_alu instid0(VALU_DEP_2) | instskip(NEXT) | instid1(VALU_DEP_2)
	v_fma_f64 v[44:45], s[38:39], v[0:1], -v[48:49]
	v_fmac_f64_e32 v[2:3], s[40:41], v[0:1]
	s_delay_alu instid0(VALU_DEP_2) | instskip(NEXT) | instid1(VALU_DEP_2)
	v_add_f64_e32 v[0:1], v[4:5], v[44:45]
	v_add_f64_e32 v[2:3], v[46:47], v[2:3]
	v_mul_f64_e32 v[4:5], s[8:9], v[22:23]
	v_mul_f64_e32 v[22:23], s[6:7], v[22:23]
	flat_store_b128 v[42:43], v[0:3] offset:512
	flat_load_b128 v[0:3], v[38:39] offset:768
	v_fma_f64 v[4:5], s[6:7], v[20:21], -v[4:5]
	v_fmac_f64_e32 v[22:23], s[8:9], v[20:21]
	s_wait_loadcnt_dscnt 0x0
	s_wait_xcnt 0x0
	v_mul_f64_e32 v[38:39], s[40:41], v[2:3]
	v_mul_f64_e32 v[2:3], s[38:39], v[2:3]
	s_delay_alu instid0(VALU_DEP_2) | instskip(NEXT) | instid1(VALU_DEP_2)
	v_fma_f64 v[20:21], s[38:39], v[0:1], -v[38:39]
	v_fmac_f64_e32 v[2:3], s[40:41], v[0:1]
	s_delay_alu instid0(VALU_DEP_2) | instskip(NEXT) | instid1(VALU_DEP_2)
	v_add_f64_e32 v[0:1], v[4:5], v[20:21]
	v_add_f64_e32 v[2:3], v[22:23], v[2:3]
	v_add_nc_u64_e32 v[4:5], s[20:21], v[36:37]
	v_mul_f64_e32 v[22:23], s[8:9], v[86:87]
	v_mul_f64_e32 v[36:37], s[6:7], v[86:87]
	s_delay_alu instid0(VALU_DEP_3)
	v_add_nc_u64_e32 v[20:21], v[4:5], v[6:7]
	v_add_nc_u64_e32 v[4:5], s[20:21], v[4:5]
	flat_store_b128 v[42:43], v[0:3] offset:768
	flat_load_b128 v[0:3], v[20:21]
	v_fma_f64 v[22:23], s[6:7], v[84:85], -v[22:23]
	v_fmac_f64_e32 v[36:37], s[8:9], v[84:85]
	s_wait_loadcnt_dscnt 0x0
	v_mul_f64_e32 v[38:39], s[40:41], v[2:3]
	v_mul_f64_e32 v[2:3], s[38:39], v[2:3]
	s_delay_alu instid0(VALU_DEP_2) | instskip(NEXT) | instid1(VALU_DEP_2)
	v_fma_f64 v[38:39], s[38:39], v[0:1], -v[38:39]
	v_fmac_f64_e32 v[2:3], s[40:41], v[0:1]
	s_delay_alu instid0(VALU_DEP_2) | instskip(NEXT) | instid1(VALU_DEP_2)
	v_add_f64_e32 v[0:1], v[22:23], v[38:39]
	v_add_f64_e32 v[2:3], v[36:37], v[2:3]
	v_add_nc_u64_e32 v[22:23], s[22:23], v[40:41]
	v_mul_f64_e32 v[38:39], s[8:9], v[80:81]
	v_mul_f64_e32 v[40:41], s[6:7], v[80:81]
	s_delay_alu instid0(VALU_DEP_3)
	v_add_nc_u64_e32 v[36:37], v[22:23], v[6:7]
	v_add_nc_u64_e32 v[22:23], s[22:23], v[22:23]
	flat_store_b128 v[36:37], v[0:3]
	flat_load_b128 v[0:3], v[20:21] offset:256
	v_fma_f64 v[38:39], s[6:7], v[76:77], -v[38:39]
	v_fmac_f64_e32 v[40:41], s[8:9], v[76:77]
	s_wait_loadcnt_dscnt 0x0
	v_mul_f64_e32 v[42:43], s[40:41], v[2:3]
	v_mul_f64_e32 v[2:3], s[38:39], v[2:3]
	s_delay_alu instid0(VALU_DEP_2) | instskip(NEXT) | instid1(VALU_DEP_2)
	v_fma_f64 v[42:43], s[38:39], v[0:1], -v[42:43]
	v_fmac_f64_e32 v[2:3], s[40:41], v[0:1]
	s_delay_alu instid0(VALU_DEP_2) | instskip(NEXT) | instid1(VALU_DEP_2)
	v_add_f64_e32 v[0:1], v[38:39], v[42:43]
	v_add_f64_e32 v[2:3], v[40:41], v[2:3]
	v_mul_f64_e32 v[38:39], s[8:9], v[72:73]
	v_mul_f64_e32 v[40:41], s[6:7], v[72:73]
	flat_store_b128 v[36:37], v[0:3] offset:256
	flat_load_b128 v[0:3], v[20:21] offset:512
	v_fma_f64 v[38:39], s[6:7], v[68:69], -v[38:39]
	v_fmac_f64_e32 v[40:41], s[8:9], v[68:69]
	s_wait_loadcnt_dscnt 0x0
	v_mul_f64_e32 v[42:43], s[40:41], v[2:3]
	v_mul_f64_e32 v[2:3], s[38:39], v[2:3]
	s_delay_alu instid0(VALU_DEP_2) | instskip(NEXT) | instid1(VALU_DEP_2)
	v_fma_f64 v[42:43], s[38:39], v[0:1], -v[42:43]
	v_fmac_f64_e32 v[2:3], s[40:41], v[0:1]
	s_delay_alu instid0(VALU_DEP_2) | instskip(NEXT) | instid1(VALU_DEP_2)
	v_add_f64_e32 v[0:1], v[38:39], v[42:43]
	v_add_f64_e32 v[2:3], v[40:41], v[2:3]
	v_mul_f64_e32 v[38:39], s[6:7], v[60:61]
	flat_store_b128 v[36:37], v[0:3] offset:512
	flat_load_b128 v[0:3], v[20:21] offset:768
	s_wait_xcnt 0x0
	v_mul_f64_e32 v[20:21], s[8:9], v[60:61]
	v_fmac_f64_e32 v[38:39], s[8:9], v[56:57]
	s_delay_alu instid0(VALU_DEP_2) | instskip(SKIP_3) | instid1(VALU_DEP_2)
	v_fma_f64 v[20:21], s[6:7], v[56:57], -v[20:21]
	s_wait_loadcnt_dscnt 0x0
	v_mul_f64_e32 v[40:41], s[40:41], v[2:3]
	v_mul_f64_e32 v[2:3], s[38:39], v[2:3]
	v_fma_f64 v[40:41], s[38:39], v[0:1], -v[40:41]
	s_delay_alu instid0(VALU_DEP_2) | instskip(NEXT) | instid1(VALU_DEP_2)
	v_fmac_f64_e32 v[2:3], s[40:41], v[0:1]
	v_add_f64_e32 v[0:1], v[20:21], v[40:41]
	s_delay_alu instid0(VALU_DEP_2) | instskip(SKIP_3) | instid1(VALU_DEP_1)
	v_add_f64_e32 v[2:3], v[38:39], v[2:3]
	v_add_nc_u64_e32 v[20:21], v[4:5], v[6:7]
	v_mul_f64_e32 v[38:39], s[6:7], v[82:83]
	v_add_nc_u64_e32 v[4:5], s[20:21], v[4:5]
	v_add_nc_u64_e32 v[4:5], v[4:5], v[6:7]
	flat_store_b128 v[36:37], v[0:3] offset:768
	flat_load_b128 v[0:3], v[20:21]
	v_mul_f64_e32 v[36:37], s[8:9], v[82:83]
	v_fmac_f64_e32 v[38:39], s[8:9], v[78:79]
	s_delay_alu instid0(VALU_DEP_2) | instskip(SKIP_3) | instid1(VALU_DEP_2)
	v_fma_f64 v[36:37], s[6:7], v[78:79], -v[36:37]
	s_wait_loadcnt_dscnt 0x0
	v_mul_f64_e32 v[40:41], s[40:41], v[2:3]
	v_mul_f64_e32 v[2:3], s[38:39], v[2:3]
	v_fma_f64 v[40:41], s[38:39], v[0:1], -v[40:41]
	s_delay_alu instid0(VALU_DEP_2) | instskip(NEXT) | instid1(VALU_DEP_2)
	v_fmac_f64_e32 v[2:3], s[40:41], v[0:1]
	v_add_f64_e32 v[0:1], v[36:37], v[40:41]
	s_delay_alu instid0(VALU_DEP_2)
	v_add_f64_e32 v[2:3], v[38:39], v[2:3]
	v_add_nc_u64_e32 v[36:37], v[22:23], v[6:7]
	v_mul_f64_e32 v[38:39], s[8:9], v[74:75]
	v_mul_f64_e32 v[40:41], s[6:7], v[74:75]
	flat_store_b128 v[36:37], v[0:3]
	flat_load_b128 v[0:3], v[20:21] offset:256
	v_fma_f64 v[38:39], s[6:7], v[70:71], -v[38:39]
	v_fmac_f64_e32 v[40:41], s[8:9], v[70:71]
	s_wait_loadcnt_dscnt 0x0
	v_mul_f64_e32 v[42:43], s[40:41], v[2:3]
	v_mul_f64_e32 v[2:3], s[38:39], v[2:3]
	s_delay_alu instid0(VALU_DEP_2) | instskip(NEXT) | instid1(VALU_DEP_2)
	v_fma_f64 v[42:43], s[38:39], v[0:1], -v[42:43]
	v_fmac_f64_e32 v[2:3], s[40:41], v[0:1]
	s_delay_alu instid0(VALU_DEP_2) | instskip(NEXT) | instid1(VALU_DEP_2)
	v_add_f64_e32 v[0:1], v[38:39], v[42:43]
	v_add_f64_e32 v[2:3], v[40:41], v[2:3]
	v_mul_f64_e32 v[38:39], s[8:9], v[62:63]
	v_mul_f64_e32 v[40:41], s[6:7], v[62:63]
	flat_store_b128 v[36:37], v[0:3] offset:256
	flat_load_b128 v[0:3], v[20:21] offset:512
	v_fma_f64 v[38:39], s[6:7], v[58:59], -v[38:39]
	v_fmac_f64_e32 v[40:41], s[8:9], v[58:59]
	s_wait_loadcnt_dscnt 0x0
	v_mul_f64_e32 v[42:43], s[40:41], v[2:3]
	v_mul_f64_e32 v[2:3], s[38:39], v[2:3]
	s_delay_alu instid0(VALU_DEP_2) | instskip(NEXT) | instid1(VALU_DEP_2)
	v_fma_f64 v[42:43], s[38:39], v[0:1], -v[42:43]
	v_fmac_f64_e32 v[2:3], s[40:41], v[0:1]
	s_delay_alu instid0(VALU_DEP_2) | instskip(NEXT) | instid1(VALU_DEP_2)
	v_add_f64_e32 v[0:1], v[38:39], v[42:43]
	v_add_f64_e32 v[2:3], v[40:41], v[2:3]
	v_mul_f64_e32 v[38:39], s[6:7], v[54:55]
	flat_store_b128 v[36:37], v[0:3] offset:512
	flat_load_b128 v[0:3], v[20:21] offset:768
	s_wait_xcnt 0x0
	v_mul_f64_e32 v[20:21], s[8:9], v[54:55]
	v_fmac_f64_e32 v[38:39], s[8:9], v[50:51]
	s_delay_alu instid0(VALU_DEP_2) | instskip(SKIP_3) | instid1(VALU_DEP_2)
	v_fma_f64 v[20:21], s[6:7], v[50:51], -v[20:21]
	s_wait_loadcnt_dscnt 0x0
	v_mul_f64_e32 v[40:41], s[40:41], v[2:3]
	v_mul_f64_e32 v[2:3], s[38:39], v[2:3]
	v_fma_f64 v[40:41], s[38:39], v[0:1], -v[40:41]
	s_delay_alu instid0(VALU_DEP_2) | instskip(NEXT) | instid1(VALU_DEP_2)
	v_fmac_f64_e32 v[2:3], s[40:41], v[0:1]
	v_add_f64_e32 v[0:1], v[20:21], v[40:41]
	s_delay_alu instid0(VALU_DEP_2)
	v_add_f64_e32 v[2:3], v[38:39], v[2:3]
	v_mul_f64_e32 v[20:21], s[8:9], v[18:19]
	v_mul_f64_e32 v[18:19], s[6:7], v[18:19]
	flat_store_b128 v[36:37], v[0:3] offset:768
	flat_load_b128 v[0:3], v[4:5]
	v_fma_f64 v[20:21], s[6:7], v[16:17], -v[20:21]
	v_fmac_f64_e32 v[18:19], s[8:9], v[16:17]
	s_wait_loadcnt_dscnt 0x0
	v_mul_f64_e32 v[36:37], s[40:41], v[2:3]
	v_mul_f64_e32 v[2:3], s[38:39], v[2:3]
	s_delay_alu instid0(VALU_DEP_2) | instskip(NEXT) | instid1(VALU_DEP_2)
	v_fma_f64 v[16:17], s[38:39], v[0:1], -v[36:37]
	v_fmac_f64_e32 v[2:3], s[40:41], v[0:1]
	s_delay_alu instid0(VALU_DEP_2) | instskip(NEXT) | instid1(VALU_DEP_2)
	v_add_f64_e32 v[0:1], v[20:21], v[16:17]
	v_add_f64_e32 v[2:3], v[18:19], v[2:3]
	v_add_nc_u64_e32 v[16:17], s[22:23], v[22:23]
	s_delay_alu instid0(VALU_DEP_1)
	v_add_nc_u64_e32 v[6:7], v[16:17], v[6:7]
	v_mul_f64_e32 v[16:17], s[8:9], v[14:15]
	v_mul_f64_e32 v[14:15], s[6:7], v[14:15]
	flat_store_b128 v[6:7], v[0:3]
	flat_load_b128 v[0:3], v[4:5] offset:256
	v_fma_f64 v[16:17], s[6:7], v[12:13], -v[16:17]
	v_fmac_f64_e32 v[14:15], s[8:9], v[12:13]
	s_wait_loadcnt_dscnt 0x0
	v_mul_f64_e32 v[18:19], s[40:41], v[2:3]
	v_mul_f64_e32 v[2:3], s[38:39], v[2:3]
	s_delay_alu instid0(VALU_DEP_2) | instskip(NEXT) | instid1(VALU_DEP_2)
	v_fma_f64 v[12:13], s[38:39], v[0:1], -v[18:19]
	v_fmac_f64_e32 v[2:3], s[40:41], v[0:1]
	s_delay_alu instid0(VALU_DEP_2) | instskip(NEXT) | instid1(VALU_DEP_2)
	v_add_f64_e32 v[0:1], v[16:17], v[12:13]
	v_add_f64_e32 v[2:3], v[14:15], v[2:3]
	v_mul_f64_e32 v[12:13], s[8:9], v[10:11]
	v_mul_f64_e32 v[10:11], s[6:7], v[10:11]
	flat_store_b128 v[6:7], v[0:3] offset:256
	flat_load_b128 v[0:3], v[4:5] offset:512
	v_fma_f64 v[12:13], s[6:7], v[8:9], -v[12:13]
	v_fmac_f64_e32 v[10:11], s[8:9], v[8:9]
	s_wait_loadcnt_dscnt 0x0
	v_mul_f64_e32 v[14:15], s[40:41], v[2:3]
	v_mul_f64_e32 v[2:3], s[38:39], v[2:3]
	s_delay_alu instid0(VALU_DEP_2) | instskip(NEXT) | instid1(VALU_DEP_2)
	v_fma_f64 v[8:9], s[38:39], v[0:1], -v[14:15]
	v_fmac_f64_e32 v[2:3], s[40:41], v[0:1]
	s_delay_alu instid0(VALU_DEP_2) | instskip(NEXT) | instid1(VALU_DEP_2)
	v_add_f64_e32 v[0:1], v[12:13], v[8:9]
	v_add_f64_e32 v[2:3], v[10:11], v[2:3]
	v_mul_f64_e32 v[8:9], s[6:7], v[90:91]
	flat_store_b128 v[6:7], v[0:3] offset:512
	flat_load_b128 v[0:3], v[4:5] offset:768
	s_wait_xcnt 0x0
	v_mul_f64_e32 v[4:5], s[8:9], v[90:91]
	v_fmac_f64_e32 v[8:9], s[8:9], v[88:89]
	s_delay_alu instid0(VALU_DEP_2) | instskip(SKIP_3) | instid1(VALU_DEP_2)
	v_fma_f64 v[4:5], s[6:7], v[88:89], -v[4:5]
	s_wait_loadcnt_dscnt 0x0
	v_mul_f64_e32 v[10:11], s[40:41], v[2:3]
	v_mul_f64_e32 v[2:3], s[38:39], v[2:3]
	v_fma_f64 v[10:11], s[38:39], v[0:1], -v[10:11]
	s_delay_alu instid0(VALU_DEP_2) | instskip(NEXT) | instid1(VALU_DEP_2)
	v_fmac_f64_e32 v[2:3], s[40:41], v[0:1]
	v_add_f64_e32 v[0:1], v[4:5], v[10:11]
	s_delay_alu instid0(VALU_DEP_2)
	v_add_f64_e32 v[2:3], v[8:9], v[2:3]
	v_add_nc_u64_e32 v[4:5], 0x300, v[6:7]
	flat_store_b64 v[6:7], v[0:1] offset:768
	s_branch .LBB251_2
.LBB251_11:
	s_sendmsg sendmsg(MSG_DEALLOC_VGPRS)
	s_endpgm
	.section	.rodata,"a",@progbits
	.p2align	6, 0x0
	.amdhsa_kernel _ZN12_GLOBAL__N_127rocblas_gemm_batched_kernelI19rocblas_complex_numIdELi16ELi16ELi64ELi64ELi4ELi64ELi4ELi4ELi64ELc78ELc78EKPKS2_S5_KPS2_EEvlllT_PT11_llSA_llS8_PT12_llPT13_lli
		.amdhsa_group_segment_fixed_size 8192
		.amdhsa_private_segment_fixed_size 0
		.amdhsa_kernarg_size 156
		.amdhsa_user_sgpr_count 2
		.amdhsa_user_sgpr_dispatch_ptr 0
		.amdhsa_user_sgpr_queue_ptr 0
		.amdhsa_user_sgpr_kernarg_segment_ptr 1
		.amdhsa_user_sgpr_dispatch_id 0
		.amdhsa_user_sgpr_kernarg_preload_length 0
		.amdhsa_user_sgpr_kernarg_preload_offset 0
		.amdhsa_user_sgpr_private_segment_size 0
		.amdhsa_wavefront_size32 1
		.amdhsa_uses_dynamic_stack 0
		.amdhsa_enable_private_segment 0
		.amdhsa_system_sgpr_workgroup_id_x 1
		.amdhsa_system_sgpr_workgroup_id_y 1
		.amdhsa_system_sgpr_workgroup_id_z 1
		.amdhsa_system_sgpr_workgroup_info 0
		.amdhsa_system_vgpr_workitem_id 1
		.amdhsa_next_free_vgpr 154
		.amdhsa_next_free_sgpr 52
		.amdhsa_named_barrier_count 0
		.amdhsa_reserve_vcc 1
		.amdhsa_float_round_mode_32 0
		.amdhsa_float_round_mode_16_64 0
		.amdhsa_float_denorm_mode_32 3
		.amdhsa_float_denorm_mode_16_64 3
		.amdhsa_fp16_overflow 0
		.amdhsa_memory_ordered 1
		.amdhsa_forward_progress 1
		.amdhsa_inst_pref_size 45
		.amdhsa_round_robin_scheduling 0
		.amdhsa_exception_fp_ieee_invalid_op 0
		.amdhsa_exception_fp_denorm_src 0
		.amdhsa_exception_fp_ieee_div_zero 0
		.amdhsa_exception_fp_ieee_overflow 0
		.amdhsa_exception_fp_ieee_underflow 0
		.amdhsa_exception_fp_ieee_inexact 0
		.amdhsa_exception_int_div_zero 0
	.end_amdhsa_kernel
	.section	.text._ZN12_GLOBAL__N_127rocblas_gemm_batched_kernelI19rocblas_complex_numIdELi16ELi16ELi64ELi64ELi4ELi64ELi4ELi4ELi64ELc78ELc78EKPKS2_S5_KPS2_EEvlllT_PT11_llSA_llS8_PT12_llPT13_lli,"axG",@progbits,_ZN12_GLOBAL__N_127rocblas_gemm_batched_kernelI19rocblas_complex_numIdELi16ELi16ELi64ELi64ELi4ELi64ELi4ELi4ELi64ELc78ELc78EKPKS2_S5_KPS2_EEvlllT_PT11_llSA_llS8_PT12_llPT13_lli,comdat
.Lfunc_end251:
	.size	_ZN12_GLOBAL__N_127rocblas_gemm_batched_kernelI19rocblas_complex_numIdELi16ELi16ELi64ELi64ELi4ELi64ELi4ELi4ELi64ELc78ELc78EKPKS2_S5_KPS2_EEvlllT_PT11_llSA_llS8_PT12_llPT13_lli, .Lfunc_end251-_ZN12_GLOBAL__N_127rocblas_gemm_batched_kernelI19rocblas_complex_numIdELi16ELi16ELi64ELi64ELi4ELi64ELi4ELi4ELi64ELc78ELc78EKPKS2_S5_KPS2_EEvlllT_PT11_llSA_llS8_PT12_llPT13_lli
                                        ; -- End function
	.set _ZN12_GLOBAL__N_127rocblas_gemm_batched_kernelI19rocblas_complex_numIdELi16ELi16ELi64ELi64ELi4ELi64ELi4ELi4ELi64ELc78ELc78EKPKS2_S5_KPS2_EEvlllT_PT11_llSA_llS8_PT12_llPT13_lli.num_vgpr, 154
	.set _ZN12_GLOBAL__N_127rocblas_gemm_batched_kernelI19rocblas_complex_numIdELi16ELi16ELi64ELi64ELi4ELi64ELi4ELi4ELi64ELc78ELc78EKPKS2_S5_KPS2_EEvlllT_PT11_llSA_llS8_PT12_llPT13_lli.num_agpr, 0
	.set _ZN12_GLOBAL__N_127rocblas_gemm_batched_kernelI19rocblas_complex_numIdELi16ELi16ELi64ELi64ELi4ELi64ELi4ELi4ELi64ELc78ELc78EKPKS2_S5_KPS2_EEvlllT_PT11_llSA_llS8_PT12_llPT13_lli.numbered_sgpr, 52
	.set _ZN12_GLOBAL__N_127rocblas_gemm_batched_kernelI19rocblas_complex_numIdELi16ELi16ELi64ELi64ELi4ELi64ELi4ELi4ELi64ELc78ELc78EKPKS2_S5_KPS2_EEvlllT_PT11_llSA_llS8_PT12_llPT13_lli.num_named_barrier, 0
	.set _ZN12_GLOBAL__N_127rocblas_gemm_batched_kernelI19rocblas_complex_numIdELi16ELi16ELi64ELi64ELi4ELi64ELi4ELi4ELi64ELc78ELc78EKPKS2_S5_KPS2_EEvlllT_PT11_llSA_llS8_PT12_llPT13_lli.private_seg_size, 0
	.set _ZN12_GLOBAL__N_127rocblas_gemm_batched_kernelI19rocblas_complex_numIdELi16ELi16ELi64ELi64ELi4ELi64ELi4ELi4ELi64ELc78ELc78EKPKS2_S5_KPS2_EEvlllT_PT11_llSA_llS8_PT12_llPT13_lli.uses_vcc, 1
	.set _ZN12_GLOBAL__N_127rocblas_gemm_batched_kernelI19rocblas_complex_numIdELi16ELi16ELi64ELi64ELi4ELi64ELi4ELi4ELi64ELc78ELc78EKPKS2_S5_KPS2_EEvlllT_PT11_llSA_llS8_PT12_llPT13_lli.uses_flat_scratch, 1
	.set _ZN12_GLOBAL__N_127rocblas_gemm_batched_kernelI19rocblas_complex_numIdELi16ELi16ELi64ELi64ELi4ELi64ELi4ELi4ELi64ELc78ELc78EKPKS2_S5_KPS2_EEvlllT_PT11_llSA_llS8_PT12_llPT13_lli.has_dyn_sized_stack, 0
	.set _ZN12_GLOBAL__N_127rocblas_gemm_batched_kernelI19rocblas_complex_numIdELi16ELi16ELi64ELi64ELi4ELi64ELi4ELi4ELi64ELc78ELc78EKPKS2_S5_KPS2_EEvlllT_PT11_llSA_llS8_PT12_llPT13_lli.has_recursion, 0
	.set _ZN12_GLOBAL__N_127rocblas_gemm_batched_kernelI19rocblas_complex_numIdELi16ELi16ELi64ELi64ELi4ELi64ELi4ELi4ELi64ELc78ELc78EKPKS2_S5_KPS2_EEvlllT_PT11_llSA_llS8_PT12_llPT13_lli.has_indirect_call, 0
	.section	.AMDGPU.csdata,"",@progbits
; Kernel info:
; codeLenInByte = 5672
; TotalNumSgprs: 54
; NumVgprs: 154
; ScratchSize: 0
; MemoryBound: 0
; FloatMode: 240
; IeeeMode: 1
; LDSByteSize: 8192 bytes/workgroup (compile time only)
; SGPRBlocks: 0
; VGPRBlocks: 9
; NumSGPRsForWavesPerEU: 54
; NumVGPRsForWavesPerEU: 154
; NamedBarCnt: 0
; Occupancy: 6
; WaveLimiterHint : 1
; COMPUTE_PGM_RSRC2:SCRATCH_EN: 0
; COMPUTE_PGM_RSRC2:USER_SGPR: 2
; COMPUTE_PGM_RSRC2:TRAP_HANDLER: 0
; COMPUTE_PGM_RSRC2:TGID_X_EN: 1
; COMPUTE_PGM_RSRC2:TGID_Y_EN: 1
; COMPUTE_PGM_RSRC2:TGID_Z_EN: 1
; COMPUTE_PGM_RSRC2:TIDIG_COMP_CNT: 1
	.section	.text._ZN12_GLOBAL__N_127rocblas_gemm_batched_kernelI19rocblas_complex_numIdELi16ELi16ELi64ELi64ELi4ELi64ELi4ELi4ELi64ELc84ELc78EKPKS2_S5_KPS2_EEvlllT_PT11_llSA_llS8_PT12_llPT13_lli,"axG",@progbits,_ZN12_GLOBAL__N_127rocblas_gemm_batched_kernelI19rocblas_complex_numIdELi16ELi16ELi64ELi64ELi4ELi64ELi4ELi4ELi64ELc84ELc78EKPKS2_S5_KPS2_EEvlllT_PT11_llSA_llS8_PT12_llPT13_lli,comdat
	.globl	_ZN12_GLOBAL__N_127rocblas_gemm_batched_kernelI19rocblas_complex_numIdELi16ELi16ELi64ELi64ELi4ELi64ELi4ELi4ELi64ELc84ELc78EKPKS2_S5_KPS2_EEvlllT_PT11_llSA_llS8_PT12_llPT13_lli ; -- Begin function _ZN12_GLOBAL__N_127rocblas_gemm_batched_kernelI19rocblas_complex_numIdELi16ELi16ELi64ELi64ELi4ELi64ELi4ELi4ELi64ELc84ELc78EKPKS2_S5_KPS2_EEvlllT_PT11_llSA_llS8_PT12_llPT13_lli
	.p2align	8
	.type	_ZN12_GLOBAL__N_127rocblas_gemm_batched_kernelI19rocblas_complex_numIdELi16ELi16ELi64ELi64ELi4ELi64ELi4ELi4ELi64ELc84ELc78EKPKS2_S5_KPS2_EEvlllT_PT11_llSA_llS8_PT12_llPT13_lli,@function
_ZN12_GLOBAL__N_127rocblas_gemm_batched_kernelI19rocblas_complex_numIdELi16ELi16ELi64ELi64ELi4ELi64ELi4ELi4ELi64ELc84ELc78EKPKS2_S5_KPS2_EEvlllT_PT11_llSA_llS8_PT12_llPT13_lli: ; @_ZN12_GLOBAL__N_127rocblas_gemm_batched_kernelI19rocblas_complex_numIdELi16ELi16ELi64ELi64ELi4ELi64ELi4ELi4ELi64ELc84ELc78EKPKS2_S5_KPS2_EEvlllT_PT11_llSA_llS8_PT12_llPT13_lli
; %bb.0:
	s_load_b32 s24, s[0:1], 0x98
	s_bfe_u32 s2, ttmp6, 0x40014
	s_lshr_b32 s3, ttmp7, 16
	s_add_co_i32 s2, s2, 1
	s_bfe_u32 s4, ttmp6, 0x40008
	s_mul_i32 s2, s3, s2
	s_getreg_b32 s20, hwreg(HW_REG_IB_STS2, 6, 4)
	s_add_co_i32 s4, s4, s2
	s_cmp_eq_u32 s20, 0
	s_cselect_b32 s2, s3, s4
	s_mov_b32 s3, 0
	s_wait_kmcnt 0x0
	s_cmp_ge_i32 s2, s24
	s_cbranch_scc1 .LBB252_11
; %bb.1:
	v_bfe_u32 v24, v0, 10, 10
	v_and_b32_e32 v2, 0x3ff, v0
	s_bfe_u32 s22, ttmp6, 0x4000c
	s_bfe_u32 s23, ttmp6, 0x40010
	s_clause 0x1
	s_load_b512 s[4:19], s[0:1], 0x10
	s_load_b512 s[36:51], s[0:1], 0x50
	s_add_co_i32 s22, s22, 1
	s_and_b32 s25, ttmp7, 0xffff
	s_add_co_i32 s23, s23, 1
	s_and_b32 s21, ttmp6, 15
	s_mul_i32 s22, ttmp9, s22
	s_mul_i32 s23, s25, s23
	s_bfe_u32 s26, ttmp6, 0x40004
	v_lshl_add_u32 v1, v24, 4, v2
	v_mov_b32_e32 v25, 0
	s_add_co_i32 s21, s21, s22
	s_add_co_i32 s26, s26, s23
	s_cmp_eq_u32 s20, 0
	v_and_b32_e32 v12, 63, v1
	s_cselect_b32 s20, ttmp9, s21
	v_dual_mov_b32 v5, v25 :: v_dual_lshrrev_b32 v4, 2, v1
	s_cselect_b32 s22, s25, s26
	s_ashr_i32 s21, s20, 31
	s_lshl_b32 s22, s22, 6
	s_lshl_b64 s[20:21], s[20:21], 6
	s_mov_b32 s23, s3
	v_dual_mov_b32 v7, s21 :: v_dual_bitop2_b32 v6, s20, v12 bitop3:0x54
	v_add_nc_u64_e32 v[8:9], s[22:23], v[4:5]
	v_add_nc_u64_e32 v[10:11], s[22:23], v[24:25]
	s_wait_kmcnt 0x0
	v_cmp_eq_f64_e64 s25, s[38:39], 0
	v_cmp_eq_f64_e64 s26, s[40:41], 0
	v_mul_u64_e32 v[6:7], s[12:13], v[6:7]
	v_dual_mov_b32 v3, v25 :: v_dual_lshlrev_b32 v0, 4, v0
	v_mul_u64_e32 v[8:9], s[18:19], v[8:9]
	v_mul_u64_e32 v[26:27], s[50:51], v[10:11]
	;; [unrolled: 1-line block ×3, first 2 shown]
	s_delay_alu instid0(VALU_DEP_4) | instskip(SKIP_2) | instid1(VALU_DEP_2)
	v_dual_lshrrev_b32 v1, 6, v1 :: v_dual_bitop2_b32 v0, 48, v0 bitop3:0x40
	s_load_b64 s[12:13], s[0:1], 0x90
	v_dual_lshlrev_b32 v5, 4, v12 :: v_dual_lshlrev_b32 v104, 4, v2
	v_lshl_or_b32 v4, v4, 6, v0
	s_wait_xcnt 0x0
	v_cmp_gt_i64_e64 s0, s[4:5], 0
	s_lshl_b64 s[14:15], s[14:15], 4
	v_add_nc_u64_e32 v[30:31], s[20:21], v[2:3]
	v_lshl_add_u32 v105, v24, 6, 0x1000
	v_lshl_or_b32 v106, v1, 10, v5
	v_add_nc_u32_e32 v107, 0x1000, v4
	v_dual_mov_b32 v1, v25 :: v_dual_lshlrev_b32 v24, 4, v1
	s_lshl_b64 s[20:21], s[50:51], 4
	s_lshl_b64 s[18:19], s[44:45], 4
	;; [unrolled: 1-line block ×4, first 2 shown]
	s_wait_kmcnt 0x0
	s_lshl_b64 s[12:13], s[12:13], 4
	s_and_b32 s1, s25, s26
	v_lshl_add_u64 v[2:3], v[6:7], 4, s[14:15]
	s_lshl_b64 s[14:15], s[36:37], 4
	v_cndmask_b32_e64 v6, 0, 1, s0
	v_lshl_add_u64 v[4:5], v[8:9], 4, s[14:15]
	s_lshl_b64 s[14:15], s[46:47], 4
	v_add_nc_u64_e32 v[32:33], v[2:3], v[24:25]
	s_delay_alu instid0(VALU_DEP_3) | instskip(NEXT) | instid1(VALU_DEP_3)
	v_cmp_ne_u32_e64 s0, 1, v6
	v_add_nc_u64_e32 v[34:35], v[4:5], v[0:1]
	s_branch .LBB252_3
.LBB252_2:                              ;   in Loop: Header=BB252_3 Depth=1
	s_add_co_i32 s2, s2, 0x10000
	flat_store_b64 v[4:5], v[2:3] offset:8
	s_cmp_lt_i32 s2, s24
	s_cbranch_scc0 .LBB252_11
.LBB252_3:                              ; =>This Loop Header: Depth=1
                                        ;     Child Loop BB252_5 Depth 2
	s_wait_xcnt 0x1
	v_mov_b32_e32 v0, s2
	s_and_b32 vcc_lo, exec_lo, s0
	s_clause 0x1
	global_load_b64 v[36:37], v0, s[42:43] scale_offset
	global_load_b64 v[38:39], v0, s[48:49] scale_offset
	s_cbranch_vccnz .LBB252_8
; %bb.4:                                ;   in Loop: Header=BB252_3 Depth=1
	s_lshl_b64 s[22:23], s[2:3], 3
	v_mov_b64_e32 v[90:91], 0
	s_add_nc_u64 s[26:27], s[10:11], s[22:23]
	s_add_nc_u64 s[22:23], s[16:17], s[22:23]
	s_clause 0x1
	global_load_b64 v[0:1], v25, s[26:27]
	global_load_b64 v[2:3], v25, s[22:23]
	v_mov_b64_e32 v[88:89], 0
	v_mov_b64_e32 v[10:11], 0
	;; [unrolled: 1-line block ×31, first 2 shown]
	s_wait_xcnt 0x0
	s_mov_b64 s[22:23], 0
	s_wait_loadcnt 0x1
	v_add_nc_u64_e32 v[40:41], v[0:1], v[32:33]
	s_wait_loadcnt 0x0
	v_add_nc_u64_e32 v[42:43], v[2:3], v[34:35]
.LBB252_5:                              ;   Parent Loop BB252_3 Depth=1
                                        ; =>  This Inner Loop Header: Depth=2
	flat_load_b128 v[0:3], v[40:41]
	s_add_nc_u64 s[22:23], s[22:23], 4
	s_wait_xcnt 0x0
	v_add_nc_u64_e32 v[40:41], 64, v[40:41]
	v_cmp_lt_i64_e64 s25, s[22:23], s[4:5]
	s_and_b32 vcc_lo, exec_lo, s25
	s_wait_loadcnt_dscnt 0x0
	ds_store_2addr_b64 v106, v[0:1], v[2:3] offset1:1
	flat_load_b128 v[0:3], v[42:43]
	s_wait_xcnt 0x0
	v_add_nc_u64_e32 v[42:43], 64, v[42:43]
	s_wait_loadcnt_dscnt 0x0
	ds_store_2addr_b64 v107, v[0:1], v[2:3] offset1:1
	s_wait_dscnt 0x0
	s_barrier_signal -1
	s_barrier_wait -1
	ds_load_b128 v[92:95], v105
	ds_load_b128 v[96:99], v105 offset:16
	ds_load_b128 v[4:7], v105 offset:32
	;; [unrolled: 1-line block ×3, first 2 shown]
	ds_load_b128 v[100:103], v104
	s_wait_dscnt 0x0
	v_mul_f64_e32 v[108:109], v[94:95], v[102:103]
	v_mul_f64_e32 v[110:111], v[92:93], v[102:103]
	s_delay_alu instid0(VALU_DEP_2) | instskip(NEXT) | instid1(VALU_DEP_2)
	v_fma_f64 v[108:109], v[92:93], v[100:101], -v[108:109]
	v_fmac_f64_e32 v[110:111], v[94:95], v[100:101]
	s_delay_alu instid0(VALU_DEP_2) | instskip(NEXT) | instid1(VALU_DEP_2)
	v_add_f64_e32 v[112:113], v[64:65], v[108:109]
	v_add_f64_e32 v[114:115], v[110:111], v[66:67]
	ds_load_b128 v[64:67], v104 offset:256
	s_wait_dscnt 0x0
	v_mul_f64_e32 v[108:109], v[94:95], v[66:67]
	v_mul_f64_e32 v[110:111], v[92:93], v[66:67]
	s_delay_alu instid0(VALU_DEP_2) | instskip(NEXT) | instid1(VALU_DEP_2)
	v_fma_f64 v[108:109], v[92:93], v[64:65], -v[108:109]
	v_fmac_f64_e32 v[110:111], v[94:95], v[64:65]
	s_delay_alu instid0(VALU_DEP_2) | instskip(NEXT) | instid1(VALU_DEP_2)
	v_add_f64_e32 v[48:49], v[48:49], v[108:109]
	v_add_f64_e32 v[116:117], v[110:111], v[52:53]
	ds_load_b128 v[108:111], v104 offset:512
	;; [unrolled: 10-line block ×3, first 2 shown]
	s_wait_dscnt 0x0
	v_mul_f64_e32 v[52:53], v[94:95], v[46:47]
	s_delay_alu instid0(VALU_DEP_1) | instskip(SKIP_1) | instid1(VALU_DEP_1)
	v_fma_f64 v[52:53], v[92:93], v[44:45], -v[52:53]
	v_mul_f64_e32 v[92:93], v[92:93], v[46:47]
	v_fmac_f64_e32 v[92:93], v[94:95], v[44:45]
	s_delay_alu instid0(VALU_DEP_3) | instskip(NEXT) | instid1(VALU_DEP_2)
	v_add_f64_e32 v[94:95], v[20:21], v[52:53]
	v_add_f64_e32 v[92:93], v[92:93], v[22:23]
	ds_load_b128 v[20:23], v105 offset:1024
	s_wait_dscnt 0x0
	v_mul_f64_e32 v[52:53], v[22:23], v[102:103]
	v_mul_f64_e32 v[122:123], v[20:21], v[102:103]
	s_delay_alu instid0(VALU_DEP_2) | instskip(NEXT) | instid1(VALU_DEP_2)
	v_fma_f64 v[52:53], v[20:21], v[100:101], -v[52:53]
	v_fmac_f64_e32 v[122:123], v[22:23], v[100:101]
	s_delay_alu instid0(VALU_DEP_2) | instskip(SKIP_1) | instid1(VALU_DEP_3)
	v_add_f64_e32 v[84:85], v[84:85], v[52:53]
	v_mul_f64_e32 v[52:53], v[22:23], v[66:67]
	v_add_f64_e32 v[86:87], v[122:123], v[86:87]
	v_mul_f64_e32 v[122:123], v[20:21], v[66:67]
	s_delay_alu instid0(VALU_DEP_3) | instskip(NEXT) | instid1(VALU_DEP_2)
	v_fma_f64 v[52:53], v[20:21], v[64:65], -v[52:53]
	v_fmac_f64_e32 v[122:123], v[22:23], v[64:65]
	s_delay_alu instid0(VALU_DEP_2) | instskip(SKIP_2) | instid1(VALU_DEP_4)
	v_add_f64_e32 v[124:125], v[76:77], v[52:53]
	v_mul_f64_e32 v[52:53], v[22:23], v[110:111]
	v_mul_f64_e32 v[76:77], v[20:21], v[110:111]
	v_add_f64_e32 v[122:123], v[122:123], v[80:81]
	s_delay_alu instid0(VALU_DEP_3) | instskip(NEXT) | instid1(VALU_DEP_3)
	v_fma_f64 v[52:53], v[20:21], v[108:109], -v[52:53]
	v_fmac_f64_e32 v[76:77], v[22:23], v[108:109]
	s_delay_alu instid0(VALU_DEP_2) | instskip(SKIP_1) | instid1(VALU_DEP_3)
	v_add_f64_e32 v[126:127], v[68:69], v[52:53]
	v_mul_f64_e32 v[52:53], v[22:23], v[46:47]
	v_add_f64_e32 v[128:129], v[76:77], v[72:73]
	s_delay_alu instid0(VALU_DEP_2) | instskip(SKIP_1) | instid1(VALU_DEP_2)
	v_fma_f64 v[52:53], v[20:21], v[44:45], -v[52:53]
	v_mul_f64_e32 v[20:21], v[20:21], v[46:47]
	v_add_f64_e32 v[130:131], v[56:57], v[52:53]
	s_delay_alu instid0(VALU_DEP_2) | instskip(NEXT) | instid1(VALU_DEP_1)
	v_fmac_f64_e32 v[20:21], v[22:23], v[44:45]
	v_add_f64_e32 v[132:133], v[20:21], v[60:61]
	ds_load_b128 v[20:23], v105 offset:2048
	s_wait_dscnt 0x0
	v_mul_f64_e32 v[52:53], v[22:23], v[102:103]
	v_mul_f64_e32 v[56:57], v[20:21], v[102:103]
	s_delay_alu instid0(VALU_DEP_2) | instskip(NEXT) | instid1(VALU_DEP_2)
	v_fma_f64 v[52:53], v[20:21], v[100:101], -v[52:53]
	v_fmac_f64_e32 v[56:57], v[22:23], v[100:101]
	s_delay_alu instid0(VALU_DEP_2) | instskip(SKIP_1) | instid1(VALU_DEP_3)
	v_add_f64_e32 v[134:135], v[78:79], v[52:53]
	v_mul_f64_e32 v[52:53], v[22:23], v[66:67]
	v_add_f64_e32 v[136:137], v[56:57], v[82:83]
	v_mul_f64_e32 v[56:57], v[20:21], v[66:67]
	s_delay_alu instid0(VALU_DEP_3) | instskip(NEXT) | instid1(VALU_DEP_2)
	v_fma_f64 v[52:53], v[20:21], v[64:65], -v[52:53]
	v_fmac_f64_e32 v[56:57], v[22:23], v[64:65]
	s_delay_alu instid0(VALU_DEP_2) | instskip(SKIP_1) | instid1(VALU_DEP_3)
	v_add_f64_e32 v[138:139], v[70:71], v[52:53]
	v_mul_f64_e32 v[52:53], v[22:23], v[110:111]
	v_add_f64_e32 v[140:141], v[56:57], v[74:75]
	v_mul_f64_e32 v[56:57], v[20:21], v[110:111]
	s_delay_alu instid0(VALU_DEP_3) | instskip(NEXT) | instid1(VALU_DEP_2)
	v_fma_f64 v[52:53], v[20:21], v[108:109], -v[52:53]
	v_fmac_f64_e32 v[56:57], v[22:23], v[108:109]
	s_delay_alu instid0(VALU_DEP_2) | instskip(SKIP_1) | instid1(VALU_DEP_3)
	v_add_f64_e32 v[142:143], v[58:59], v[52:53]
	v_mul_f64_e32 v[52:53], v[22:23], v[46:47]
	v_add_f64_e32 v[144:145], v[56:57], v[62:63]
	s_delay_alu instid0(VALU_DEP_2) | instskip(SKIP_1) | instid1(VALU_DEP_2)
	v_fma_f64 v[52:53], v[20:21], v[44:45], -v[52:53]
	v_mul_f64_e32 v[20:21], v[20:21], v[46:47]
	v_add_f64_e32 v[146:147], v[50:51], v[52:53]
	s_delay_alu instid0(VALU_DEP_2) | instskip(NEXT) | instid1(VALU_DEP_1)
	v_fmac_f64_e32 v[20:21], v[22:23], v[44:45]
	v_add_f64_e32 v[148:149], v[20:21], v[54:55]
	ds_load_b128 v[20:23], v105 offset:3072
	s_wait_dscnt 0x0
	v_mul_f64_e32 v[50:51], v[22:23], v[102:103]
	v_mul_f64_e32 v[52:53], v[20:21], v[102:103]
	s_delay_alu instid0(VALU_DEP_2) | instskip(NEXT) | instid1(VALU_DEP_2)
	v_fma_f64 v[50:51], v[20:21], v[100:101], -v[50:51]
	v_fmac_f64_e32 v[52:53], v[22:23], v[100:101]
	s_delay_alu instid0(VALU_DEP_2) | instskip(NEXT) | instid1(VALU_DEP_2)
	v_add_f64_e32 v[72:73], v[16:17], v[50:51]
	v_add_f64_e32 v[74:75], v[52:53], v[18:19]
	v_mul_f64_e32 v[16:17], v[22:23], v[66:67]
	v_mul_f64_e32 v[18:19], v[20:21], v[66:67]
	s_delay_alu instid0(VALU_DEP_2) | instskip(NEXT) | instid1(VALU_DEP_2)
	v_fma_f64 v[16:17], v[20:21], v[64:65], -v[16:17]
	v_fmac_f64_e32 v[18:19], v[22:23], v[64:65]
	s_delay_alu instid0(VALU_DEP_2) | instskip(NEXT) | instid1(VALU_DEP_2)
	v_add_f64_e32 v[68:69], v[12:13], v[16:17]
	v_add_f64_e32 v[70:71], v[18:19], v[14:15]
	v_mul_f64_e32 v[12:13], v[22:23], v[110:111]
	v_mul_f64_e32 v[14:15], v[20:21], v[110:111]
	ds_load_b128 v[16:19], v104 offset:1280
	v_fma_f64 v[12:13], v[20:21], v[108:109], -v[12:13]
	v_fmac_f64_e32 v[14:15], v[22:23], v[108:109]
	s_delay_alu instid0(VALU_DEP_2) | instskip(NEXT) | instid1(VALU_DEP_2)
	v_add_f64_e32 v[64:65], v[8:9], v[12:13]
	v_add_f64_e32 v[66:67], v[14:15], v[10:11]
	v_mul_f64_e32 v[8:9], v[22:23], v[46:47]
	v_mul_f64_e32 v[10:11], v[20:21], v[46:47]
	ds_load_b128 v[12:15], v104 offset:1536
	v_fma_f64 v[8:9], v[20:21], v[44:45], -v[8:9]
	v_fmac_f64_e32 v[10:11], v[22:23], v[44:45]
	ds_load_b128 v[20:23], v104 offset:1024
	v_add_f64_e32 v[60:61], v[88:89], v[8:9]
	v_add_f64_e32 v[62:63], v[10:11], v[90:91]
	s_wait_dscnt 0x0
	v_mul_f64_e32 v[8:9], v[98:99], v[22:23]
	v_mul_f64_e32 v[10:11], v[96:97], v[22:23]
	ds_load_b128 v[88:91], v105 offset:1040
	s_wait_dscnt 0x0
	v_mul_f64_e32 v[76:77], v[90:91], v[22:23]
	v_mul_f64_e32 v[78:79], v[88:89], v[22:23]
	;; [unrolled: 1-line block ×4, first 2 shown]
	v_fma_f64 v[8:9], v[96:97], v[20:21], -v[8:9]
	v_fmac_f64_e32 v[10:11], v[98:99], v[20:21]
	v_fma_f64 v[76:77], v[88:89], v[20:21], -v[76:77]
	v_fmac_f64_e32 v[78:79], v[90:91], v[20:21]
	;; [unrolled: 2-line block ×3, first 2 shown]
	v_add_f64_e32 v[56:57], v[112:113], v[8:9]
	v_add_f64_e32 v[58:59], v[10:11], v[114:115]
	v_mul_f64_e32 v[8:9], v[98:99], v[18:19]
	v_mul_f64_e32 v[10:11], v[96:97], v[18:19]
	v_add_f64_e32 v[76:77], v[84:85], v[76:77]
	v_add_f64_e32 v[78:79], v[78:79], v[86:87]
	v_mul_f64_e32 v[84:85], v[90:91], v[14:15]
	v_mul_f64_e32 v[86:87], v[88:89], v[14:15]
	v_add_f64_e32 v[80:81], v[124:125], v[80:81]
	v_add_f64_e32 v[82:83], v[82:83], v[122:123]
	v_fma_f64 v[8:9], v[96:97], v[16:17], -v[8:9]
	v_fmac_f64_e32 v[10:11], v[98:99], v[16:17]
	v_fma_f64 v[84:85], v[88:89], v[12:13], -v[84:85]
	v_fmac_f64_e32 v[86:87], v[90:91], v[12:13]
	s_delay_alu instid0(VALU_DEP_4) | instskip(NEXT) | instid1(VALU_DEP_4)
	v_add_f64_e32 v[52:53], v[48:49], v[8:9]
	v_add_f64_e32 v[54:55], v[10:11], v[116:117]
	v_mul_f64_e32 v[8:9], v[98:99], v[14:15]
	v_mul_f64_e32 v[10:11], v[96:97], v[14:15]
	v_add_f64_e32 v[84:85], v[126:127], v[84:85]
	v_add_f64_e32 v[86:87], v[86:87], v[128:129]
	s_delay_alu instid0(VALU_DEP_4) | instskip(NEXT) | instid1(VALU_DEP_4)
	v_fma_f64 v[8:9], v[96:97], v[12:13], -v[8:9]
	v_fmac_f64_e32 v[10:11], v[98:99], v[12:13]
	s_delay_alu instid0(VALU_DEP_2) | instskip(NEXT) | instid1(VALU_DEP_2)
	v_add_f64_e32 v[48:49], v[120:121], v[8:9]
	v_add_f64_e32 v[50:51], v[10:11], v[118:119]
	ds_load_b128 v[8:11], v104 offset:1792
	s_wait_dscnt 0x0
	v_mul_f64_e32 v[44:45], v[98:99], v[10:11]
	v_mul_f64_e32 v[46:47], v[96:97], v[10:11]
	s_delay_alu instid0(VALU_DEP_2) | instskip(NEXT) | instid1(VALU_DEP_2)
	v_fma_f64 v[44:45], v[96:97], v[8:9], -v[44:45]
	v_fmac_f64_e32 v[46:47], v[98:99], v[8:9]
	s_delay_alu instid0(VALU_DEP_2) | instskip(NEXT) | instid1(VALU_DEP_2)
	v_add_f64_e32 v[44:45], v[94:95], v[44:45]
	v_add_f64_e32 v[46:47], v[46:47], v[92:93]
	v_mul_f64_e32 v[92:93], v[90:91], v[10:11]
	v_mul_f64_e32 v[94:95], v[88:89], v[10:11]
	s_delay_alu instid0(VALU_DEP_2) | instskip(NEXT) | instid1(VALU_DEP_2)
	v_fma_f64 v[92:93], v[88:89], v[8:9], -v[92:93]
	v_fmac_f64_e32 v[94:95], v[90:91], v[8:9]
	s_delay_alu instid0(VALU_DEP_2) | instskip(NEXT) | instid1(VALU_DEP_2)
	v_add_f64_e32 v[88:89], v[130:131], v[92:93]
	v_add_f64_e32 v[90:91], v[94:95], v[132:133]
	ds_load_b128 v[92:95], v105 offset:2064
	s_wait_dscnt 0x0
	v_mul_f64_e32 v[96:97], v[94:95], v[22:23]
	v_mul_f64_e32 v[100:101], v[94:95], v[18:19]
	;; [unrolled: 1-line block ×7, first 2 shown]
	v_fma_f64 v[96:97], v[92:93], v[20:21], -v[96:97]
	v_fma_f64 v[100:101], v[92:93], v[16:17], -v[100:101]
	;; [unrolled: 1-line block ×4, first 2 shown]
	v_mul_f64_e32 v[92:93], v[92:93], v[10:11]
	v_fmac_f64_e32 v[98:99], v[94:95], v[20:21]
	v_fmac_f64_e32 v[102:103], v[94:95], v[16:17]
	;; [unrolled: 1-line block ×3, first 2 shown]
	v_add_f64_e32 v[96:97], v[134:135], v[96:97]
	v_add_f64_e32 v[100:101], v[138:139], v[100:101]
	;; [unrolled: 1-line block ×4, first 2 shown]
	v_fmac_f64_e32 v[92:93], v[94:95], v[8:9]
	v_add_f64_e32 v[98:99], v[98:99], v[136:137]
	v_add_f64_e32 v[102:103], v[102:103], v[140:141]
	;; [unrolled: 1-line block ×3, first 2 shown]
	s_delay_alu instid0(VALU_DEP_4) | instskip(SKIP_4) | instid1(VALU_DEP_2)
	v_add_f64_e32 v[114:115], v[92:93], v[148:149]
	ds_load_b128 v[92:95], v105 offset:3088
	s_wait_dscnt 0x0
	v_mul_f64_e32 v[116:117], v[94:95], v[22:23]
	v_mul_f64_e32 v[22:23], v[92:93], v[22:23]
	v_fma_f64 v[116:117], v[92:93], v[20:21], -v[116:117]
	s_delay_alu instid0(VALU_DEP_2) | instskip(SKIP_2) | instid1(VALU_DEP_4)
	v_fmac_f64_e32 v[22:23], v[94:95], v[20:21]
	v_mul_f64_e32 v[20:21], v[94:95], v[18:19]
	v_mul_f64_e32 v[18:19], v[92:93], v[18:19]
	v_add_f64_e32 v[72:73], v[72:73], v[116:117]
	s_delay_alu instid0(VALU_DEP_4) | instskip(NEXT) | instid1(VALU_DEP_4)
	v_add_f64_e32 v[74:75], v[22:23], v[74:75]
	v_fma_f64 v[20:21], v[92:93], v[16:17], -v[20:21]
	s_delay_alu instid0(VALU_DEP_4) | instskip(SKIP_2) | instid1(VALU_DEP_4)
	v_fmac_f64_e32 v[18:19], v[94:95], v[16:17]
	v_mul_f64_e32 v[16:17], v[94:95], v[14:15]
	v_mul_f64_e32 v[14:15], v[92:93], v[14:15]
	v_add_f64_e32 v[68:69], v[68:69], v[20:21]
	s_delay_alu instid0(VALU_DEP_4) | instskip(NEXT) | instid1(VALU_DEP_4)
	v_add_f64_e32 v[70:71], v[18:19], v[70:71]
	v_fma_f64 v[16:17], v[92:93], v[12:13], -v[16:17]
	s_delay_alu instid0(VALU_DEP_4) | instskip(SKIP_2) | instid1(VALU_DEP_4)
	v_fmac_f64_e32 v[14:15], v[94:95], v[12:13]
	v_mul_f64_e32 v[12:13], v[94:95], v[10:11]
	v_mul_f64_e32 v[10:11], v[92:93], v[10:11]
	v_add_f64_e32 v[64:65], v[64:65], v[16:17]
	s_delay_alu instid0(VALU_DEP_4) | instskip(NEXT) | instid1(VALU_DEP_4)
	v_add_f64_e32 v[66:67], v[14:15], v[66:67]
	v_fma_f64 v[12:13], v[92:93], v[8:9], -v[12:13]
	s_delay_alu instid0(VALU_DEP_4) | instskip(NEXT) | instid1(VALU_DEP_2)
	v_fmac_f64_e32 v[10:11], v[94:95], v[8:9]
	v_add_f64_e32 v[60:61], v[60:61], v[12:13]
	s_delay_alu instid0(VALU_DEP_2) | instskip(SKIP_4) | instid1(VALU_DEP_2)
	v_add_f64_e32 v[62:63], v[10:11], v[62:63]
	ds_load_b128 v[8:11], v104 offset:2048
	s_wait_dscnt 0x0
	v_mul_f64_e32 v[12:13], v[6:7], v[10:11]
	v_mul_f64_e32 v[14:15], v[4:5], v[10:11]
	v_fma_f64 v[12:13], v[4:5], v[8:9], -v[12:13]
	s_delay_alu instid0(VALU_DEP_2) | instskip(NEXT) | instid1(VALU_DEP_2)
	v_fmac_f64_e32 v[14:15], v[6:7], v[8:9]
	v_add_f64_e32 v[56:57], v[56:57], v[12:13]
	s_delay_alu instid0(VALU_DEP_2) | instskip(SKIP_4) | instid1(VALU_DEP_2)
	v_add_f64_e32 v[58:59], v[14:15], v[58:59]
	ds_load_b128 v[12:15], v104 offset:2304
	s_wait_dscnt 0x0
	v_mul_f64_e32 v[16:17], v[6:7], v[14:15]
	v_mul_f64_e32 v[18:19], v[4:5], v[14:15]
	v_fma_f64 v[16:17], v[4:5], v[12:13], -v[16:17]
	s_delay_alu instid0(VALU_DEP_2) | instskip(NEXT) | instid1(VALU_DEP_2)
	;; [unrolled: 10-line block ×3, first 2 shown]
	v_fmac_f64_e32 v[22:23], v[6:7], v[16:17]
	v_add_f64_e32 v[116:117], v[48:49], v[20:21]
	s_delay_alu instid0(VALU_DEP_2) | instskip(SKIP_3) | instid1(VALU_DEP_1)
	v_add_f64_e32 v[50:51], v[22:23], v[50:51]
	ds_load_b128 v[20:23], v104 offset:2816
	s_wait_dscnt 0x0
	v_mul_f64_e32 v[48:49], v[6:7], v[22:23]
	v_fma_f64 v[48:49], v[4:5], v[20:21], -v[48:49]
	v_mul_f64_e32 v[4:5], v[4:5], v[22:23]
	s_delay_alu instid0(VALU_DEP_2) | instskip(NEXT) | instid1(VALU_DEP_2)
	v_add_f64_e32 v[118:119], v[44:45], v[48:49]
	v_fmac_f64_e32 v[4:5], v[6:7], v[20:21]
	s_delay_alu instid0(VALU_DEP_1) | instskip(SKIP_4) | instid1(VALU_DEP_2)
	v_add_f64_e32 v[120:121], v[4:5], v[46:47]
	ds_load_b128 v[4:7], v105 offset:1056
	s_wait_dscnt 0x0
	v_mul_f64_e32 v[44:45], v[6:7], v[10:11]
	v_mul_f64_e32 v[46:47], v[4:5], v[10:11]
	v_fma_f64 v[44:45], v[4:5], v[8:9], -v[44:45]
	s_delay_alu instid0(VALU_DEP_2) | instskip(NEXT) | instid1(VALU_DEP_2)
	v_fmac_f64_e32 v[46:47], v[6:7], v[8:9]
	v_add_f64_e32 v[76:77], v[76:77], v[44:45]
	v_mul_f64_e32 v[44:45], v[6:7], v[14:15]
	s_delay_alu instid0(VALU_DEP_3) | instskip(SKIP_1) | instid1(VALU_DEP_3)
	v_add_f64_e32 v[78:79], v[46:47], v[78:79]
	v_mul_f64_e32 v[46:47], v[4:5], v[14:15]
	v_fma_f64 v[44:45], v[4:5], v[12:13], -v[44:45]
	s_delay_alu instid0(VALU_DEP_2) | instskip(NEXT) | instid1(VALU_DEP_2)
	v_fmac_f64_e32 v[46:47], v[6:7], v[12:13]
	v_add_f64_e32 v[80:81], v[80:81], v[44:45]
	v_mul_f64_e32 v[44:45], v[6:7], v[18:19]
	s_delay_alu instid0(VALU_DEP_3) | instskip(SKIP_1) | instid1(VALU_DEP_3)
	v_add_f64_e32 v[82:83], v[46:47], v[82:83]
	v_mul_f64_e32 v[46:47], v[4:5], v[18:19]
	v_fma_f64 v[44:45], v[4:5], v[16:17], -v[44:45]
	s_delay_alu instid0(VALU_DEP_2) | instskip(NEXT) | instid1(VALU_DEP_2)
	v_fmac_f64_e32 v[46:47], v[6:7], v[16:17]
	v_add_f64_e32 v[122:123], v[84:85], v[44:45]
	v_mul_f64_e32 v[44:45], v[6:7], v[22:23]
	s_delay_alu instid0(VALU_DEP_3) | instskip(NEXT) | instid1(VALU_DEP_2)
	v_add_f64_e32 v[124:125], v[46:47], v[86:87]
	v_fma_f64 v[44:45], v[4:5], v[20:21], -v[44:45]
	v_mul_f64_e32 v[4:5], v[4:5], v[22:23]
	s_delay_alu instid0(VALU_DEP_2) | instskip(NEXT) | instid1(VALU_DEP_2)
	v_add_f64_e32 v[126:127], v[88:89], v[44:45]
	v_fmac_f64_e32 v[4:5], v[6:7], v[20:21]
	s_delay_alu instid0(VALU_DEP_1) | instskip(SKIP_4) | instid1(VALU_DEP_2)
	v_add_f64_e32 v[128:129], v[4:5], v[90:91]
	ds_load_b128 v[4:7], v105 offset:2080
	s_wait_dscnt 0x0
	v_mul_f64_e32 v[44:45], v[6:7], v[10:11]
	v_mul_f64_e32 v[46:47], v[4:5], v[10:11]
	v_fma_f64 v[44:45], v[4:5], v[8:9], -v[44:45]
	s_delay_alu instid0(VALU_DEP_2) | instskip(NEXT) | instid1(VALU_DEP_2)
	v_fmac_f64_e32 v[46:47], v[6:7], v[8:9]
	v_add_f64_e32 v[130:131], v[96:97], v[44:45]
	v_mul_f64_e32 v[44:45], v[6:7], v[14:15]
	s_delay_alu instid0(VALU_DEP_3) | instskip(SKIP_1) | instid1(VALU_DEP_3)
	v_add_f64_e32 v[132:133], v[46:47], v[98:99]
	v_mul_f64_e32 v[46:47], v[4:5], v[14:15]
	v_fma_f64 v[44:45], v[4:5], v[12:13], -v[44:45]
	s_delay_alu instid0(VALU_DEP_2) | instskip(NEXT) | instid1(VALU_DEP_2)
	v_fmac_f64_e32 v[46:47], v[6:7], v[12:13]
	v_add_f64_e32 v[134:135], v[100:101], v[44:45]
	v_mul_f64_e32 v[44:45], v[6:7], v[18:19]
	s_delay_alu instid0(VALU_DEP_3) | instskip(SKIP_1) | instid1(VALU_DEP_3)
	v_add_f64_e32 v[136:137], v[46:47], v[102:103]
	v_mul_f64_e32 v[46:47], v[4:5], v[18:19]
	v_fma_f64 v[44:45], v[4:5], v[16:17], -v[44:45]
	s_delay_alu instid0(VALU_DEP_2) | instskip(NEXT) | instid1(VALU_DEP_2)
	v_fmac_f64_e32 v[46:47], v[6:7], v[16:17]
	v_add_f64_e32 v[108:109], v[108:109], v[44:45]
	v_mul_f64_e32 v[44:45], v[6:7], v[22:23]
	s_delay_alu instid0(VALU_DEP_3) | instskip(NEXT) | instid1(VALU_DEP_2)
	v_add_f64_e32 v[110:111], v[46:47], v[110:111]
	v_fma_f64 v[44:45], v[4:5], v[20:21], -v[44:45]
	v_mul_f64_e32 v[4:5], v[4:5], v[22:23]
	s_delay_alu instid0(VALU_DEP_2) | instskip(NEXT) | instid1(VALU_DEP_2)
	v_add_f64_e32 v[112:113], v[112:113], v[44:45]
	v_fmac_f64_e32 v[4:5], v[6:7], v[20:21]
	s_delay_alu instid0(VALU_DEP_1) | instskip(SKIP_4) | instid1(VALU_DEP_2)
	v_add_f64_e32 v[114:115], v[4:5], v[114:115]
	ds_load_b128 v[4:7], v105 offset:3104
	s_wait_dscnt 0x0
	v_mul_f64_e32 v[44:45], v[6:7], v[10:11]
	v_mul_f64_e32 v[10:11], v[4:5], v[10:11]
	v_fma_f64 v[44:45], v[4:5], v[8:9], -v[44:45]
	s_delay_alu instid0(VALU_DEP_2) | instskip(SKIP_1) | instid1(VALU_DEP_3)
	v_fmac_f64_e32 v[10:11], v[6:7], v[8:9]
	v_mul_f64_e32 v[8:9], v[6:7], v[14:15]
	v_add_f64_e32 v[100:101], v[72:73], v[44:45]
	s_delay_alu instid0(VALU_DEP_3) | instskip(NEXT) | instid1(VALU_DEP_3)
	v_add_f64_e32 v[102:103], v[10:11], v[74:75]
	v_fma_f64 v[8:9], v[4:5], v[12:13], -v[8:9]
	v_mul_f64_e32 v[10:11], v[4:5], v[14:15]
	s_delay_alu instid0(VALU_DEP_2) | instskip(SKIP_1) | instid1(VALU_DEP_3)
	v_add_f64_e32 v[96:97], v[68:69], v[8:9]
	v_mul_f64_e32 v[8:9], v[6:7], v[18:19]
	v_fmac_f64_e32 v[10:11], v[6:7], v[12:13]
	ds_load_b128 v[12:15], v104 offset:3328
	v_fma_f64 v[8:9], v[4:5], v[16:17], -v[8:9]
	v_add_f64_e32 v[98:99], v[10:11], v[70:71]
	v_mul_f64_e32 v[10:11], v[4:5], v[18:19]
	s_delay_alu instid0(VALU_DEP_3) | instskip(SKIP_1) | instid1(VALU_DEP_3)
	v_add_f64_e32 v[92:93], v[64:65], v[8:9]
	v_mul_f64_e32 v[8:9], v[6:7], v[22:23]
	v_fmac_f64_e32 v[10:11], v[6:7], v[16:17]
	ds_load_b128 v[16:19], v104 offset:3072
	v_fma_f64 v[8:9], v[4:5], v[20:21], -v[8:9]
	v_mul_f64_e32 v[4:5], v[4:5], v[22:23]
	v_add_f64_e32 v[94:95], v[10:11], v[66:67]
	s_delay_alu instid0(VALU_DEP_3) | instskip(NEXT) | instid1(VALU_DEP_3)
	v_add_f64_e32 v[88:89], v[60:61], v[8:9]
	v_fmac_f64_e32 v[4:5], v[6:7], v[20:21]
	s_wait_dscnt 0x0
	v_mul_f64_e32 v[6:7], v[0:1], v[18:19]
	ds_load_b128 v[8:11], v104 offset:3584
	v_add_f64_e32 v[90:91], v[4:5], v[62:63]
	v_mul_f64_e32 v[4:5], v[2:3], v[18:19]
	v_fmac_f64_e32 v[6:7], v[2:3], v[16:17]
	s_delay_alu instid0(VALU_DEP_2) | instskip(NEXT) | instid1(VALU_DEP_2)
	v_fma_f64 v[4:5], v[0:1], v[16:17], -v[4:5]
	v_add_f64_e32 v[66:67], v[6:7], v[58:59]
	v_mul_f64_e32 v[6:7], v[0:1], v[14:15]
	s_delay_alu instid0(VALU_DEP_3) | instskip(SKIP_1) | instid1(VALU_DEP_3)
	v_add_f64_e32 v[64:65], v[56:57], v[4:5]
	v_mul_f64_e32 v[4:5], v[2:3], v[14:15]
	v_fmac_f64_e32 v[6:7], v[2:3], v[12:13]
	s_delay_alu instid0(VALU_DEP_2) | instskip(NEXT) | instid1(VALU_DEP_1)
	v_fma_f64 v[4:5], v[0:1], v[12:13], -v[4:5]
	v_add_f64_e32 v[48:49], v[52:53], v[4:5]
	s_delay_alu instid0(VALU_DEP_3) | instskip(SKIP_3) | instid1(VALU_DEP_2)
	v_add_f64_e32 v[52:53], v[6:7], v[54:55]
	s_wait_dscnt 0x0
	v_mul_f64_e32 v[4:5], v[2:3], v[10:11]
	v_mul_f64_e32 v[6:7], v[0:1], v[10:11]
	v_fma_f64 v[4:5], v[0:1], v[8:9], -v[4:5]
	s_delay_alu instid0(VALU_DEP_2) | instskip(NEXT) | instid1(VALU_DEP_2)
	v_fmac_f64_e32 v[6:7], v[2:3], v[8:9]
	v_add_f64_e32 v[44:45], v[116:117], v[4:5]
	s_delay_alu instid0(VALU_DEP_2) | instskip(SKIP_3) | instid1(VALU_DEP_1)
	v_add_f64_e32 v[46:47], v[6:7], v[50:51]
	ds_load_b128 v[4:7], v104 offset:3840
	s_wait_dscnt 0x0
	v_mul_f64_e32 v[20:21], v[2:3], v[6:7]
	v_fma_f64 v[20:21], v[0:1], v[4:5], -v[20:21]
	v_mul_f64_e32 v[0:1], v[0:1], v[6:7]
	s_delay_alu instid0(VALU_DEP_2) | instskip(NEXT) | instid1(VALU_DEP_2)
	v_add_f64_e32 v[20:21], v[118:119], v[20:21]
	v_fmac_f64_e32 v[0:1], v[2:3], v[4:5]
	s_delay_alu instid0(VALU_DEP_1) | instskip(SKIP_4) | instid1(VALU_DEP_2)
	v_add_f64_e32 v[22:23], v[0:1], v[120:121]
	ds_load_b128 v[0:3], v105 offset:1072
	s_wait_dscnt 0x0
	v_mul_f64_e32 v[50:51], v[2:3], v[18:19]
	v_mul_f64_e32 v[54:55], v[0:1], v[18:19]
	v_fma_f64 v[50:51], v[0:1], v[16:17], -v[50:51]
	s_delay_alu instid0(VALU_DEP_2) | instskip(NEXT) | instid1(VALU_DEP_2)
	v_fmac_f64_e32 v[54:55], v[2:3], v[16:17]
	v_add_f64_e32 v[84:85], v[76:77], v[50:51]
	v_mul_f64_e32 v[50:51], v[2:3], v[14:15]
	s_delay_alu instid0(VALU_DEP_3) | instskip(SKIP_1) | instid1(VALU_DEP_3)
	v_add_f64_e32 v[86:87], v[54:55], v[78:79]
	v_mul_f64_e32 v[54:55], v[0:1], v[14:15]
	v_fma_f64 v[50:51], v[0:1], v[12:13], -v[50:51]
	s_delay_alu instid0(VALU_DEP_2) | instskip(NEXT) | instid1(VALU_DEP_2)
	v_fmac_f64_e32 v[54:55], v[2:3], v[12:13]
	v_add_f64_e32 v[76:77], v[80:81], v[50:51]
	v_mul_f64_e32 v[50:51], v[2:3], v[10:11]
	s_delay_alu instid0(VALU_DEP_3) | instskip(SKIP_1) | instid1(VALU_DEP_3)
	v_add_f64_e32 v[80:81], v[54:55], v[82:83]
	v_mul_f64_e32 v[54:55], v[0:1], v[10:11]
	v_fma_f64 v[50:51], v[0:1], v[8:9], -v[50:51]
	s_delay_alu instid0(VALU_DEP_2) | instskip(NEXT) | instid1(VALU_DEP_2)
	v_fmac_f64_e32 v[54:55], v[2:3], v[8:9]
	v_add_f64_e32 v[68:69], v[122:123], v[50:51]
	v_mul_f64_e32 v[50:51], v[2:3], v[6:7]
	s_delay_alu instid0(VALU_DEP_3) | instskip(NEXT) | instid1(VALU_DEP_2)
	v_add_f64_e32 v[72:73], v[54:55], v[124:125]
	v_fma_f64 v[50:51], v[0:1], v[4:5], -v[50:51]
	v_mul_f64_e32 v[0:1], v[0:1], v[6:7]
	s_delay_alu instid0(VALU_DEP_2) | instskip(NEXT) | instid1(VALU_DEP_2)
	v_add_f64_e32 v[56:57], v[126:127], v[50:51]
	v_fmac_f64_e32 v[0:1], v[2:3], v[4:5]
	s_delay_alu instid0(VALU_DEP_1) | instskip(SKIP_4) | instid1(VALU_DEP_2)
	v_add_f64_e32 v[60:61], v[0:1], v[128:129]
	ds_load_b128 v[0:3], v105 offset:2096
	s_wait_dscnt 0x0
	v_mul_f64_e32 v[50:51], v[2:3], v[18:19]
	v_mul_f64_e32 v[54:55], v[0:1], v[18:19]
	v_fma_f64 v[50:51], v[0:1], v[16:17], -v[50:51]
	s_delay_alu instid0(VALU_DEP_2) | instskip(NEXT) | instid1(VALU_DEP_2)
	v_fmac_f64_e32 v[54:55], v[2:3], v[16:17]
	v_add_f64_e32 v[78:79], v[130:131], v[50:51]
	v_mul_f64_e32 v[50:51], v[2:3], v[14:15]
	s_delay_alu instid0(VALU_DEP_3) | instskip(SKIP_1) | instid1(VALU_DEP_3)
	v_add_f64_e32 v[82:83], v[54:55], v[132:133]
	v_mul_f64_e32 v[54:55], v[0:1], v[14:15]
	v_fma_f64 v[50:51], v[0:1], v[12:13], -v[50:51]
	s_delay_alu instid0(VALU_DEP_2) | instskip(NEXT) | instid1(VALU_DEP_2)
	v_fmac_f64_e32 v[54:55], v[2:3], v[12:13]
	v_add_f64_e32 v[70:71], v[134:135], v[50:51]
	v_mul_f64_e32 v[50:51], v[2:3], v[10:11]
	s_delay_alu instid0(VALU_DEP_3) | instskip(SKIP_1) | instid1(VALU_DEP_3)
	v_add_f64_e32 v[74:75], v[54:55], v[136:137]
	v_mul_f64_e32 v[54:55], v[0:1], v[10:11]
	v_fma_f64 v[50:51], v[0:1], v[8:9], -v[50:51]
	s_delay_alu instid0(VALU_DEP_2) | instskip(NEXT) | instid1(VALU_DEP_2)
	v_fmac_f64_e32 v[54:55], v[2:3], v[8:9]
	v_add_f64_e32 v[58:59], v[108:109], v[50:51]
	v_mul_f64_e32 v[50:51], v[2:3], v[6:7]
	s_delay_alu instid0(VALU_DEP_3) | instskip(NEXT) | instid1(VALU_DEP_2)
	v_add_f64_e32 v[62:63], v[54:55], v[110:111]
	v_fma_f64 v[50:51], v[0:1], v[4:5], -v[50:51]
	v_mul_f64_e32 v[0:1], v[0:1], v[6:7]
	s_delay_alu instid0(VALU_DEP_2) | instskip(NEXT) | instid1(VALU_DEP_2)
	v_add_f64_e32 v[50:51], v[112:113], v[50:51]
	v_fmac_f64_e32 v[0:1], v[2:3], v[4:5]
	s_delay_alu instid0(VALU_DEP_1)
	v_add_f64_e32 v[54:55], v[0:1], v[114:115]
	ds_load_b128 v[0:3], v105 offset:3120
	s_wait_dscnt 0x0
	s_barrier_signal -1
	s_barrier_wait -1
	v_mul_f64_e32 v[108:109], v[2:3], v[18:19]
	v_mul_f64_e32 v[18:19], v[0:1], v[18:19]
	s_delay_alu instid0(VALU_DEP_2) | instskip(NEXT) | instid1(VALU_DEP_2)
	v_fma_f64 v[108:109], v[0:1], v[16:17], -v[108:109]
	v_fmac_f64_e32 v[18:19], v[2:3], v[16:17]
	s_delay_alu instid0(VALU_DEP_2) | instskip(SKIP_2) | instid1(VALU_DEP_4)
	v_add_f64_e32 v[16:17], v[100:101], v[108:109]
	v_mul_f64_e32 v[100:101], v[2:3], v[14:15]
	v_mul_f64_e32 v[14:15], v[0:1], v[14:15]
	v_add_f64_e32 v[18:19], v[18:19], v[102:103]
	s_delay_alu instid0(VALU_DEP_3) | instskip(NEXT) | instid1(VALU_DEP_3)
	v_fma_f64 v[100:101], v[0:1], v[12:13], -v[100:101]
	v_fmac_f64_e32 v[14:15], v[2:3], v[12:13]
	s_delay_alu instid0(VALU_DEP_2) | instskip(SKIP_2) | instid1(VALU_DEP_4)
	v_add_f64_e32 v[12:13], v[96:97], v[100:101]
	v_mul_f64_e32 v[96:97], v[2:3], v[10:11]
	v_mul_f64_e32 v[10:11], v[0:1], v[10:11]
	v_add_f64_e32 v[14:15], v[14:15], v[98:99]
	s_delay_alu instid0(VALU_DEP_3) | instskip(NEXT) | instid1(VALU_DEP_3)
	v_fma_f64 v[96:97], v[0:1], v[8:9], -v[96:97]
	v_fmac_f64_e32 v[10:11], v[2:3], v[8:9]
	s_delay_alu instid0(VALU_DEP_2) | instskip(SKIP_1) | instid1(VALU_DEP_3)
	v_add_f64_e32 v[8:9], v[92:93], v[96:97]
	v_mul_f64_e32 v[92:93], v[2:3], v[6:7]
	v_add_f64_e32 v[10:11], v[10:11], v[94:95]
	s_delay_alu instid0(VALU_DEP_2) | instskip(SKIP_1) | instid1(VALU_DEP_2)
	v_fma_f64 v[92:93], v[0:1], v[4:5], -v[92:93]
	v_mul_f64_e32 v[0:1], v[0:1], v[6:7]
	v_add_f64_e32 v[88:89], v[88:89], v[92:93]
	s_delay_alu instid0(VALU_DEP_2) | instskip(NEXT) | instid1(VALU_DEP_1)
	v_fmac_f64_e32 v[0:1], v[2:3], v[4:5]
	v_add_f64_e32 v[90:91], v[0:1], v[90:91]
	s_cbranch_vccnz .LBB252_5
; %bb.6:                                ;   in Loop: Header=BB252_3 Depth=1
	v_add_nc_u64_e32 v[0:1], s[12:13], v[38:39]
	s_and_not1_b32 vcc_lo, exec_lo, s1
	s_mov_b32 s22, -1
                                        ; implicit-def: $vgpr2_vgpr3
                                        ; implicit-def: $vgpr4_vgpr5
	s_cbranch_vccnz .LBB252_9
.LBB252_7:                              ;   in Loop: Header=BB252_3 Depth=1
	v_mul_f64_e32 v[2:3], s[8:9], v[66:67]
	v_mul_f64_e32 v[42:43], s[8:9], v[46:47]
	;; [unrolled: 1-line block ×30, first 2 shown]
	v_lshlrev_b64_e32 v[148:149], 4, v[30:31]
	v_lshl_add_u64 v[150:151], v[26:27], 4, v[0:1]
	v_fma_f64 v[4:5], s[6:7], v[64:65], -v[2:3]
	v_mul_f64_e32 v[2:3], s[6:7], v[90:91]
	v_fma_f64 v[92:93], s[6:7], v[44:45], -v[42:43]
	v_mul_f64_e32 v[42:43], s[8:9], v[90:91]
	v_fmac_f64_e32 v[6:7], s[8:9], v[64:65]
	v_fma_f64 v[38:39], s[6:7], v[48:49], -v[38:39]
	v_fmac_f64_e32 v[40:41], s[8:9], v[48:49]
	v_add_nc_u64_e32 v[152:153], v[150:151], v[148:149]
	v_add_nc_u64_e32 v[150:151], s[20:21], v[150:151]
	v_fma_f64 v[100:101], s[6:7], v[84:85], -v[100:101]
	v_fma_f64 v[128:129], s[6:7], v[58:59], -v[128:129]
	v_fmac_f64_e32 v[94:95], s[8:9], v[44:45]
	v_fma_f64 v[144:145], s[6:7], v[8:9], -v[144:145]
	v_fmac_f64_e32 v[102:103], s[8:9], v[84:85]
	v_fmac_f64_e32 v[130:131], s[8:9], v[58:59]
	;; [unrolled: 1-line block ×3, first 2 shown]
	v_fma_f64 v[96:97], s[6:7], v[20:21], -v[96:97]
	v_fma_f64 v[108:109], s[6:7], v[76:77], -v[108:109]
	v_fma_f64 v[132:133], s[6:7], v[50:51], -v[132:133]
	v_fmac_f64_e32 v[98:99], s[8:9], v[20:21]
	v_fmac_f64_e32 v[110:111], s[8:9], v[76:77]
	;; [unrolled: 1-line block ×3, first 2 shown]
	v_fma_f64 v[112:113], s[6:7], v[68:69], -v[112:113]
	v_fma_f64 v[136:137], s[6:7], v[16:17], -v[136:137]
	v_fmac_f64_e32 v[114:115], s[8:9], v[68:69]
	v_fmac_f64_e32 v[138:139], s[8:9], v[16:17]
	v_fma_f64 v[116:117], s[6:7], v[56:57], -v[116:117]
	v_fma_f64 v[140:141], s[6:7], v[12:13], -v[140:141]
	v_fmac_f64_e32 v[118:119], s[8:9], v[56:57]
	v_fmac_f64_e32 v[142:143], s[8:9], v[12:13]
	v_fma_f64 v[120:121], s[6:7], v[78:79], -v[120:121]
	v_fmac_f64_e32 v[122:123], s[8:9], v[78:79]
	v_fma_f64 v[124:125], s[6:7], v[70:71], -v[124:125]
	v_fmac_f64_e32 v[2:3], s[8:9], v[88:89]
	v_fmac_f64_e32 v[126:127], s[8:9], v[70:71]
	v_fma_f64 v[42:43], s[6:7], v[88:89], -v[42:43]
	flat_store_b128 v[152:153], v[4:7]
	s_wait_xcnt 0x0
	v_add_nc_u64_e32 v[4:5], s[20:21], v[150:151]
	v_add_nc_u64_e32 v[150:151], v[150:151], v[148:149]
	flat_store_b128 v[152:153], v[38:41] offset:256
	s_clause 0x1
	flat_store_b128 v[152:153], v[92:95] offset:512
	flat_store_b128 v[152:153], v[96:99] offset:768
	v_add_nc_u64_e32 v[6:7], s[20:21], v[4:5]
	s_wait_xcnt 0x2
	v_add_nc_u64_e32 v[38:39], v[4:5], v[148:149]
	s_clause 0x5
	flat_store_b128 v[150:151], v[100:103]
	flat_store_b128 v[150:151], v[108:111] offset:256
	flat_store_b128 v[150:151], v[112:115] offset:512
	;; [unrolled: 1-line block ×3, first 2 shown]
	flat_store_b128 v[38:39], v[120:123]
	flat_store_b128 v[38:39], v[124:127] offset:256
	v_add_nc_u64_e32 v[6:7], v[6:7], v[148:149]
	s_clause 0x5
	flat_store_b128 v[38:39], v[128:131] offset:512
	flat_store_b128 v[38:39], v[132:135] offset:768
	flat_store_b128 v[6:7], v[136:139]
	flat_store_b128 v[6:7], v[140:143] offset:256
	flat_store_b128 v[6:7], v[144:147] offset:512
	flat_store_b64 v[6:7], v[42:43] offset:768
	v_add_nc_u64_e32 v[4:5], 0x300, v[6:7]
	s_cbranch_execnz .LBB252_2
	s_branch .LBB252_10
.LBB252_8:                              ;   in Loop: Header=BB252_3 Depth=1
	v_mov_b64_e32 v[64:65], 0
	v_mov_b64_e32 v[66:67], 0
	;; [unrolled: 1-line block ×32, first 2 shown]
	s_wait_loadcnt 0x0
	s_wait_xcnt 0x0
	v_add_nc_u64_e32 v[0:1], s[12:13], v[38:39]
	s_and_not1_b32 vcc_lo, exec_lo, s1
	s_mov_b32 s22, -1
                                        ; implicit-def: $vgpr2_vgpr3
                                        ; implicit-def: $vgpr4_vgpr5
	s_cbranch_vccz .LBB252_7
.LBB252_9:                              ;   in Loop: Header=BB252_3 Depth=1
	s_and_not1_b32 vcc_lo, exec_lo, s22
	s_cbranch_vccnz .LBB252_2
.LBB252_10:                             ;   in Loop: Header=BB252_3 Depth=1
	v_add_nc_u64_e32 v[2:3], s[14:15], v[36:37]
	s_wait_xcnt 0x0
	v_lshlrev_b64_e32 v[6:7], 4, v[30:31]
	v_mul_f64_e32 v[40:41], s[8:9], v[66:67]
	v_mul_f64_e32 v[42:43], s[6:7], v[66:67]
	s_delay_alu instid0(VALU_DEP_4) | instskip(NEXT) | instid1(VALU_DEP_1)
	v_lshl_add_u64 v[36:37], v[28:29], 4, v[2:3]
	v_add_nc_u64_e32 v[38:39], v[36:37], v[6:7]
	flat_load_b128 v[2:5], v[38:39]
	v_fma_f64 v[40:41], s[6:7], v[64:65], -v[40:41]
	v_fmac_f64_e32 v[42:43], s[8:9], v[64:65]
	s_wait_loadcnt_dscnt 0x0
	v_mul_f64_e32 v[66:67], s[40:41], v[4:5]
	v_mul_f64_e32 v[4:5], s[38:39], v[4:5]
	s_delay_alu instid0(VALU_DEP_2) | instskip(NEXT) | instid1(VALU_DEP_2)
	v_fma_f64 v[64:65], s[38:39], v[2:3], -v[66:67]
	v_fmac_f64_e32 v[4:5], s[40:41], v[2:3]
	s_delay_alu instid0(VALU_DEP_2) | instskip(NEXT) | instid1(VALU_DEP_2)
	v_add_f64_e32 v[2:3], v[40:41], v[64:65]
	v_add_f64_e32 v[4:5], v[42:43], v[4:5]
	v_lshl_add_u64 v[40:41], v[26:27], 4, v[0:1]
	s_delay_alu instid0(VALU_DEP_1) | instskip(SKIP_4) | instid1(VALU_DEP_2)
	v_add_nc_u64_e32 v[42:43], v[40:41], v[6:7]
	flat_store_b128 v[42:43], v[2:5]
	flat_load_b128 v[0:3], v[38:39] offset:256
	v_mul_f64_e32 v[4:5], s[8:9], v[52:53]
	v_mul_f64_e32 v[52:53], s[6:7], v[52:53]
	v_fma_f64 v[4:5], s[6:7], v[48:49], -v[4:5]
	s_delay_alu instid0(VALU_DEP_2) | instskip(SKIP_3) | instid1(VALU_DEP_2)
	v_fmac_f64_e32 v[52:53], s[8:9], v[48:49]
	s_wait_loadcnt_dscnt 0x0
	v_mul_f64_e32 v[64:65], s[40:41], v[2:3]
	v_mul_f64_e32 v[2:3], s[38:39], v[2:3]
	v_fma_f64 v[48:49], s[38:39], v[0:1], -v[64:65]
	s_delay_alu instid0(VALU_DEP_2) | instskip(NEXT) | instid1(VALU_DEP_2)
	v_fmac_f64_e32 v[2:3], s[40:41], v[0:1]
	v_add_f64_e32 v[0:1], v[4:5], v[48:49]
	s_delay_alu instid0(VALU_DEP_2)
	v_add_f64_e32 v[2:3], v[52:53], v[2:3]
	v_mul_f64_e32 v[4:5], s[8:9], v[46:47]
	v_mul_f64_e32 v[46:47], s[6:7], v[46:47]
	flat_store_b128 v[42:43], v[0:3] offset:256
	flat_load_b128 v[0:3], v[38:39] offset:512
	v_fma_f64 v[4:5], s[6:7], v[44:45], -v[4:5]
	v_fmac_f64_e32 v[46:47], s[8:9], v[44:45]
	s_wait_loadcnt_dscnt 0x0
	v_mul_f64_e32 v[48:49], s[40:41], v[2:3]
	v_mul_f64_e32 v[2:3], s[38:39], v[2:3]
	s_delay_alu instid0(VALU_DEP_2) | instskip(NEXT) | instid1(VALU_DEP_2)
	v_fma_f64 v[44:45], s[38:39], v[0:1], -v[48:49]
	v_fmac_f64_e32 v[2:3], s[40:41], v[0:1]
	s_delay_alu instid0(VALU_DEP_2) | instskip(NEXT) | instid1(VALU_DEP_2)
	v_add_f64_e32 v[0:1], v[4:5], v[44:45]
	v_add_f64_e32 v[2:3], v[46:47], v[2:3]
	v_mul_f64_e32 v[4:5], s[8:9], v[22:23]
	v_mul_f64_e32 v[22:23], s[6:7], v[22:23]
	flat_store_b128 v[42:43], v[0:3] offset:512
	flat_load_b128 v[0:3], v[38:39] offset:768
	v_fma_f64 v[4:5], s[6:7], v[20:21], -v[4:5]
	v_fmac_f64_e32 v[22:23], s[8:9], v[20:21]
	s_wait_loadcnt_dscnt 0x0
	s_wait_xcnt 0x0
	v_mul_f64_e32 v[38:39], s[40:41], v[2:3]
	v_mul_f64_e32 v[2:3], s[38:39], v[2:3]
	s_delay_alu instid0(VALU_DEP_2) | instskip(NEXT) | instid1(VALU_DEP_2)
	v_fma_f64 v[20:21], s[38:39], v[0:1], -v[38:39]
	v_fmac_f64_e32 v[2:3], s[40:41], v[0:1]
	s_delay_alu instid0(VALU_DEP_2) | instskip(NEXT) | instid1(VALU_DEP_2)
	v_add_f64_e32 v[0:1], v[4:5], v[20:21]
	v_add_f64_e32 v[2:3], v[22:23], v[2:3]
	v_add_nc_u64_e32 v[4:5], s[18:19], v[36:37]
	v_mul_f64_e32 v[22:23], s[8:9], v[86:87]
	v_mul_f64_e32 v[36:37], s[6:7], v[86:87]
	s_delay_alu instid0(VALU_DEP_3)
	v_add_nc_u64_e32 v[20:21], v[4:5], v[6:7]
	v_add_nc_u64_e32 v[4:5], s[18:19], v[4:5]
	flat_store_b128 v[42:43], v[0:3] offset:768
	flat_load_b128 v[0:3], v[20:21]
	v_fma_f64 v[22:23], s[6:7], v[84:85], -v[22:23]
	v_fmac_f64_e32 v[36:37], s[8:9], v[84:85]
	s_wait_loadcnt_dscnt 0x0
	v_mul_f64_e32 v[38:39], s[40:41], v[2:3]
	v_mul_f64_e32 v[2:3], s[38:39], v[2:3]
	s_delay_alu instid0(VALU_DEP_2) | instskip(NEXT) | instid1(VALU_DEP_2)
	v_fma_f64 v[38:39], s[38:39], v[0:1], -v[38:39]
	v_fmac_f64_e32 v[2:3], s[40:41], v[0:1]
	s_delay_alu instid0(VALU_DEP_2) | instskip(NEXT) | instid1(VALU_DEP_2)
	v_add_f64_e32 v[0:1], v[22:23], v[38:39]
	v_add_f64_e32 v[2:3], v[36:37], v[2:3]
	v_add_nc_u64_e32 v[22:23], s[20:21], v[40:41]
	v_mul_f64_e32 v[38:39], s[8:9], v[80:81]
	v_mul_f64_e32 v[40:41], s[6:7], v[80:81]
	s_delay_alu instid0(VALU_DEP_3)
	v_add_nc_u64_e32 v[36:37], v[22:23], v[6:7]
	v_add_nc_u64_e32 v[22:23], s[20:21], v[22:23]
	flat_store_b128 v[36:37], v[0:3]
	flat_load_b128 v[0:3], v[20:21] offset:256
	v_fma_f64 v[38:39], s[6:7], v[76:77], -v[38:39]
	v_fmac_f64_e32 v[40:41], s[8:9], v[76:77]
	s_wait_loadcnt_dscnt 0x0
	v_mul_f64_e32 v[42:43], s[40:41], v[2:3]
	v_mul_f64_e32 v[2:3], s[38:39], v[2:3]
	s_delay_alu instid0(VALU_DEP_2) | instskip(NEXT) | instid1(VALU_DEP_2)
	v_fma_f64 v[42:43], s[38:39], v[0:1], -v[42:43]
	v_fmac_f64_e32 v[2:3], s[40:41], v[0:1]
	s_delay_alu instid0(VALU_DEP_2) | instskip(NEXT) | instid1(VALU_DEP_2)
	v_add_f64_e32 v[0:1], v[38:39], v[42:43]
	v_add_f64_e32 v[2:3], v[40:41], v[2:3]
	v_mul_f64_e32 v[38:39], s[8:9], v[72:73]
	v_mul_f64_e32 v[40:41], s[6:7], v[72:73]
	flat_store_b128 v[36:37], v[0:3] offset:256
	flat_load_b128 v[0:3], v[20:21] offset:512
	v_fma_f64 v[38:39], s[6:7], v[68:69], -v[38:39]
	v_fmac_f64_e32 v[40:41], s[8:9], v[68:69]
	s_wait_loadcnt_dscnt 0x0
	v_mul_f64_e32 v[42:43], s[40:41], v[2:3]
	v_mul_f64_e32 v[2:3], s[38:39], v[2:3]
	s_delay_alu instid0(VALU_DEP_2) | instskip(NEXT) | instid1(VALU_DEP_2)
	v_fma_f64 v[42:43], s[38:39], v[0:1], -v[42:43]
	v_fmac_f64_e32 v[2:3], s[40:41], v[0:1]
	s_delay_alu instid0(VALU_DEP_2) | instskip(NEXT) | instid1(VALU_DEP_2)
	v_add_f64_e32 v[0:1], v[38:39], v[42:43]
	v_add_f64_e32 v[2:3], v[40:41], v[2:3]
	v_mul_f64_e32 v[38:39], s[6:7], v[60:61]
	flat_store_b128 v[36:37], v[0:3] offset:512
	flat_load_b128 v[0:3], v[20:21] offset:768
	s_wait_xcnt 0x0
	v_mul_f64_e32 v[20:21], s[8:9], v[60:61]
	v_fmac_f64_e32 v[38:39], s[8:9], v[56:57]
	s_delay_alu instid0(VALU_DEP_2) | instskip(SKIP_3) | instid1(VALU_DEP_2)
	v_fma_f64 v[20:21], s[6:7], v[56:57], -v[20:21]
	s_wait_loadcnt_dscnt 0x0
	v_mul_f64_e32 v[40:41], s[40:41], v[2:3]
	v_mul_f64_e32 v[2:3], s[38:39], v[2:3]
	v_fma_f64 v[40:41], s[38:39], v[0:1], -v[40:41]
	s_delay_alu instid0(VALU_DEP_2) | instskip(NEXT) | instid1(VALU_DEP_2)
	v_fmac_f64_e32 v[2:3], s[40:41], v[0:1]
	v_add_f64_e32 v[0:1], v[20:21], v[40:41]
	s_delay_alu instid0(VALU_DEP_2) | instskip(SKIP_3) | instid1(VALU_DEP_1)
	v_add_f64_e32 v[2:3], v[38:39], v[2:3]
	v_add_nc_u64_e32 v[20:21], v[4:5], v[6:7]
	v_mul_f64_e32 v[38:39], s[6:7], v[82:83]
	v_add_nc_u64_e32 v[4:5], s[18:19], v[4:5]
	v_add_nc_u64_e32 v[4:5], v[4:5], v[6:7]
	flat_store_b128 v[36:37], v[0:3] offset:768
	flat_load_b128 v[0:3], v[20:21]
	v_mul_f64_e32 v[36:37], s[8:9], v[82:83]
	v_fmac_f64_e32 v[38:39], s[8:9], v[78:79]
	s_delay_alu instid0(VALU_DEP_2) | instskip(SKIP_3) | instid1(VALU_DEP_2)
	v_fma_f64 v[36:37], s[6:7], v[78:79], -v[36:37]
	s_wait_loadcnt_dscnt 0x0
	v_mul_f64_e32 v[40:41], s[40:41], v[2:3]
	v_mul_f64_e32 v[2:3], s[38:39], v[2:3]
	v_fma_f64 v[40:41], s[38:39], v[0:1], -v[40:41]
	s_delay_alu instid0(VALU_DEP_2) | instskip(NEXT) | instid1(VALU_DEP_2)
	v_fmac_f64_e32 v[2:3], s[40:41], v[0:1]
	v_add_f64_e32 v[0:1], v[36:37], v[40:41]
	s_delay_alu instid0(VALU_DEP_2)
	v_add_f64_e32 v[2:3], v[38:39], v[2:3]
	v_add_nc_u64_e32 v[36:37], v[22:23], v[6:7]
	v_mul_f64_e32 v[38:39], s[8:9], v[74:75]
	v_mul_f64_e32 v[40:41], s[6:7], v[74:75]
	flat_store_b128 v[36:37], v[0:3]
	flat_load_b128 v[0:3], v[20:21] offset:256
	v_fma_f64 v[38:39], s[6:7], v[70:71], -v[38:39]
	v_fmac_f64_e32 v[40:41], s[8:9], v[70:71]
	s_wait_loadcnt_dscnt 0x0
	v_mul_f64_e32 v[42:43], s[40:41], v[2:3]
	v_mul_f64_e32 v[2:3], s[38:39], v[2:3]
	s_delay_alu instid0(VALU_DEP_2) | instskip(NEXT) | instid1(VALU_DEP_2)
	v_fma_f64 v[42:43], s[38:39], v[0:1], -v[42:43]
	v_fmac_f64_e32 v[2:3], s[40:41], v[0:1]
	s_delay_alu instid0(VALU_DEP_2) | instskip(NEXT) | instid1(VALU_DEP_2)
	v_add_f64_e32 v[0:1], v[38:39], v[42:43]
	v_add_f64_e32 v[2:3], v[40:41], v[2:3]
	v_mul_f64_e32 v[38:39], s[8:9], v[62:63]
	v_mul_f64_e32 v[40:41], s[6:7], v[62:63]
	flat_store_b128 v[36:37], v[0:3] offset:256
	flat_load_b128 v[0:3], v[20:21] offset:512
	v_fma_f64 v[38:39], s[6:7], v[58:59], -v[38:39]
	v_fmac_f64_e32 v[40:41], s[8:9], v[58:59]
	s_wait_loadcnt_dscnt 0x0
	v_mul_f64_e32 v[42:43], s[40:41], v[2:3]
	v_mul_f64_e32 v[2:3], s[38:39], v[2:3]
	s_delay_alu instid0(VALU_DEP_2) | instskip(NEXT) | instid1(VALU_DEP_2)
	v_fma_f64 v[42:43], s[38:39], v[0:1], -v[42:43]
	v_fmac_f64_e32 v[2:3], s[40:41], v[0:1]
	s_delay_alu instid0(VALU_DEP_2) | instskip(NEXT) | instid1(VALU_DEP_2)
	v_add_f64_e32 v[0:1], v[38:39], v[42:43]
	v_add_f64_e32 v[2:3], v[40:41], v[2:3]
	v_mul_f64_e32 v[38:39], s[6:7], v[54:55]
	flat_store_b128 v[36:37], v[0:3] offset:512
	flat_load_b128 v[0:3], v[20:21] offset:768
	s_wait_xcnt 0x0
	v_mul_f64_e32 v[20:21], s[8:9], v[54:55]
	v_fmac_f64_e32 v[38:39], s[8:9], v[50:51]
	s_delay_alu instid0(VALU_DEP_2) | instskip(SKIP_3) | instid1(VALU_DEP_2)
	v_fma_f64 v[20:21], s[6:7], v[50:51], -v[20:21]
	s_wait_loadcnt_dscnt 0x0
	v_mul_f64_e32 v[40:41], s[40:41], v[2:3]
	v_mul_f64_e32 v[2:3], s[38:39], v[2:3]
	v_fma_f64 v[40:41], s[38:39], v[0:1], -v[40:41]
	s_delay_alu instid0(VALU_DEP_2) | instskip(NEXT) | instid1(VALU_DEP_2)
	v_fmac_f64_e32 v[2:3], s[40:41], v[0:1]
	v_add_f64_e32 v[0:1], v[20:21], v[40:41]
	s_delay_alu instid0(VALU_DEP_2)
	v_add_f64_e32 v[2:3], v[38:39], v[2:3]
	v_mul_f64_e32 v[20:21], s[8:9], v[18:19]
	v_mul_f64_e32 v[18:19], s[6:7], v[18:19]
	flat_store_b128 v[36:37], v[0:3] offset:768
	flat_load_b128 v[0:3], v[4:5]
	v_fma_f64 v[20:21], s[6:7], v[16:17], -v[20:21]
	v_fmac_f64_e32 v[18:19], s[8:9], v[16:17]
	s_wait_loadcnt_dscnt 0x0
	v_mul_f64_e32 v[36:37], s[40:41], v[2:3]
	v_mul_f64_e32 v[2:3], s[38:39], v[2:3]
	s_delay_alu instid0(VALU_DEP_2) | instskip(NEXT) | instid1(VALU_DEP_2)
	v_fma_f64 v[16:17], s[38:39], v[0:1], -v[36:37]
	v_fmac_f64_e32 v[2:3], s[40:41], v[0:1]
	s_delay_alu instid0(VALU_DEP_2) | instskip(NEXT) | instid1(VALU_DEP_2)
	v_add_f64_e32 v[0:1], v[20:21], v[16:17]
	v_add_f64_e32 v[2:3], v[18:19], v[2:3]
	v_add_nc_u64_e32 v[16:17], s[20:21], v[22:23]
	s_delay_alu instid0(VALU_DEP_1)
	v_add_nc_u64_e32 v[6:7], v[16:17], v[6:7]
	v_mul_f64_e32 v[16:17], s[8:9], v[14:15]
	v_mul_f64_e32 v[14:15], s[6:7], v[14:15]
	flat_store_b128 v[6:7], v[0:3]
	flat_load_b128 v[0:3], v[4:5] offset:256
	v_fma_f64 v[16:17], s[6:7], v[12:13], -v[16:17]
	v_fmac_f64_e32 v[14:15], s[8:9], v[12:13]
	s_wait_loadcnt_dscnt 0x0
	v_mul_f64_e32 v[18:19], s[40:41], v[2:3]
	v_mul_f64_e32 v[2:3], s[38:39], v[2:3]
	s_delay_alu instid0(VALU_DEP_2) | instskip(NEXT) | instid1(VALU_DEP_2)
	v_fma_f64 v[12:13], s[38:39], v[0:1], -v[18:19]
	v_fmac_f64_e32 v[2:3], s[40:41], v[0:1]
	s_delay_alu instid0(VALU_DEP_2) | instskip(NEXT) | instid1(VALU_DEP_2)
	v_add_f64_e32 v[0:1], v[16:17], v[12:13]
	v_add_f64_e32 v[2:3], v[14:15], v[2:3]
	v_mul_f64_e32 v[12:13], s[8:9], v[10:11]
	v_mul_f64_e32 v[10:11], s[6:7], v[10:11]
	flat_store_b128 v[6:7], v[0:3] offset:256
	flat_load_b128 v[0:3], v[4:5] offset:512
	v_fma_f64 v[12:13], s[6:7], v[8:9], -v[12:13]
	v_fmac_f64_e32 v[10:11], s[8:9], v[8:9]
	s_wait_loadcnt_dscnt 0x0
	v_mul_f64_e32 v[14:15], s[40:41], v[2:3]
	v_mul_f64_e32 v[2:3], s[38:39], v[2:3]
	s_delay_alu instid0(VALU_DEP_2) | instskip(NEXT) | instid1(VALU_DEP_2)
	v_fma_f64 v[8:9], s[38:39], v[0:1], -v[14:15]
	v_fmac_f64_e32 v[2:3], s[40:41], v[0:1]
	s_delay_alu instid0(VALU_DEP_2) | instskip(NEXT) | instid1(VALU_DEP_2)
	v_add_f64_e32 v[0:1], v[12:13], v[8:9]
	v_add_f64_e32 v[2:3], v[10:11], v[2:3]
	v_mul_f64_e32 v[8:9], s[6:7], v[90:91]
	flat_store_b128 v[6:7], v[0:3] offset:512
	flat_load_b128 v[0:3], v[4:5] offset:768
	s_wait_xcnt 0x0
	v_mul_f64_e32 v[4:5], s[8:9], v[90:91]
	v_fmac_f64_e32 v[8:9], s[8:9], v[88:89]
	s_delay_alu instid0(VALU_DEP_2) | instskip(SKIP_3) | instid1(VALU_DEP_2)
	v_fma_f64 v[4:5], s[6:7], v[88:89], -v[4:5]
	s_wait_loadcnt_dscnt 0x0
	v_mul_f64_e32 v[10:11], s[40:41], v[2:3]
	v_mul_f64_e32 v[2:3], s[38:39], v[2:3]
	v_fma_f64 v[10:11], s[38:39], v[0:1], -v[10:11]
	s_delay_alu instid0(VALU_DEP_2) | instskip(NEXT) | instid1(VALU_DEP_2)
	v_fmac_f64_e32 v[2:3], s[40:41], v[0:1]
	v_add_f64_e32 v[0:1], v[4:5], v[10:11]
	s_delay_alu instid0(VALU_DEP_2)
	v_add_f64_e32 v[2:3], v[8:9], v[2:3]
	v_add_nc_u64_e32 v[4:5], 0x300, v[6:7]
	flat_store_b64 v[6:7], v[0:1] offset:768
	s_branch .LBB252_2
.LBB252_11:
	s_sendmsg sendmsg(MSG_DEALLOC_VGPRS)
	s_endpgm
	.section	.rodata,"a",@progbits
	.p2align	6, 0x0
	.amdhsa_kernel _ZN12_GLOBAL__N_127rocblas_gemm_batched_kernelI19rocblas_complex_numIdELi16ELi16ELi64ELi64ELi4ELi64ELi4ELi4ELi64ELc84ELc78EKPKS2_S5_KPS2_EEvlllT_PT11_llSA_llS8_PT12_llPT13_lli
		.amdhsa_group_segment_fixed_size 8192
		.amdhsa_private_segment_fixed_size 0
		.amdhsa_kernarg_size 156
		.amdhsa_user_sgpr_count 2
		.amdhsa_user_sgpr_dispatch_ptr 0
		.amdhsa_user_sgpr_queue_ptr 0
		.amdhsa_user_sgpr_kernarg_segment_ptr 1
		.amdhsa_user_sgpr_dispatch_id 0
		.amdhsa_user_sgpr_kernarg_preload_length 0
		.amdhsa_user_sgpr_kernarg_preload_offset 0
		.amdhsa_user_sgpr_private_segment_size 0
		.amdhsa_wavefront_size32 1
		.amdhsa_uses_dynamic_stack 0
		.amdhsa_enable_private_segment 0
		.amdhsa_system_sgpr_workgroup_id_x 1
		.amdhsa_system_sgpr_workgroup_id_y 1
		.amdhsa_system_sgpr_workgroup_id_z 1
		.amdhsa_system_sgpr_workgroup_info 0
		.amdhsa_system_vgpr_workitem_id 1
		.amdhsa_next_free_vgpr 154
		.amdhsa_next_free_sgpr 52
		.amdhsa_named_barrier_count 0
		.amdhsa_reserve_vcc 1
		.amdhsa_float_round_mode_32 0
		.amdhsa_float_round_mode_16_64 0
		.amdhsa_float_denorm_mode_32 3
		.amdhsa_float_denorm_mode_16_64 3
		.amdhsa_fp16_overflow 0
		.amdhsa_memory_ordered 1
		.amdhsa_forward_progress 1
		.amdhsa_inst_pref_size 45
		.amdhsa_round_robin_scheduling 0
		.amdhsa_exception_fp_ieee_invalid_op 0
		.amdhsa_exception_fp_denorm_src 0
		.amdhsa_exception_fp_ieee_div_zero 0
		.amdhsa_exception_fp_ieee_overflow 0
		.amdhsa_exception_fp_ieee_underflow 0
		.amdhsa_exception_fp_ieee_inexact 0
		.amdhsa_exception_int_div_zero 0
	.end_amdhsa_kernel
	.section	.text._ZN12_GLOBAL__N_127rocblas_gemm_batched_kernelI19rocblas_complex_numIdELi16ELi16ELi64ELi64ELi4ELi64ELi4ELi4ELi64ELc84ELc78EKPKS2_S5_KPS2_EEvlllT_PT11_llSA_llS8_PT12_llPT13_lli,"axG",@progbits,_ZN12_GLOBAL__N_127rocblas_gemm_batched_kernelI19rocblas_complex_numIdELi16ELi16ELi64ELi64ELi4ELi64ELi4ELi4ELi64ELc84ELc78EKPKS2_S5_KPS2_EEvlllT_PT11_llSA_llS8_PT12_llPT13_lli,comdat
.Lfunc_end252:
	.size	_ZN12_GLOBAL__N_127rocblas_gemm_batched_kernelI19rocblas_complex_numIdELi16ELi16ELi64ELi64ELi4ELi64ELi4ELi4ELi64ELc84ELc78EKPKS2_S5_KPS2_EEvlllT_PT11_llSA_llS8_PT12_llPT13_lli, .Lfunc_end252-_ZN12_GLOBAL__N_127rocblas_gemm_batched_kernelI19rocblas_complex_numIdELi16ELi16ELi64ELi64ELi4ELi64ELi4ELi4ELi64ELc84ELc78EKPKS2_S5_KPS2_EEvlllT_PT11_llSA_llS8_PT12_llPT13_lli
                                        ; -- End function
	.set _ZN12_GLOBAL__N_127rocblas_gemm_batched_kernelI19rocblas_complex_numIdELi16ELi16ELi64ELi64ELi4ELi64ELi4ELi4ELi64ELc84ELc78EKPKS2_S5_KPS2_EEvlllT_PT11_llSA_llS8_PT12_llPT13_lli.num_vgpr, 154
	.set _ZN12_GLOBAL__N_127rocblas_gemm_batched_kernelI19rocblas_complex_numIdELi16ELi16ELi64ELi64ELi4ELi64ELi4ELi4ELi64ELc84ELc78EKPKS2_S5_KPS2_EEvlllT_PT11_llSA_llS8_PT12_llPT13_lli.num_agpr, 0
	.set _ZN12_GLOBAL__N_127rocblas_gemm_batched_kernelI19rocblas_complex_numIdELi16ELi16ELi64ELi64ELi4ELi64ELi4ELi4ELi64ELc84ELc78EKPKS2_S5_KPS2_EEvlllT_PT11_llSA_llS8_PT12_llPT13_lli.numbered_sgpr, 52
	.set _ZN12_GLOBAL__N_127rocblas_gemm_batched_kernelI19rocblas_complex_numIdELi16ELi16ELi64ELi64ELi4ELi64ELi4ELi4ELi64ELc84ELc78EKPKS2_S5_KPS2_EEvlllT_PT11_llSA_llS8_PT12_llPT13_lli.num_named_barrier, 0
	.set _ZN12_GLOBAL__N_127rocblas_gemm_batched_kernelI19rocblas_complex_numIdELi16ELi16ELi64ELi64ELi4ELi64ELi4ELi4ELi64ELc84ELc78EKPKS2_S5_KPS2_EEvlllT_PT11_llSA_llS8_PT12_llPT13_lli.private_seg_size, 0
	.set _ZN12_GLOBAL__N_127rocblas_gemm_batched_kernelI19rocblas_complex_numIdELi16ELi16ELi64ELi64ELi4ELi64ELi4ELi4ELi64ELc84ELc78EKPKS2_S5_KPS2_EEvlllT_PT11_llSA_llS8_PT12_llPT13_lli.uses_vcc, 1
	.set _ZN12_GLOBAL__N_127rocblas_gemm_batched_kernelI19rocblas_complex_numIdELi16ELi16ELi64ELi64ELi4ELi64ELi4ELi4ELi64ELc84ELc78EKPKS2_S5_KPS2_EEvlllT_PT11_llSA_llS8_PT12_llPT13_lli.uses_flat_scratch, 1
	.set _ZN12_GLOBAL__N_127rocblas_gemm_batched_kernelI19rocblas_complex_numIdELi16ELi16ELi64ELi64ELi4ELi64ELi4ELi4ELi64ELc84ELc78EKPKS2_S5_KPS2_EEvlllT_PT11_llSA_llS8_PT12_llPT13_lli.has_dyn_sized_stack, 0
	.set _ZN12_GLOBAL__N_127rocblas_gemm_batched_kernelI19rocblas_complex_numIdELi16ELi16ELi64ELi64ELi4ELi64ELi4ELi4ELi64ELc84ELc78EKPKS2_S5_KPS2_EEvlllT_PT11_llSA_llS8_PT12_llPT13_lli.has_recursion, 0
	.set _ZN12_GLOBAL__N_127rocblas_gemm_batched_kernelI19rocblas_complex_numIdELi16ELi16ELi64ELi64ELi4ELi64ELi4ELi4ELi64ELc84ELc78EKPKS2_S5_KPS2_EEvlllT_PT11_llSA_llS8_PT12_llPT13_lli.has_indirect_call, 0
	.section	.AMDGPU.csdata,"",@progbits
; Kernel info:
; codeLenInByte = 5672
; TotalNumSgprs: 54
; NumVgprs: 154
; ScratchSize: 0
; MemoryBound: 0
; FloatMode: 240
; IeeeMode: 1
; LDSByteSize: 8192 bytes/workgroup (compile time only)
; SGPRBlocks: 0
; VGPRBlocks: 9
; NumSGPRsForWavesPerEU: 54
; NumVGPRsForWavesPerEU: 154
; NamedBarCnt: 0
; Occupancy: 6
; WaveLimiterHint : 1
; COMPUTE_PGM_RSRC2:SCRATCH_EN: 0
; COMPUTE_PGM_RSRC2:USER_SGPR: 2
; COMPUTE_PGM_RSRC2:TRAP_HANDLER: 0
; COMPUTE_PGM_RSRC2:TGID_X_EN: 1
; COMPUTE_PGM_RSRC2:TGID_Y_EN: 1
; COMPUTE_PGM_RSRC2:TGID_Z_EN: 1
; COMPUTE_PGM_RSRC2:TIDIG_COMP_CNT: 1
	.section	.text._ZN12_GLOBAL__N_127rocblas_gemm_batched_kernelI19rocblas_complex_numIdELi16ELi16ELi64ELi64ELi4ELi64ELi4ELi4ELi64ELc78ELc84EKPKS2_S5_KPS2_EEvlllT_PT11_llSA_llS8_PT12_llPT13_lli,"axG",@progbits,_ZN12_GLOBAL__N_127rocblas_gemm_batched_kernelI19rocblas_complex_numIdELi16ELi16ELi64ELi64ELi4ELi64ELi4ELi4ELi64ELc78ELc84EKPKS2_S5_KPS2_EEvlllT_PT11_llSA_llS8_PT12_llPT13_lli,comdat
	.globl	_ZN12_GLOBAL__N_127rocblas_gemm_batched_kernelI19rocblas_complex_numIdELi16ELi16ELi64ELi64ELi4ELi64ELi4ELi4ELi64ELc78ELc84EKPKS2_S5_KPS2_EEvlllT_PT11_llSA_llS8_PT12_llPT13_lli ; -- Begin function _ZN12_GLOBAL__N_127rocblas_gemm_batched_kernelI19rocblas_complex_numIdELi16ELi16ELi64ELi64ELi4ELi64ELi4ELi4ELi64ELc78ELc84EKPKS2_S5_KPS2_EEvlllT_PT11_llSA_llS8_PT12_llPT13_lli
	.p2align	8
	.type	_ZN12_GLOBAL__N_127rocblas_gemm_batched_kernelI19rocblas_complex_numIdELi16ELi16ELi64ELi64ELi4ELi64ELi4ELi4ELi64ELc78ELc84EKPKS2_S5_KPS2_EEvlllT_PT11_llSA_llS8_PT12_llPT13_lli,@function
_ZN12_GLOBAL__N_127rocblas_gemm_batched_kernelI19rocblas_complex_numIdELi16ELi16ELi64ELi64ELi4ELi64ELi4ELi4ELi64ELc78ELc84EKPKS2_S5_KPS2_EEvlllT_PT11_llSA_llS8_PT12_llPT13_lli: ; @_ZN12_GLOBAL__N_127rocblas_gemm_batched_kernelI19rocblas_complex_numIdELi16ELi16ELi64ELi64ELi4ELi64ELi4ELi4ELi64ELc78ELc84EKPKS2_S5_KPS2_EEvlllT_PT11_llSA_llS8_PT12_llPT13_lli
; %bb.0:
	s_load_b32 s28, s[0:1], 0x98
	s_bfe_u32 s2, ttmp6, 0x40014
	s_lshr_b32 s3, ttmp7, 16
	s_add_co_i32 s2, s2, 1
	s_bfe_u32 s4, ttmp6, 0x40008
	s_mul_i32 s2, s3, s2
	s_getreg_b32 s20, hwreg(HW_REG_IB_STS2, 6, 4)
	s_add_co_i32 s4, s4, s2
	s_cmp_eq_u32 s20, 0
	s_cselect_b32 s2, s3, s4
	s_mov_b32 s3, 0
	s_wait_kmcnt 0x0
	s_cmp_ge_i32 s2, s28
	s_cbranch_scc1 .LBB253_11
; %bb.1:
	s_clause 0x1
	s_load_b512 s[4:19], s[0:1], 0x10
	s_load_b512 s[36:51], s[0:1], 0x50
	v_bfe_u32 v24, v0, 10, 10
	v_and_b32_e32 v2, 0x3ff, v0
	s_bfe_u32 s22, ttmp6, 0x4000c
	s_bfe_u32 s23, ttmp6, 0x40010
	s_add_co_i32 s22, s22, 1
	s_and_b32 s24, ttmp7, 0xffff
	s_add_co_i32 s23, s23, 1
	s_and_b32 s21, ttmp6, 15
	s_mul_i32 s22, ttmp9, s22
	s_mul_i32 s23, s24, s23
	s_bfe_u32 s25, ttmp6, 0x40004
	v_lshl_add_u32 v3, v24, 4, v2
	s_add_co_i32 s21, s21, s22
	s_add_co_i32 s25, s25, s23
	s_cmp_eq_u32 s20, 0
	s_delay_alu instid0(VALU_DEP_1) | instskip(SKIP_3) | instid1(VALU_DEP_1)
	v_dual_mov_b32 v25, 0 :: v_dual_lshrrev_b32 v12, 6, v3
	s_cselect_b32 s20, ttmp9, s21
	s_cselect_b32 s22, s24, s25
	s_ashr_i32 s21, s20, 31
	v_dual_mov_b32 v5, v25 :: v_dual_lshrrev_b32 v4, 2, v3
	s_lshl_b64 s[20:21], s[20:21], 6
	s_lshl_b32 s22, s22, 6
	s_wait_kmcnt 0x0
	v_mad_nc_u64_u32 v[6:7], s12, v12, s[20:21]
	s_mov_b32 s23, s3
	v_cmp_eq_f64_e64 s29, s[38:39], 0
	v_add_nc_u64_e32 v[8:9], s[22:23], v[4:5]
	v_dual_mov_b32 v11, v25 :: v_dual_bitop2_b32 v5, 3, v0 bitop3:0x40
	v_add_nc_u64_e32 v[0:1], s[22:23], v[24:25]
	v_cmp_eq_f64_e64 s30, s[40:41], 0
	s_delay_alu instid0(VALU_DEP_3)
	v_dual_lshlrev_b32 v13, 4, v5 :: v_dual_bitop2_b32 v10, 63, v3 bitop3:0x40
	v_mad_nc_u64_u32 v[8:9], s18, v5, v[8:9]
	v_mad_u32 v7, s13, v12, v7
	s_load_b64 s[22:23], s[0:1], 0x90
	v_mul_u64_e32 v[26:27], s[50:51], v[0:1]
	v_mul_u64_e32 v[28:29], s[44:45], v[0:1]
	v_dual_mov_b32 v3, v25 :: v_dual_lshlrev_b32 v104, 4, v2
	s_wait_xcnt 0x0
	v_cmp_gt_i64_e64 s0, s[4:5], 0
	v_lshl_or_b32 v4, v4, 6, v13
	v_lshl_add_u32 v24, v24, 6, 0x1000
	v_add_nc_u64_e32 v[30:31], s[20:21], v[2:3]
	v_mad_u32 v9, s19, v5, v9
	v_add_nc_u64_e32 v[0:1], v[6:7], v[10:11]
	v_lshlrev_b32_e32 v5, 4, v10
	v_add_nc_u32_e32 v106, 0x1000, v4
	s_lshl_b64 s[24:25], s[50:51], 4
	s_lshl_b64 s[26:27], s[44:45], 4
	;; [unrolled: 1-line block ×3, first 2 shown]
	v_lshl_or_b32 v105, v12, 10, v5
	v_lshlrev_b64_e32 v[0:1], 4, v[0:1]
	s_lshl_b64 s[20:21], s[46:47], 4
	s_lshl_b64 s[24:25], s[24:25], 4
	v_lshlrev_b64_e32 v[2:3], 4, v[8:9]
	s_delay_alu instid0(VALU_DEP_2) | instskip(SKIP_2) | instid1(VALU_DEP_3)
	v_lshl_add_u64 v[32:33], s[14:15], 4, v[0:1]
	v_cndmask_b32_e64 v0, 0, 1, s0
	s_lshl_b64 s[14:15], s[18:19], 6
	v_lshl_add_u64 v[34:35], s[36:37], 4, v[2:3]
	s_and_b32 s1, s29, s30
	s_wait_kmcnt 0x0
	s_lshl_b64 s[18:19], s[22:23], 4
	v_cmp_ne_u32_e64 s0, 1, v0
	s_lshl_b64 s[22:23], s[26:27], 4
	s_branch .LBB253_3
.LBB253_2:                              ;   in Loop: Header=BB253_3 Depth=1
	s_add_co_i32 s2, s2, 0x10000
	flat_store_b64 v[4:5], v[2:3] offset:8
	s_cmp_lt_i32 s2, s28
	s_cbranch_scc0 .LBB253_11
.LBB253_3:                              ; =>This Loop Header: Depth=1
                                        ;     Child Loop BB253_5 Depth 2
	s_wait_xcnt 0x1
	v_mov_b32_e32 v0, s2
	s_and_b32 vcc_lo, exec_lo, s0
	s_clause 0x1
	global_load_b64 v[36:37], v0, s[42:43] scale_offset
	global_load_b64 v[38:39], v0, s[48:49] scale_offset
	s_cbranch_vccnz .LBB253_8
; %bb.4:                                ;   in Loop: Header=BB253_3 Depth=1
	s_lshl_b64 s[26:27], s[2:3], 3
	v_mov_b64_e32 v[90:91], 0
	s_add_nc_u64 s[30:31], s[10:11], s[26:27]
	s_add_nc_u64 s[26:27], s[16:17], s[26:27]
	s_clause 0x1
	global_load_b64 v[0:1], v25, s[30:31]
	global_load_b64 v[2:3], v25, s[26:27]
	v_mov_b64_e32 v[88:89], 0
	v_mov_b64_e32 v[10:11], 0
	;; [unrolled: 1-line block ×31, first 2 shown]
	s_wait_xcnt 0x0
	s_mov_b64 s[26:27], 0
	s_wait_loadcnt 0x1
	v_add_nc_u64_e32 v[40:41], v[0:1], v[32:33]
	s_wait_loadcnt 0x0
	v_add_nc_u64_e32 v[42:43], v[2:3], v[34:35]
.LBB253_5:                              ;   Parent Loop BB253_3 Depth=1
                                        ; =>  This Inner Loop Header: Depth=2
	flat_load_b128 v[0:3], v[40:41]
	s_add_nc_u64 s[26:27], s[26:27], 4
	s_wait_xcnt 0x0
	v_add_nc_u64_e32 v[40:41], s[12:13], v[40:41]
	v_cmp_lt_i64_e64 s29, s[26:27], s[4:5]
	s_and_b32 vcc_lo, exec_lo, s29
	s_wait_loadcnt_dscnt 0x0
	ds_store_2addr_b64 v105, v[0:1], v[2:3] offset1:1
	flat_load_b128 v[0:3], v[42:43]
	s_wait_xcnt 0x0
	v_add_nc_u64_e32 v[42:43], s[14:15], v[42:43]
	s_wait_loadcnt_dscnt 0x0
	ds_store_2addr_b64 v106, v[0:1], v[2:3] offset1:1
	s_wait_dscnt 0x0
	s_barrier_signal -1
	s_barrier_wait -1
	ds_load_b128 v[92:95], v24
	ds_load_b128 v[96:99], v24 offset:16
	ds_load_b128 v[4:7], v24 offset:32
	;; [unrolled: 1-line block ×3, first 2 shown]
	ds_load_b128 v[100:103], v104
	s_wait_dscnt 0x0
	v_mul_f64_e32 v[108:109], v[94:95], v[102:103]
	v_mul_f64_e32 v[110:111], v[92:93], v[102:103]
	s_delay_alu instid0(VALU_DEP_2) | instskip(NEXT) | instid1(VALU_DEP_2)
	v_fma_f64 v[108:109], v[92:93], v[100:101], -v[108:109]
	v_fmac_f64_e32 v[110:111], v[94:95], v[100:101]
	s_delay_alu instid0(VALU_DEP_2) | instskip(NEXT) | instid1(VALU_DEP_2)
	v_add_f64_e32 v[112:113], v[64:65], v[108:109]
	v_add_f64_e32 v[114:115], v[110:111], v[66:67]
	ds_load_b128 v[64:67], v104 offset:256
	s_wait_dscnt 0x0
	v_mul_f64_e32 v[108:109], v[94:95], v[66:67]
	v_mul_f64_e32 v[110:111], v[92:93], v[66:67]
	s_delay_alu instid0(VALU_DEP_2) | instskip(NEXT) | instid1(VALU_DEP_2)
	v_fma_f64 v[108:109], v[92:93], v[64:65], -v[108:109]
	v_fmac_f64_e32 v[110:111], v[94:95], v[64:65]
	s_delay_alu instid0(VALU_DEP_2) | instskip(NEXT) | instid1(VALU_DEP_2)
	v_add_f64_e32 v[48:49], v[48:49], v[108:109]
	v_add_f64_e32 v[116:117], v[110:111], v[52:53]
	ds_load_b128 v[108:111], v104 offset:512
	;; [unrolled: 10-line block ×3, first 2 shown]
	s_wait_dscnt 0x0
	v_mul_f64_e32 v[52:53], v[94:95], v[46:47]
	s_delay_alu instid0(VALU_DEP_1) | instskip(SKIP_1) | instid1(VALU_DEP_1)
	v_fma_f64 v[52:53], v[92:93], v[44:45], -v[52:53]
	v_mul_f64_e32 v[92:93], v[92:93], v[46:47]
	v_fmac_f64_e32 v[92:93], v[94:95], v[44:45]
	s_delay_alu instid0(VALU_DEP_3) | instskip(NEXT) | instid1(VALU_DEP_2)
	v_add_f64_e32 v[94:95], v[20:21], v[52:53]
	v_add_f64_e32 v[92:93], v[92:93], v[22:23]
	ds_load_b128 v[20:23], v24 offset:1024
	s_wait_dscnt 0x0
	v_mul_f64_e32 v[52:53], v[22:23], v[102:103]
	v_mul_f64_e32 v[122:123], v[20:21], v[102:103]
	s_delay_alu instid0(VALU_DEP_2) | instskip(NEXT) | instid1(VALU_DEP_2)
	v_fma_f64 v[52:53], v[20:21], v[100:101], -v[52:53]
	v_fmac_f64_e32 v[122:123], v[22:23], v[100:101]
	s_delay_alu instid0(VALU_DEP_2) | instskip(SKIP_1) | instid1(VALU_DEP_3)
	v_add_f64_e32 v[84:85], v[84:85], v[52:53]
	v_mul_f64_e32 v[52:53], v[22:23], v[66:67]
	v_add_f64_e32 v[86:87], v[122:123], v[86:87]
	v_mul_f64_e32 v[122:123], v[20:21], v[66:67]
	s_delay_alu instid0(VALU_DEP_3) | instskip(NEXT) | instid1(VALU_DEP_2)
	v_fma_f64 v[52:53], v[20:21], v[64:65], -v[52:53]
	v_fmac_f64_e32 v[122:123], v[22:23], v[64:65]
	s_delay_alu instid0(VALU_DEP_2) | instskip(SKIP_2) | instid1(VALU_DEP_4)
	v_add_f64_e32 v[124:125], v[76:77], v[52:53]
	v_mul_f64_e32 v[52:53], v[22:23], v[110:111]
	v_mul_f64_e32 v[76:77], v[20:21], v[110:111]
	v_add_f64_e32 v[122:123], v[122:123], v[80:81]
	s_delay_alu instid0(VALU_DEP_3) | instskip(NEXT) | instid1(VALU_DEP_3)
	v_fma_f64 v[52:53], v[20:21], v[108:109], -v[52:53]
	v_fmac_f64_e32 v[76:77], v[22:23], v[108:109]
	s_delay_alu instid0(VALU_DEP_2) | instskip(SKIP_1) | instid1(VALU_DEP_3)
	v_add_f64_e32 v[126:127], v[68:69], v[52:53]
	v_mul_f64_e32 v[52:53], v[22:23], v[46:47]
	v_add_f64_e32 v[128:129], v[76:77], v[72:73]
	s_delay_alu instid0(VALU_DEP_2) | instskip(SKIP_1) | instid1(VALU_DEP_2)
	v_fma_f64 v[52:53], v[20:21], v[44:45], -v[52:53]
	v_mul_f64_e32 v[20:21], v[20:21], v[46:47]
	v_add_f64_e32 v[130:131], v[56:57], v[52:53]
	s_delay_alu instid0(VALU_DEP_2) | instskip(NEXT) | instid1(VALU_DEP_1)
	v_fmac_f64_e32 v[20:21], v[22:23], v[44:45]
	v_add_f64_e32 v[132:133], v[20:21], v[60:61]
	ds_load_b128 v[20:23], v24 offset:2048
	s_wait_dscnt 0x0
	v_mul_f64_e32 v[52:53], v[22:23], v[102:103]
	v_mul_f64_e32 v[56:57], v[20:21], v[102:103]
	s_delay_alu instid0(VALU_DEP_2) | instskip(NEXT) | instid1(VALU_DEP_2)
	v_fma_f64 v[52:53], v[20:21], v[100:101], -v[52:53]
	v_fmac_f64_e32 v[56:57], v[22:23], v[100:101]
	s_delay_alu instid0(VALU_DEP_2) | instskip(SKIP_1) | instid1(VALU_DEP_3)
	v_add_f64_e32 v[134:135], v[78:79], v[52:53]
	v_mul_f64_e32 v[52:53], v[22:23], v[66:67]
	v_add_f64_e32 v[136:137], v[56:57], v[82:83]
	v_mul_f64_e32 v[56:57], v[20:21], v[66:67]
	s_delay_alu instid0(VALU_DEP_3) | instskip(NEXT) | instid1(VALU_DEP_2)
	v_fma_f64 v[52:53], v[20:21], v[64:65], -v[52:53]
	v_fmac_f64_e32 v[56:57], v[22:23], v[64:65]
	s_delay_alu instid0(VALU_DEP_2) | instskip(SKIP_1) | instid1(VALU_DEP_3)
	v_add_f64_e32 v[138:139], v[70:71], v[52:53]
	v_mul_f64_e32 v[52:53], v[22:23], v[110:111]
	v_add_f64_e32 v[140:141], v[56:57], v[74:75]
	v_mul_f64_e32 v[56:57], v[20:21], v[110:111]
	s_delay_alu instid0(VALU_DEP_3) | instskip(NEXT) | instid1(VALU_DEP_2)
	v_fma_f64 v[52:53], v[20:21], v[108:109], -v[52:53]
	v_fmac_f64_e32 v[56:57], v[22:23], v[108:109]
	s_delay_alu instid0(VALU_DEP_2) | instskip(SKIP_1) | instid1(VALU_DEP_3)
	v_add_f64_e32 v[142:143], v[58:59], v[52:53]
	v_mul_f64_e32 v[52:53], v[22:23], v[46:47]
	v_add_f64_e32 v[144:145], v[56:57], v[62:63]
	s_delay_alu instid0(VALU_DEP_2) | instskip(SKIP_1) | instid1(VALU_DEP_2)
	v_fma_f64 v[52:53], v[20:21], v[44:45], -v[52:53]
	v_mul_f64_e32 v[20:21], v[20:21], v[46:47]
	v_add_f64_e32 v[146:147], v[50:51], v[52:53]
	s_delay_alu instid0(VALU_DEP_2) | instskip(NEXT) | instid1(VALU_DEP_1)
	v_fmac_f64_e32 v[20:21], v[22:23], v[44:45]
	v_add_f64_e32 v[148:149], v[20:21], v[54:55]
	ds_load_b128 v[20:23], v24 offset:3072
	s_wait_dscnt 0x0
	v_mul_f64_e32 v[50:51], v[22:23], v[102:103]
	v_mul_f64_e32 v[52:53], v[20:21], v[102:103]
	s_delay_alu instid0(VALU_DEP_2) | instskip(NEXT) | instid1(VALU_DEP_2)
	v_fma_f64 v[50:51], v[20:21], v[100:101], -v[50:51]
	v_fmac_f64_e32 v[52:53], v[22:23], v[100:101]
	s_delay_alu instid0(VALU_DEP_2) | instskip(NEXT) | instid1(VALU_DEP_2)
	v_add_f64_e32 v[72:73], v[16:17], v[50:51]
	v_add_f64_e32 v[74:75], v[52:53], v[18:19]
	v_mul_f64_e32 v[16:17], v[22:23], v[66:67]
	v_mul_f64_e32 v[18:19], v[20:21], v[66:67]
	s_delay_alu instid0(VALU_DEP_2) | instskip(NEXT) | instid1(VALU_DEP_2)
	v_fma_f64 v[16:17], v[20:21], v[64:65], -v[16:17]
	v_fmac_f64_e32 v[18:19], v[22:23], v[64:65]
	s_delay_alu instid0(VALU_DEP_2) | instskip(NEXT) | instid1(VALU_DEP_2)
	v_add_f64_e32 v[68:69], v[12:13], v[16:17]
	v_add_f64_e32 v[70:71], v[18:19], v[14:15]
	v_mul_f64_e32 v[12:13], v[22:23], v[110:111]
	v_mul_f64_e32 v[14:15], v[20:21], v[110:111]
	ds_load_b128 v[16:19], v104 offset:1280
	v_fma_f64 v[12:13], v[20:21], v[108:109], -v[12:13]
	v_fmac_f64_e32 v[14:15], v[22:23], v[108:109]
	s_delay_alu instid0(VALU_DEP_2) | instskip(NEXT) | instid1(VALU_DEP_2)
	v_add_f64_e32 v[64:65], v[8:9], v[12:13]
	v_add_f64_e32 v[66:67], v[14:15], v[10:11]
	v_mul_f64_e32 v[8:9], v[22:23], v[46:47]
	v_mul_f64_e32 v[10:11], v[20:21], v[46:47]
	ds_load_b128 v[12:15], v104 offset:1536
	v_fma_f64 v[8:9], v[20:21], v[44:45], -v[8:9]
	v_fmac_f64_e32 v[10:11], v[22:23], v[44:45]
	ds_load_b128 v[20:23], v104 offset:1024
	v_add_f64_e32 v[60:61], v[88:89], v[8:9]
	v_add_f64_e32 v[62:63], v[10:11], v[90:91]
	ds_load_b128 v[88:91], v24 offset:1040
	s_wait_dscnt 0x1
	v_mul_f64_e32 v[8:9], v[98:99], v[22:23]
	v_mul_f64_e32 v[10:11], v[96:97], v[22:23]
	s_wait_dscnt 0x0
	v_mul_f64_e32 v[76:77], v[90:91], v[22:23]
	v_mul_f64_e32 v[78:79], v[88:89], v[22:23]
	;; [unrolled: 1-line block ×4, first 2 shown]
	v_fma_f64 v[8:9], v[96:97], v[20:21], -v[8:9]
	v_fmac_f64_e32 v[10:11], v[98:99], v[20:21]
	v_fma_f64 v[76:77], v[88:89], v[20:21], -v[76:77]
	v_fmac_f64_e32 v[78:79], v[90:91], v[20:21]
	;; [unrolled: 2-line block ×3, first 2 shown]
	v_add_f64_e32 v[56:57], v[112:113], v[8:9]
	v_add_f64_e32 v[58:59], v[10:11], v[114:115]
	v_mul_f64_e32 v[8:9], v[98:99], v[18:19]
	v_mul_f64_e32 v[10:11], v[96:97], v[18:19]
	v_add_f64_e32 v[76:77], v[84:85], v[76:77]
	v_add_f64_e32 v[78:79], v[78:79], v[86:87]
	v_mul_f64_e32 v[84:85], v[90:91], v[14:15]
	v_mul_f64_e32 v[86:87], v[88:89], v[14:15]
	v_add_f64_e32 v[80:81], v[124:125], v[80:81]
	v_add_f64_e32 v[82:83], v[82:83], v[122:123]
	v_fma_f64 v[8:9], v[96:97], v[16:17], -v[8:9]
	v_fmac_f64_e32 v[10:11], v[98:99], v[16:17]
	v_fma_f64 v[84:85], v[88:89], v[12:13], -v[84:85]
	v_fmac_f64_e32 v[86:87], v[90:91], v[12:13]
	s_delay_alu instid0(VALU_DEP_4) | instskip(NEXT) | instid1(VALU_DEP_4)
	v_add_f64_e32 v[52:53], v[48:49], v[8:9]
	v_add_f64_e32 v[54:55], v[10:11], v[116:117]
	v_mul_f64_e32 v[8:9], v[98:99], v[14:15]
	v_mul_f64_e32 v[10:11], v[96:97], v[14:15]
	v_add_f64_e32 v[84:85], v[126:127], v[84:85]
	v_add_f64_e32 v[86:87], v[86:87], v[128:129]
	s_delay_alu instid0(VALU_DEP_4) | instskip(NEXT) | instid1(VALU_DEP_4)
	v_fma_f64 v[8:9], v[96:97], v[12:13], -v[8:9]
	v_fmac_f64_e32 v[10:11], v[98:99], v[12:13]
	s_delay_alu instid0(VALU_DEP_2) | instskip(NEXT) | instid1(VALU_DEP_2)
	v_add_f64_e32 v[48:49], v[120:121], v[8:9]
	v_add_f64_e32 v[50:51], v[10:11], v[118:119]
	ds_load_b128 v[8:11], v104 offset:1792
	s_wait_dscnt 0x0
	v_mul_f64_e32 v[44:45], v[98:99], v[10:11]
	v_mul_f64_e32 v[46:47], v[96:97], v[10:11]
	s_delay_alu instid0(VALU_DEP_2) | instskip(NEXT) | instid1(VALU_DEP_2)
	v_fma_f64 v[44:45], v[96:97], v[8:9], -v[44:45]
	v_fmac_f64_e32 v[46:47], v[98:99], v[8:9]
	s_delay_alu instid0(VALU_DEP_2) | instskip(NEXT) | instid1(VALU_DEP_2)
	v_add_f64_e32 v[44:45], v[94:95], v[44:45]
	v_add_f64_e32 v[46:47], v[46:47], v[92:93]
	v_mul_f64_e32 v[92:93], v[90:91], v[10:11]
	v_mul_f64_e32 v[94:95], v[88:89], v[10:11]
	s_delay_alu instid0(VALU_DEP_2) | instskip(NEXT) | instid1(VALU_DEP_2)
	v_fma_f64 v[92:93], v[88:89], v[8:9], -v[92:93]
	v_fmac_f64_e32 v[94:95], v[90:91], v[8:9]
	s_delay_alu instid0(VALU_DEP_2) | instskip(NEXT) | instid1(VALU_DEP_2)
	v_add_f64_e32 v[88:89], v[130:131], v[92:93]
	v_add_f64_e32 v[90:91], v[94:95], v[132:133]
	ds_load_b128 v[92:95], v24 offset:2064
	s_wait_dscnt 0x0
	v_mul_f64_e32 v[96:97], v[94:95], v[22:23]
	v_mul_f64_e32 v[100:101], v[94:95], v[18:19]
	;; [unrolled: 1-line block ×7, first 2 shown]
	v_fma_f64 v[96:97], v[92:93], v[20:21], -v[96:97]
	v_fma_f64 v[100:101], v[92:93], v[16:17], -v[100:101]
	;; [unrolled: 1-line block ×4, first 2 shown]
	v_mul_f64_e32 v[92:93], v[92:93], v[10:11]
	v_fmac_f64_e32 v[98:99], v[94:95], v[20:21]
	v_fmac_f64_e32 v[102:103], v[94:95], v[16:17]
	;; [unrolled: 1-line block ×3, first 2 shown]
	v_add_f64_e32 v[96:97], v[134:135], v[96:97]
	v_add_f64_e32 v[100:101], v[138:139], v[100:101]
	;; [unrolled: 1-line block ×4, first 2 shown]
	v_fmac_f64_e32 v[92:93], v[94:95], v[8:9]
	v_add_f64_e32 v[98:99], v[98:99], v[136:137]
	v_add_f64_e32 v[102:103], v[102:103], v[140:141]
	;; [unrolled: 1-line block ×3, first 2 shown]
	s_delay_alu instid0(VALU_DEP_4) | instskip(SKIP_4) | instid1(VALU_DEP_2)
	v_add_f64_e32 v[114:115], v[92:93], v[148:149]
	ds_load_b128 v[92:95], v24 offset:3088
	s_wait_dscnt 0x0
	v_mul_f64_e32 v[116:117], v[94:95], v[22:23]
	v_mul_f64_e32 v[22:23], v[92:93], v[22:23]
	v_fma_f64 v[116:117], v[92:93], v[20:21], -v[116:117]
	s_delay_alu instid0(VALU_DEP_2) | instskip(SKIP_2) | instid1(VALU_DEP_4)
	v_fmac_f64_e32 v[22:23], v[94:95], v[20:21]
	v_mul_f64_e32 v[20:21], v[94:95], v[18:19]
	v_mul_f64_e32 v[18:19], v[92:93], v[18:19]
	v_add_f64_e32 v[72:73], v[72:73], v[116:117]
	s_delay_alu instid0(VALU_DEP_4) | instskip(NEXT) | instid1(VALU_DEP_4)
	v_add_f64_e32 v[74:75], v[22:23], v[74:75]
	v_fma_f64 v[20:21], v[92:93], v[16:17], -v[20:21]
	s_delay_alu instid0(VALU_DEP_4) | instskip(SKIP_2) | instid1(VALU_DEP_4)
	v_fmac_f64_e32 v[18:19], v[94:95], v[16:17]
	v_mul_f64_e32 v[16:17], v[94:95], v[14:15]
	v_mul_f64_e32 v[14:15], v[92:93], v[14:15]
	v_add_f64_e32 v[68:69], v[68:69], v[20:21]
	s_delay_alu instid0(VALU_DEP_4) | instskip(NEXT) | instid1(VALU_DEP_4)
	v_add_f64_e32 v[70:71], v[18:19], v[70:71]
	v_fma_f64 v[16:17], v[92:93], v[12:13], -v[16:17]
	s_delay_alu instid0(VALU_DEP_4) | instskip(SKIP_2) | instid1(VALU_DEP_4)
	v_fmac_f64_e32 v[14:15], v[94:95], v[12:13]
	v_mul_f64_e32 v[12:13], v[94:95], v[10:11]
	v_mul_f64_e32 v[10:11], v[92:93], v[10:11]
	v_add_f64_e32 v[64:65], v[64:65], v[16:17]
	s_delay_alu instid0(VALU_DEP_4) | instskip(NEXT) | instid1(VALU_DEP_4)
	v_add_f64_e32 v[66:67], v[14:15], v[66:67]
	v_fma_f64 v[12:13], v[92:93], v[8:9], -v[12:13]
	s_delay_alu instid0(VALU_DEP_4) | instskip(NEXT) | instid1(VALU_DEP_2)
	v_fmac_f64_e32 v[10:11], v[94:95], v[8:9]
	v_add_f64_e32 v[60:61], v[60:61], v[12:13]
	s_delay_alu instid0(VALU_DEP_2) | instskip(SKIP_4) | instid1(VALU_DEP_2)
	v_add_f64_e32 v[62:63], v[10:11], v[62:63]
	ds_load_b128 v[8:11], v104 offset:2048
	s_wait_dscnt 0x0
	v_mul_f64_e32 v[12:13], v[6:7], v[10:11]
	v_mul_f64_e32 v[14:15], v[4:5], v[10:11]
	v_fma_f64 v[12:13], v[4:5], v[8:9], -v[12:13]
	s_delay_alu instid0(VALU_DEP_2) | instskip(NEXT) | instid1(VALU_DEP_2)
	v_fmac_f64_e32 v[14:15], v[6:7], v[8:9]
	v_add_f64_e32 v[56:57], v[56:57], v[12:13]
	s_delay_alu instid0(VALU_DEP_2) | instskip(SKIP_4) | instid1(VALU_DEP_2)
	v_add_f64_e32 v[58:59], v[14:15], v[58:59]
	ds_load_b128 v[12:15], v104 offset:2304
	s_wait_dscnt 0x0
	v_mul_f64_e32 v[16:17], v[6:7], v[14:15]
	v_mul_f64_e32 v[18:19], v[4:5], v[14:15]
	v_fma_f64 v[16:17], v[4:5], v[12:13], -v[16:17]
	s_delay_alu instid0(VALU_DEP_2) | instskip(NEXT) | instid1(VALU_DEP_2)
	;; [unrolled: 10-line block ×3, first 2 shown]
	v_fmac_f64_e32 v[22:23], v[6:7], v[16:17]
	v_add_f64_e32 v[116:117], v[48:49], v[20:21]
	s_delay_alu instid0(VALU_DEP_2) | instskip(SKIP_3) | instid1(VALU_DEP_1)
	v_add_f64_e32 v[50:51], v[22:23], v[50:51]
	ds_load_b128 v[20:23], v104 offset:2816
	s_wait_dscnt 0x0
	v_mul_f64_e32 v[48:49], v[6:7], v[22:23]
	v_fma_f64 v[48:49], v[4:5], v[20:21], -v[48:49]
	v_mul_f64_e32 v[4:5], v[4:5], v[22:23]
	s_delay_alu instid0(VALU_DEP_2) | instskip(NEXT) | instid1(VALU_DEP_2)
	v_add_f64_e32 v[118:119], v[44:45], v[48:49]
	v_fmac_f64_e32 v[4:5], v[6:7], v[20:21]
	s_delay_alu instid0(VALU_DEP_1) | instskip(SKIP_4) | instid1(VALU_DEP_2)
	v_add_f64_e32 v[120:121], v[4:5], v[46:47]
	ds_load_b128 v[4:7], v24 offset:1056
	s_wait_dscnt 0x0
	v_mul_f64_e32 v[44:45], v[6:7], v[10:11]
	v_mul_f64_e32 v[46:47], v[4:5], v[10:11]
	v_fma_f64 v[44:45], v[4:5], v[8:9], -v[44:45]
	s_delay_alu instid0(VALU_DEP_2) | instskip(NEXT) | instid1(VALU_DEP_2)
	v_fmac_f64_e32 v[46:47], v[6:7], v[8:9]
	v_add_f64_e32 v[76:77], v[76:77], v[44:45]
	v_mul_f64_e32 v[44:45], v[6:7], v[14:15]
	s_delay_alu instid0(VALU_DEP_3) | instskip(SKIP_1) | instid1(VALU_DEP_3)
	v_add_f64_e32 v[78:79], v[46:47], v[78:79]
	v_mul_f64_e32 v[46:47], v[4:5], v[14:15]
	v_fma_f64 v[44:45], v[4:5], v[12:13], -v[44:45]
	s_delay_alu instid0(VALU_DEP_2) | instskip(NEXT) | instid1(VALU_DEP_2)
	v_fmac_f64_e32 v[46:47], v[6:7], v[12:13]
	v_add_f64_e32 v[80:81], v[80:81], v[44:45]
	v_mul_f64_e32 v[44:45], v[6:7], v[18:19]
	s_delay_alu instid0(VALU_DEP_3) | instskip(SKIP_1) | instid1(VALU_DEP_3)
	v_add_f64_e32 v[82:83], v[46:47], v[82:83]
	v_mul_f64_e32 v[46:47], v[4:5], v[18:19]
	v_fma_f64 v[44:45], v[4:5], v[16:17], -v[44:45]
	s_delay_alu instid0(VALU_DEP_2) | instskip(NEXT) | instid1(VALU_DEP_2)
	v_fmac_f64_e32 v[46:47], v[6:7], v[16:17]
	v_add_f64_e32 v[122:123], v[84:85], v[44:45]
	v_mul_f64_e32 v[44:45], v[6:7], v[22:23]
	s_delay_alu instid0(VALU_DEP_3) | instskip(NEXT) | instid1(VALU_DEP_2)
	v_add_f64_e32 v[124:125], v[46:47], v[86:87]
	v_fma_f64 v[44:45], v[4:5], v[20:21], -v[44:45]
	v_mul_f64_e32 v[4:5], v[4:5], v[22:23]
	s_delay_alu instid0(VALU_DEP_2) | instskip(NEXT) | instid1(VALU_DEP_2)
	v_add_f64_e32 v[126:127], v[88:89], v[44:45]
	v_fmac_f64_e32 v[4:5], v[6:7], v[20:21]
	s_delay_alu instid0(VALU_DEP_1) | instskip(SKIP_4) | instid1(VALU_DEP_2)
	v_add_f64_e32 v[128:129], v[4:5], v[90:91]
	ds_load_b128 v[4:7], v24 offset:2080
	s_wait_dscnt 0x0
	v_mul_f64_e32 v[44:45], v[6:7], v[10:11]
	v_mul_f64_e32 v[46:47], v[4:5], v[10:11]
	v_fma_f64 v[44:45], v[4:5], v[8:9], -v[44:45]
	s_delay_alu instid0(VALU_DEP_2) | instskip(NEXT) | instid1(VALU_DEP_2)
	v_fmac_f64_e32 v[46:47], v[6:7], v[8:9]
	v_add_f64_e32 v[130:131], v[96:97], v[44:45]
	v_mul_f64_e32 v[44:45], v[6:7], v[14:15]
	s_delay_alu instid0(VALU_DEP_3) | instskip(SKIP_1) | instid1(VALU_DEP_3)
	v_add_f64_e32 v[132:133], v[46:47], v[98:99]
	v_mul_f64_e32 v[46:47], v[4:5], v[14:15]
	v_fma_f64 v[44:45], v[4:5], v[12:13], -v[44:45]
	s_delay_alu instid0(VALU_DEP_2) | instskip(NEXT) | instid1(VALU_DEP_2)
	v_fmac_f64_e32 v[46:47], v[6:7], v[12:13]
	v_add_f64_e32 v[134:135], v[100:101], v[44:45]
	v_mul_f64_e32 v[44:45], v[6:7], v[18:19]
	s_delay_alu instid0(VALU_DEP_3) | instskip(SKIP_1) | instid1(VALU_DEP_3)
	v_add_f64_e32 v[136:137], v[46:47], v[102:103]
	v_mul_f64_e32 v[46:47], v[4:5], v[18:19]
	v_fma_f64 v[44:45], v[4:5], v[16:17], -v[44:45]
	s_delay_alu instid0(VALU_DEP_2) | instskip(NEXT) | instid1(VALU_DEP_2)
	v_fmac_f64_e32 v[46:47], v[6:7], v[16:17]
	v_add_f64_e32 v[108:109], v[108:109], v[44:45]
	v_mul_f64_e32 v[44:45], v[6:7], v[22:23]
	s_delay_alu instid0(VALU_DEP_3) | instskip(NEXT) | instid1(VALU_DEP_2)
	v_add_f64_e32 v[110:111], v[46:47], v[110:111]
	v_fma_f64 v[44:45], v[4:5], v[20:21], -v[44:45]
	v_mul_f64_e32 v[4:5], v[4:5], v[22:23]
	s_delay_alu instid0(VALU_DEP_2) | instskip(NEXT) | instid1(VALU_DEP_2)
	v_add_f64_e32 v[112:113], v[112:113], v[44:45]
	v_fmac_f64_e32 v[4:5], v[6:7], v[20:21]
	s_delay_alu instid0(VALU_DEP_1) | instskip(SKIP_4) | instid1(VALU_DEP_2)
	v_add_f64_e32 v[114:115], v[4:5], v[114:115]
	ds_load_b128 v[4:7], v24 offset:3104
	s_wait_dscnt 0x0
	v_mul_f64_e32 v[44:45], v[6:7], v[10:11]
	v_mul_f64_e32 v[10:11], v[4:5], v[10:11]
	v_fma_f64 v[44:45], v[4:5], v[8:9], -v[44:45]
	s_delay_alu instid0(VALU_DEP_2) | instskip(SKIP_1) | instid1(VALU_DEP_3)
	v_fmac_f64_e32 v[10:11], v[6:7], v[8:9]
	v_mul_f64_e32 v[8:9], v[6:7], v[14:15]
	v_add_f64_e32 v[100:101], v[72:73], v[44:45]
	s_delay_alu instid0(VALU_DEP_3) | instskip(NEXT) | instid1(VALU_DEP_3)
	v_add_f64_e32 v[102:103], v[10:11], v[74:75]
	v_fma_f64 v[8:9], v[4:5], v[12:13], -v[8:9]
	v_mul_f64_e32 v[10:11], v[4:5], v[14:15]
	s_delay_alu instid0(VALU_DEP_2) | instskip(SKIP_1) | instid1(VALU_DEP_3)
	v_add_f64_e32 v[96:97], v[68:69], v[8:9]
	v_mul_f64_e32 v[8:9], v[6:7], v[18:19]
	v_fmac_f64_e32 v[10:11], v[6:7], v[12:13]
	ds_load_b128 v[12:15], v104 offset:3328
	v_fma_f64 v[8:9], v[4:5], v[16:17], -v[8:9]
	v_add_f64_e32 v[98:99], v[10:11], v[70:71]
	v_mul_f64_e32 v[10:11], v[4:5], v[18:19]
	s_delay_alu instid0(VALU_DEP_3) | instskip(SKIP_1) | instid1(VALU_DEP_3)
	v_add_f64_e32 v[92:93], v[64:65], v[8:9]
	v_mul_f64_e32 v[8:9], v[6:7], v[22:23]
	v_fmac_f64_e32 v[10:11], v[6:7], v[16:17]
	ds_load_b128 v[16:19], v104 offset:3072
	v_fma_f64 v[8:9], v[4:5], v[20:21], -v[8:9]
	v_mul_f64_e32 v[4:5], v[4:5], v[22:23]
	v_add_f64_e32 v[94:95], v[10:11], v[66:67]
	s_delay_alu instid0(VALU_DEP_3) | instskip(NEXT) | instid1(VALU_DEP_3)
	v_add_f64_e32 v[88:89], v[60:61], v[8:9]
	v_fmac_f64_e32 v[4:5], v[6:7], v[20:21]
	s_wait_dscnt 0x0
	v_mul_f64_e32 v[6:7], v[0:1], v[18:19]
	ds_load_b128 v[8:11], v104 offset:3584
	v_add_f64_e32 v[90:91], v[4:5], v[62:63]
	v_mul_f64_e32 v[4:5], v[2:3], v[18:19]
	v_fmac_f64_e32 v[6:7], v[2:3], v[16:17]
	s_delay_alu instid0(VALU_DEP_2) | instskip(NEXT) | instid1(VALU_DEP_2)
	v_fma_f64 v[4:5], v[0:1], v[16:17], -v[4:5]
	v_add_f64_e32 v[66:67], v[6:7], v[58:59]
	v_mul_f64_e32 v[6:7], v[0:1], v[14:15]
	s_delay_alu instid0(VALU_DEP_3) | instskip(SKIP_1) | instid1(VALU_DEP_3)
	v_add_f64_e32 v[64:65], v[56:57], v[4:5]
	v_mul_f64_e32 v[4:5], v[2:3], v[14:15]
	v_fmac_f64_e32 v[6:7], v[2:3], v[12:13]
	s_delay_alu instid0(VALU_DEP_2) | instskip(NEXT) | instid1(VALU_DEP_1)
	v_fma_f64 v[4:5], v[0:1], v[12:13], -v[4:5]
	v_add_f64_e32 v[48:49], v[52:53], v[4:5]
	s_delay_alu instid0(VALU_DEP_3) | instskip(SKIP_3) | instid1(VALU_DEP_2)
	v_add_f64_e32 v[52:53], v[6:7], v[54:55]
	s_wait_dscnt 0x0
	v_mul_f64_e32 v[4:5], v[2:3], v[10:11]
	v_mul_f64_e32 v[6:7], v[0:1], v[10:11]
	v_fma_f64 v[4:5], v[0:1], v[8:9], -v[4:5]
	s_delay_alu instid0(VALU_DEP_2) | instskip(NEXT) | instid1(VALU_DEP_2)
	v_fmac_f64_e32 v[6:7], v[2:3], v[8:9]
	v_add_f64_e32 v[44:45], v[116:117], v[4:5]
	s_delay_alu instid0(VALU_DEP_2) | instskip(SKIP_3) | instid1(VALU_DEP_1)
	v_add_f64_e32 v[46:47], v[6:7], v[50:51]
	ds_load_b128 v[4:7], v104 offset:3840
	s_wait_dscnt 0x0
	v_mul_f64_e32 v[20:21], v[2:3], v[6:7]
	v_fma_f64 v[20:21], v[0:1], v[4:5], -v[20:21]
	v_mul_f64_e32 v[0:1], v[0:1], v[6:7]
	s_delay_alu instid0(VALU_DEP_2) | instskip(NEXT) | instid1(VALU_DEP_2)
	v_add_f64_e32 v[20:21], v[118:119], v[20:21]
	v_fmac_f64_e32 v[0:1], v[2:3], v[4:5]
	s_delay_alu instid0(VALU_DEP_1) | instskip(SKIP_4) | instid1(VALU_DEP_2)
	v_add_f64_e32 v[22:23], v[0:1], v[120:121]
	ds_load_b128 v[0:3], v24 offset:1072
	s_wait_dscnt 0x0
	v_mul_f64_e32 v[50:51], v[2:3], v[18:19]
	v_mul_f64_e32 v[54:55], v[0:1], v[18:19]
	v_fma_f64 v[50:51], v[0:1], v[16:17], -v[50:51]
	s_delay_alu instid0(VALU_DEP_2) | instskip(NEXT) | instid1(VALU_DEP_2)
	v_fmac_f64_e32 v[54:55], v[2:3], v[16:17]
	v_add_f64_e32 v[84:85], v[76:77], v[50:51]
	v_mul_f64_e32 v[50:51], v[2:3], v[14:15]
	s_delay_alu instid0(VALU_DEP_3) | instskip(SKIP_1) | instid1(VALU_DEP_3)
	v_add_f64_e32 v[86:87], v[54:55], v[78:79]
	v_mul_f64_e32 v[54:55], v[0:1], v[14:15]
	v_fma_f64 v[50:51], v[0:1], v[12:13], -v[50:51]
	s_delay_alu instid0(VALU_DEP_2) | instskip(NEXT) | instid1(VALU_DEP_2)
	v_fmac_f64_e32 v[54:55], v[2:3], v[12:13]
	v_add_f64_e32 v[76:77], v[80:81], v[50:51]
	v_mul_f64_e32 v[50:51], v[2:3], v[10:11]
	s_delay_alu instid0(VALU_DEP_3) | instskip(SKIP_1) | instid1(VALU_DEP_3)
	v_add_f64_e32 v[80:81], v[54:55], v[82:83]
	v_mul_f64_e32 v[54:55], v[0:1], v[10:11]
	v_fma_f64 v[50:51], v[0:1], v[8:9], -v[50:51]
	s_delay_alu instid0(VALU_DEP_2) | instskip(NEXT) | instid1(VALU_DEP_2)
	v_fmac_f64_e32 v[54:55], v[2:3], v[8:9]
	v_add_f64_e32 v[68:69], v[122:123], v[50:51]
	v_mul_f64_e32 v[50:51], v[2:3], v[6:7]
	s_delay_alu instid0(VALU_DEP_3) | instskip(NEXT) | instid1(VALU_DEP_2)
	v_add_f64_e32 v[72:73], v[54:55], v[124:125]
	v_fma_f64 v[50:51], v[0:1], v[4:5], -v[50:51]
	v_mul_f64_e32 v[0:1], v[0:1], v[6:7]
	s_delay_alu instid0(VALU_DEP_2) | instskip(NEXT) | instid1(VALU_DEP_2)
	v_add_f64_e32 v[56:57], v[126:127], v[50:51]
	v_fmac_f64_e32 v[0:1], v[2:3], v[4:5]
	s_delay_alu instid0(VALU_DEP_1) | instskip(SKIP_4) | instid1(VALU_DEP_2)
	v_add_f64_e32 v[60:61], v[0:1], v[128:129]
	ds_load_b128 v[0:3], v24 offset:2096
	s_wait_dscnt 0x0
	v_mul_f64_e32 v[50:51], v[2:3], v[18:19]
	v_mul_f64_e32 v[54:55], v[0:1], v[18:19]
	v_fma_f64 v[50:51], v[0:1], v[16:17], -v[50:51]
	s_delay_alu instid0(VALU_DEP_2) | instskip(NEXT) | instid1(VALU_DEP_2)
	v_fmac_f64_e32 v[54:55], v[2:3], v[16:17]
	v_add_f64_e32 v[78:79], v[130:131], v[50:51]
	v_mul_f64_e32 v[50:51], v[2:3], v[14:15]
	s_delay_alu instid0(VALU_DEP_3) | instskip(SKIP_1) | instid1(VALU_DEP_3)
	v_add_f64_e32 v[82:83], v[54:55], v[132:133]
	v_mul_f64_e32 v[54:55], v[0:1], v[14:15]
	v_fma_f64 v[50:51], v[0:1], v[12:13], -v[50:51]
	s_delay_alu instid0(VALU_DEP_2) | instskip(NEXT) | instid1(VALU_DEP_2)
	v_fmac_f64_e32 v[54:55], v[2:3], v[12:13]
	v_add_f64_e32 v[70:71], v[134:135], v[50:51]
	v_mul_f64_e32 v[50:51], v[2:3], v[10:11]
	s_delay_alu instid0(VALU_DEP_3) | instskip(SKIP_1) | instid1(VALU_DEP_3)
	v_add_f64_e32 v[74:75], v[54:55], v[136:137]
	v_mul_f64_e32 v[54:55], v[0:1], v[10:11]
	v_fma_f64 v[50:51], v[0:1], v[8:9], -v[50:51]
	s_delay_alu instid0(VALU_DEP_2) | instskip(NEXT) | instid1(VALU_DEP_2)
	v_fmac_f64_e32 v[54:55], v[2:3], v[8:9]
	v_add_f64_e32 v[58:59], v[108:109], v[50:51]
	v_mul_f64_e32 v[50:51], v[2:3], v[6:7]
	s_delay_alu instid0(VALU_DEP_3) | instskip(NEXT) | instid1(VALU_DEP_2)
	v_add_f64_e32 v[62:63], v[54:55], v[110:111]
	v_fma_f64 v[50:51], v[0:1], v[4:5], -v[50:51]
	v_mul_f64_e32 v[0:1], v[0:1], v[6:7]
	s_delay_alu instid0(VALU_DEP_2) | instskip(NEXT) | instid1(VALU_DEP_2)
	v_add_f64_e32 v[50:51], v[112:113], v[50:51]
	v_fmac_f64_e32 v[0:1], v[2:3], v[4:5]
	s_delay_alu instid0(VALU_DEP_1)
	v_add_f64_e32 v[54:55], v[0:1], v[114:115]
	ds_load_b128 v[0:3], v24 offset:3120
	s_wait_dscnt 0x0
	s_barrier_signal -1
	s_barrier_wait -1
	v_mul_f64_e32 v[108:109], v[2:3], v[18:19]
	v_mul_f64_e32 v[18:19], v[0:1], v[18:19]
	s_delay_alu instid0(VALU_DEP_2) | instskip(NEXT) | instid1(VALU_DEP_2)
	v_fma_f64 v[108:109], v[0:1], v[16:17], -v[108:109]
	v_fmac_f64_e32 v[18:19], v[2:3], v[16:17]
	s_delay_alu instid0(VALU_DEP_2) | instskip(SKIP_2) | instid1(VALU_DEP_4)
	v_add_f64_e32 v[16:17], v[100:101], v[108:109]
	v_mul_f64_e32 v[100:101], v[2:3], v[14:15]
	v_mul_f64_e32 v[14:15], v[0:1], v[14:15]
	v_add_f64_e32 v[18:19], v[18:19], v[102:103]
	s_delay_alu instid0(VALU_DEP_3) | instskip(NEXT) | instid1(VALU_DEP_3)
	v_fma_f64 v[100:101], v[0:1], v[12:13], -v[100:101]
	v_fmac_f64_e32 v[14:15], v[2:3], v[12:13]
	s_delay_alu instid0(VALU_DEP_2) | instskip(SKIP_2) | instid1(VALU_DEP_4)
	v_add_f64_e32 v[12:13], v[96:97], v[100:101]
	v_mul_f64_e32 v[96:97], v[2:3], v[10:11]
	v_mul_f64_e32 v[10:11], v[0:1], v[10:11]
	v_add_f64_e32 v[14:15], v[14:15], v[98:99]
	s_delay_alu instid0(VALU_DEP_3) | instskip(NEXT) | instid1(VALU_DEP_3)
	v_fma_f64 v[96:97], v[0:1], v[8:9], -v[96:97]
	v_fmac_f64_e32 v[10:11], v[2:3], v[8:9]
	s_delay_alu instid0(VALU_DEP_2) | instskip(SKIP_1) | instid1(VALU_DEP_3)
	v_add_f64_e32 v[8:9], v[92:93], v[96:97]
	v_mul_f64_e32 v[92:93], v[2:3], v[6:7]
	v_add_f64_e32 v[10:11], v[10:11], v[94:95]
	s_delay_alu instid0(VALU_DEP_2) | instskip(SKIP_1) | instid1(VALU_DEP_2)
	v_fma_f64 v[92:93], v[0:1], v[4:5], -v[92:93]
	v_mul_f64_e32 v[0:1], v[0:1], v[6:7]
	v_add_f64_e32 v[88:89], v[88:89], v[92:93]
	s_delay_alu instid0(VALU_DEP_2) | instskip(NEXT) | instid1(VALU_DEP_1)
	v_fmac_f64_e32 v[0:1], v[2:3], v[4:5]
	v_add_f64_e32 v[90:91], v[0:1], v[90:91]
	s_cbranch_vccnz .LBB253_5
; %bb.6:                                ;   in Loop: Header=BB253_3 Depth=1
	v_add_nc_u64_e32 v[0:1], s[18:19], v[38:39]
	s_and_not1_b32 vcc_lo, exec_lo, s1
	s_mov_b32 s26, -1
                                        ; implicit-def: $vgpr2_vgpr3
                                        ; implicit-def: $vgpr4_vgpr5
	s_cbranch_vccnz .LBB253_9
.LBB253_7:                              ;   in Loop: Header=BB253_3 Depth=1
	v_mul_f64_e32 v[2:3], s[8:9], v[66:67]
	v_mul_f64_e32 v[42:43], s[8:9], v[46:47]
	;; [unrolled: 1-line block ×30, first 2 shown]
	v_lshlrev_b64_e32 v[148:149], 4, v[30:31]
	v_lshl_add_u64 v[150:151], v[26:27], 4, v[0:1]
	v_fma_f64 v[4:5], s[6:7], v[64:65], -v[2:3]
	v_mul_f64_e32 v[2:3], s[6:7], v[90:91]
	v_fma_f64 v[92:93], s[6:7], v[44:45], -v[42:43]
	v_mul_f64_e32 v[42:43], s[8:9], v[90:91]
	v_fmac_f64_e32 v[6:7], s[8:9], v[64:65]
	v_fma_f64 v[38:39], s[6:7], v[48:49], -v[38:39]
	v_fmac_f64_e32 v[40:41], s[8:9], v[48:49]
	v_add_nc_u64_e32 v[152:153], v[150:151], v[148:149]
	v_add_nc_u64_e32 v[150:151], s[24:25], v[150:151]
	v_fma_f64 v[100:101], s[6:7], v[84:85], -v[100:101]
	v_fma_f64 v[128:129], s[6:7], v[58:59], -v[128:129]
	v_fmac_f64_e32 v[94:95], s[8:9], v[44:45]
	v_fma_f64 v[144:145], s[6:7], v[8:9], -v[144:145]
	v_fmac_f64_e32 v[102:103], s[8:9], v[84:85]
	v_fmac_f64_e32 v[130:131], s[8:9], v[58:59]
	;; [unrolled: 1-line block ×3, first 2 shown]
	v_fma_f64 v[96:97], s[6:7], v[20:21], -v[96:97]
	v_fma_f64 v[108:109], s[6:7], v[76:77], -v[108:109]
	;; [unrolled: 1-line block ×3, first 2 shown]
	v_fmac_f64_e32 v[98:99], s[8:9], v[20:21]
	v_fmac_f64_e32 v[110:111], s[8:9], v[76:77]
	;; [unrolled: 1-line block ×3, first 2 shown]
	v_fma_f64 v[112:113], s[6:7], v[68:69], -v[112:113]
	v_fma_f64 v[136:137], s[6:7], v[16:17], -v[136:137]
	v_fmac_f64_e32 v[114:115], s[8:9], v[68:69]
	v_fmac_f64_e32 v[138:139], s[8:9], v[16:17]
	v_fma_f64 v[116:117], s[6:7], v[56:57], -v[116:117]
	v_fma_f64 v[140:141], s[6:7], v[12:13], -v[140:141]
	v_fmac_f64_e32 v[118:119], s[8:9], v[56:57]
	v_fmac_f64_e32 v[142:143], s[8:9], v[12:13]
	v_fma_f64 v[120:121], s[6:7], v[78:79], -v[120:121]
	v_fmac_f64_e32 v[122:123], s[8:9], v[78:79]
	v_fma_f64 v[124:125], s[6:7], v[70:71], -v[124:125]
	v_fmac_f64_e32 v[2:3], s[8:9], v[88:89]
	v_fmac_f64_e32 v[126:127], s[8:9], v[70:71]
	v_fma_f64 v[42:43], s[6:7], v[88:89], -v[42:43]
	flat_store_b128 v[152:153], v[4:7]
	s_wait_xcnt 0x0
	v_add_nc_u64_e32 v[4:5], s[24:25], v[150:151]
	v_add_nc_u64_e32 v[150:151], v[150:151], v[148:149]
	flat_store_b128 v[152:153], v[38:41] offset:256
	s_clause 0x1
	flat_store_b128 v[152:153], v[92:95] offset:512
	flat_store_b128 v[152:153], v[96:99] offset:768
	v_add_nc_u64_e32 v[6:7], s[24:25], v[4:5]
	s_wait_xcnt 0x2
	v_add_nc_u64_e32 v[38:39], v[4:5], v[148:149]
	s_clause 0x5
	flat_store_b128 v[150:151], v[100:103]
	flat_store_b128 v[150:151], v[108:111] offset:256
	flat_store_b128 v[150:151], v[112:115] offset:512
	;; [unrolled: 1-line block ×3, first 2 shown]
	flat_store_b128 v[38:39], v[120:123]
	flat_store_b128 v[38:39], v[124:127] offset:256
	v_add_nc_u64_e32 v[6:7], v[6:7], v[148:149]
	s_clause 0x5
	flat_store_b128 v[38:39], v[128:131] offset:512
	flat_store_b128 v[38:39], v[132:135] offset:768
	flat_store_b128 v[6:7], v[136:139]
	flat_store_b128 v[6:7], v[140:143] offset:256
	flat_store_b128 v[6:7], v[144:147] offset:512
	flat_store_b64 v[6:7], v[42:43] offset:768
	v_add_nc_u64_e32 v[4:5], 0x300, v[6:7]
	s_cbranch_execnz .LBB253_2
	s_branch .LBB253_10
.LBB253_8:                              ;   in Loop: Header=BB253_3 Depth=1
	v_mov_b64_e32 v[64:65], 0
	v_mov_b64_e32 v[66:67], 0
	;; [unrolled: 1-line block ×32, first 2 shown]
	s_wait_loadcnt 0x0
	s_wait_xcnt 0x0
	v_add_nc_u64_e32 v[0:1], s[18:19], v[38:39]
	s_and_not1_b32 vcc_lo, exec_lo, s1
	s_mov_b32 s26, -1
                                        ; implicit-def: $vgpr2_vgpr3
                                        ; implicit-def: $vgpr4_vgpr5
	s_cbranch_vccz .LBB253_7
.LBB253_9:                              ;   in Loop: Header=BB253_3 Depth=1
	s_and_not1_b32 vcc_lo, exec_lo, s26
	s_cbranch_vccnz .LBB253_2
.LBB253_10:                             ;   in Loop: Header=BB253_3 Depth=1
	v_add_nc_u64_e32 v[2:3], s[20:21], v[36:37]
	s_wait_xcnt 0x0
	v_lshlrev_b64_e32 v[6:7], 4, v[30:31]
	v_mul_f64_e32 v[40:41], s[8:9], v[66:67]
	v_mul_f64_e32 v[42:43], s[6:7], v[66:67]
	s_delay_alu instid0(VALU_DEP_4) | instskip(NEXT) | instid1(VALU_DEP_1)
	v_lshl_add_u64 v[36:37], v[28:29], 4, v[2:3]
	v_add_nc_u64_e32 v[38:39], v[36:37], v[6:7]
	flat_load_b128 v[2:5], v[38:39]
	v_fma_f64 v[40:41], s[6:7], v[64:65], -v[40:41]
	v_fmac_f64_e32 v[42:43], s[8:9], v[64:65]
	s_wait_loadcnt_dscnt 0x0
	v_mul_f64_e32 v[66:67], s[40:41], v[4:5]
	v_mul_f64_e32 v[4:5], s[38:39], v[4:5]
	s_delay_alu instid0(VALU_DEP_2) | instskip(NEXT) | instid1(VALU_DEP_2)
	v_fma_f64 v[64:65], s[38:39], v[2:3], -v[66:67]
	v_fmac_f64_e32 v[4:5], s[40:41], v[2:3]
	s_delay_alu instid0(VALU_DEP_2) | instskip(NEXT) | instid1(VALU_DEP_2)
	v_add_f64_e32 v[2:3], v[40:41], v[64:65]
	v_add_f64_e32 v[4:5], v[42:43], v[4:5]
	v_lshl_add_u64 v[40:41], v[26:27], 4, v[0:1]
	s_delay_alu instid0(VALU_DEP_1) | instskip(SKIP_4) | instid1(VALU_DEP_2)
	v_add_nc_u64_e32 v[42:43], v[40:41], v[6:7]
	flat_store_b128 v[42:43], v[2:5]
	flat_load_b128 v[0:3], v[38:39] offset:256
	v_mul_f64_e32 v[4:5], s[8:9], v[52:53]
	v_mul_f64_e32 v[52:53], s[6:7], v[52:53]
	v_fma_f64 v[4:5], s[6:7], v[48:49], -v[4:5]
	s_delay_alu instid0(VALU_DEP_2) | instskip(SKIP_3) | instid1(VALU_DEP_2)
	v_fmac_f64_e32 v[52:53], s[8:9], v[48:49]
	s_wait_loadcnt_dscnt 0x0
	v_mul_f64_e32 v[64:65], s[40:41], v[2:3]
	v_mul_f64_e32 v[2:3], s[38:39], v[2:3]
	v_fma_f64 v[48:49], s[38:39], v[0:1], -v[64:65]
	s_delay_alu instid0(VALU_DEP_2) | instskip(NEXT) | instid1(VALU_DEP_2)
	v_fmac_f64_e32 v[2:3], s[40:41], v[0:1]
	v_add_f64_e32 v[0:1], v[4:5], v[48:49]
	s_delay_alu instid0(VALU_DEP_2)
	v_add_f64_e32 v[2:3], v[52:53], v[2:3]
	v_mul_f64_e32 v[4:5], s[8:9], v[46:47]
	v_mul_f64_e32 v[46:47], s[6:7], v[46:47]
	flat_store_b128 v[42:43], v[0:3] offset:256
	flat_load_b128 v[0:3], v[38:39] offset:512
	v_fma_f64 v[4:5], s[6:7], v[44:45], -v[4:5]
	v_fmac_f64_e32 v[46:47], s[8:9], v[44:45]
	s_wait_loadcnt_dscnt 0x0
	v_mul_f64_e32 v[48:49], s[40:41], v[2:3]
	v_mul_f64_e32 v[2:3], s[38:39], v[2:3]
	s_delay_alu instid0(VALU_DEP_2) | instskip(NEXT) | instid1(VALU_DEP_2)
	v_fma_f64 v[44:45], s[38:39], v[0:1], -v[48:49]
	v_fmac_f64_e32 v[2:3], s[40:41], v[0:1]
	s_delay_alu instid0(VALU_DEP_2) | instskip(NEXT) | instid1(VALU_DEP_2)
	v_add_f64_e32 v[0:1], v[4:5], v[44:45]
	v_add_f64_e32 v[2:3], v[46:47], v[2:3]
	v_mul_f64_e32 v[4:5], s[8:9], v[22:23]
	v_mul_f64_e32 v[22:23], s[6:7], v[22:23]
	flat_store_b128 v[42:43], v[0:3] offset:512
	flat_load_b128 v[0:3], v[38:39] offset:768
	v_fma_f64 v[4:5], s[6:7], v[20:21], -v[4:5]
	v_fmac_f64_e32 v[22:23], s[8:9], v[20:21]
	s_wait_loadcnt_dscnt 0x0
	s_wait_xcnt 0x0
	v_mul_f64_e32 v[38:39], s[40:41], v[2:3]
	v_mul_f64_e32 v[2:3], s[38:39], v[2:3]
	s_delay_alu instid0(VALU_DEP_2) | instskip(NEXT) | instid1(VALU_DEP_2)
	v_fma_f64 v[20:21], s[38:39], v[0:1], -v[38:39]
	v_fmac_f64_e32 v[2:3], s[40:41], v[0:1]
	s_delay_alu instid0(VALU_DEP_2) | instskip(NEXT) | instid1(VALU_DEP_2)
	v_add_f64_e32 v[0:1], v[4:5], v[20:21]
	v_add_f64_e32 v[2:3], v[22:23], v[2:3]
	v_add_nc_u64_e32 v[4:5], s[22:23], v[36:37]
	v_mul_f64_e32 v[22:23], s[8:9], v[86:87]
	v_mul_f64_e32 v[36:37], s[6:7], v[86:87]
	s_delay_alu instid0(VALU_DEP_3)
	v_add_nc_u64_e32 v[20:21], v[4:5], v[6:7]
	v_add_nc_u64_e32 v[4:5], s[22:23], v[4:5]
	flat_store_b128 v[42:43], v[0:3] offset:768
	flat_load_b128 v[0:3], v[20:21]
	v_fma_f64 v[22:23], s[6:7], v[84:85], -v[22:23]
	v_fmac_f64_e32 v[36:37], s[8:9], v[84:85]
	s_wait_loadcnt_dscnt 0x0
	v_mul_f64_e32 v[38:39], s[40:41], v[2:3]
	v_mul_f64_e32 v[2:3], s[38:39], v[2:3]
	s_delay_alu instid0(VALU_DEP_2) | instskip(NEXT) | instid1(VALU_DEP_2)
	v_fma_f64 v[38:39], s[38:39], v[0:1], -v[38:39]
	v_fmac_f64_e32 v[2:3], s[40:41], v[0:1]
	s_delay_alu instid0(VALU_DEP_2) | instskip(NEXT) | instid1(VALU_DEP_2)
	v_add_f64_e32 v[0:1], v[22:23], v[38:39]
	v_add_f64_e32 v[2:3], v[36:37], v[2:3]
	v_add_nc_u64_e32 v[22:23], s[24:25], v[40:41]
	v_mul_f64_e32 v[38:39], s[8:9], v[80:81]
	v_mul_f64_e32 v[40:41], s[6:7], v[80:81]
	s_delay_alu instid0(VALU_DEP_3)
	v_add_nc_u64_e32 v[36:37], v[22:23], v[6:7]
	v_add_nc_u64_e32 v[22:23], s[24:25], v[22:23]
	flat_store_b128 v[36:37], v[0:3]
	flat_load_b128 v[0:3], v[20:21] offset:256
	v_fma_f64 v[38:39], s[6:7], v[76:77], -v[38:39]
	v_fmac_f64_e32 v[40:41], s[8:9], v[76:77]
	s_wait_loadcnt_dscnt 0x0
	v_mul_f64_e32 v[42:43], s[40:41], v[2:3]
	v_mul_f64_e32 v[2:3], s[38:39], v[2:3]
	s_delay_alu instid0(VALU_DEP_2) | instskip(NEXT) | instid1(VALU_DEP_2)
	v_fma_f64 v[42:43], s[38:39], v[0:1], -v[42:43]
	v_fmac_f64_e32 v[2:3], s[40:41], v[0:1]
	s_delay_alu instid0(VALU_DEP_2) | instskip(NEXT) | instid1(VALU_DEP_2)
	v_add_f64_e32 v[0:1], v[38:39], v[42:43]
	v_add_f64_e32 v[2:3], v[40:41], v[2:3]
	v_mul_f64_e32 v[38:39], s[8:9], v[72:73]
	v_mul_f64_e32 v[40:41], s[6:7], v[72:73]
	flat_store_b128 v[36:37], v[0:3] offset:256
	flat_load_b128 v[0:3], v[20:21] offset:512
	v_fma_f64 v[38:39], s[6:7], v[68:69], -v[38:39]
	v_fmac_f64_e32 v[40:41], s[8:9], v[68:69]
	s_wait_loadcnt_dscnt 0x0
	v_mul_f64_e32 v[42:43], s[40:41], v[2:3]
	v_mul_f64_e32 v[2:3], s[38:39], v[2:3]
	s_delay_alu instid0(VALU_DEP_2) | instskip(NEXT) | instid1(VALU_DEP_2)
	v_fma_f64 v[42:43], s[38:39], v[0:1], -v[42:43]
	v_fmac_f64_e32 v[2:3], s[40:41], v[0:1]
	s_delay_alu instid0(VALU_DEP_2) | instskip(NEXT) | instid1(VALU_DEP_2)
	v_add_f64_e32 v[0:1], v[38:39], v[42:43]
	v_add_f64_e32 v[2:3], v[40:41], v[2:3]
	v_mul_f64_e32 v[38:39], s[6:7], v[60:61]
	flat_store_b128 v[36:37], v[0:3] offset:512
	flat_load_b128 v[0:3], v[20:21] offset:768
	s_wait_xcnt 0x0
	v_mul_f64_e32 v[20:21], s[8:9], v[60:61]
	v_fmac_f64_e32 v[38:39], s[8:9], v[56:57]
	s_delay_alu instid0(VALU_DEP_2) | instskip(SKIP_3) | instid1(VALU_DEP_2)
	v_fma_f64 v[20:21], s[6:7], v[56:57], -v[20:21]
	s_wait_loadcnt_dscnt 0x0
	v_mul_f64_e32 v[40:41], s[40:41], v[2:3]
	v_mul_f64_e32 v[2:3], s[38:39], v[2:3]
	v_fma_f64 v[40:41], s[38:39], v[0:1], -v[40:41]
	s_delay_alu instid0(VALU_DEP_2) | instskip(NEXT) | instid1(VALU_DEP_2)
	v_fmac_f64_e32 v[2:3], s[40:41], v[0:1]
	v_add_f64_e32 v[0:1], v[20:21], v[40:41]
	s_delay_alu instid0(VALU_DEP_2) | instskip(SKIP_3) | instid1(VALU_DEP_1)
	v_add_f64_e32 v[2:3], v[38:39], v[2:3]
	v_add_nc_u64_e32 v[20:21], v[4:5], v[6:7]
	v_mul_f64_e32 v[38:39], s[6:7], v[82:83]
	v_add_nc_u64_e32 v[4:5], s[22:23], v[4:5]
	v_add_nc_u64_e32 v[4:5], v[4:5], v[6:7]
	flat_store_b128 v[36:37], v[0:3] offset:768
	flat_load_b128 v[0:3], v[20:21]
	v_mul_f64_e32 v[36:37], s[8:9], v[82:83]
	v_fmac_f64_e32 v[38:39], s[8:9], v[78:79]
	s_delay_alu instid0(VALU_DEP_2) | instskip(SKIP_3) | instid1(VALU_DEP_2)
	v_fma_f64 v[36:37], s[6:7], v[78:79], -v[36:37]
	s_wait_loadcnt_dscnt 0x0
	v_mul_f64_e32 v[40:41], s[40:41], v[2:3]
	v_mul_f64_e32 v[2:3], s[38:39], v[2:3]
	v_fma_f64 v[40:41], s[38:39], v[0:1], -v[40:41]
	s_delay_alu instid0(VALU_DEP_2) | instskip(NEXT) | instid1(VALU_DEP_2)
	v_fmac_f64_e32 v[2:3], s[40:41], v[0:1]
	v_add_f64_e32 v[0:1], v[36:37], v[40:41]
	s_delay_alu instid0(VALU_DEP_2)
	v_add_f64_e32 v[2:3], v[38:39], v[2:3]
	v_add_nc_u64_e32 v[36:37], v[22:23], v[6:7]
	v_mul_f64_e32 v[38:39], s[8:9], v[74:75]
	v_mul_f64_e32 v[40:41], s[6:7], v[74:75]
	flat_store_b128 v[36:37], v[0:3]
	flat_load_b128 v[0:3], v[20:21] offset:256
	v_fma_f64 v[38:39], s[6:7], v[70:71], -v[38:39]
	v_fmac_f64_e32 v[40:41], s[8:9], v[70:71]
	s_wait_loadcnt_dscnt 0x0
	v_mul_f64_e32 v[42:43], s[40:41], v[2:3]
	v_mul_f64_e32 v[2:3], s[38:39], v[2:3]
	s_delay_alu instid0(VALU_DEP_2) | instskip(NEXT) | instid1(VALU_DEP_2)
	v_fma_f64 v[42:43], s[38:39], v[0:1], -v[42:43]
	v_fmac_f64_e32 v[2:3], s[40:41], v[0:1]
	s_delay_alu instid0(VALU_DEP_2) | instskip(NEXT) | instid1(VALU_DEP_2)
	v_add_f64_e32 v[0:1], v[38:39], v[42:43]
	v_add_f64_e32 v[2:3], v[40:41], v[2:3]
	v_mul_f64_e32 v[38:39], s[8:9], v[62:63]
	v_mul_f64_e32 v[40:41], s[6:7], v[62:63]
	flat_store_b128 v[36:37], v[0:3] offset:256
	flat_load_b128 v[0:3], v[20:21] offset:512
	v_fma_f64 v[38:39], s[6:7], v[58:59], -v[38:39]
	v_fmac_f64_e32 v[40:41], s[8:9], v[58:59]
	s_wait_loadcnt_dscnt 0x0
	v_mul_f64_e32 v[42:43], s[40:41], v[2:3]
	v_mul_f64_e32 v[2:3], s[38:39], v[2:3]
	s_delay_alu instid0(VALU_DEP_2) | instskip(NEXT) | instid1(VALU_DEP_2)
	v_fma_f64 v[42:43], s[38:39], v[0:1], -v[42:43]
	v_fmac_f64_e32 v[2:3], s[40:41], v[0:1]
	s_delay_alu instid0(VALU_DEP_2) | instskip(NEXT) | instid1(VALU_DEP_2)
	v_add_f64_e32 v[0:1], v[38:39], v[42:43]
	v_add_f64_e32 v[2:3], v[40:41], v[2:3]
	v_mul_f64_e32 v[38:39], s[6:7], v[54:55]
	flat_store_b128 v[36:37], v[0:3] offset:512
	flat_load_b128 v[0:3], v[20:21] offset:768
	s_wait_xcnt 0x0
	v_mul_f64_e32 v[20:21], s[8:9], v[54:55]
	v_fmac_f64_e32 v[38:39], s[8:9], v[50:51]
	s_delay_alu instid0(VALU_DEP_2) | instskip(SKIP_3) | instid1(VALU_DEP_2)
	v_fma_f64 v[20:21], s[6:7], v[50:51], -v[20:21]
	s_wait_loadcnt_dscnt 0x0
	v_mul_f64_e32 v[40:41], s[40:41], v[2:3]
	v_mul_f64_e32 v[2:3], s[38:39], v[2:3]
	v_fma_f64 v[40:41], s[38:39], v[0:1], -v[40:41]
	s_delay_alu instid0(VALU_DEP_2) | instskip(NEXT) | instid1(VALU_DEP_2)
	v_fmac_f64_e32 v[2:3], s[40:41], v[0:1]
	v_add_f64_e32 v[0:1], v[20:21], v[40:41]
	s_delay_alu instid0(VALU_DEP_2)
	v_add_f64_e32 v[2:3], v[38:39], v[2:3]
	v_mul_f64_e32 v[20:21], s[8:9], v[18:19]
	v_mul_f64_e32 v[18:19], s[6:7], v[18:19]
	flat_store_b128 v[36:37], v[0:3] offset:768
	flat_load_b128 v[0:3], v[4:5]
	v_fma_f64 v[20:21], s[6:7], v[16:17], -v[20:21]
	v_fmac_f64_e32 v[18:19], s[8:9], v[16:17]
	s_wait_loadcnt_dscnt 0x0
	v_mul_f64_e32 v[36:37], s[40:41], v[2:3]
	v_mul_f64_e32 v[2:3], s[38:39], v[2:3]
	s_delay_alu instid0(VALU_DEP_2) | instskip(NEXT) | instid1(VALU_DEP_2)
	v_fma_f64 v[16:17], s[38:39], v[0:1], -v[36:37]
	v_fmac_f64_e32 v[2:3], s[40:41], v[0:1]
	s_delay_alu instid0(VALU_DEP_2) | instskip(NEXT) | instid1(VALU_DEP_2)
	v_add_f64_e32 v[0:1], v[20:21], v[16:17]
	v_add_f64_e32 v[2:3], v[18:19], v[2:3]
	v_add_nc_u64_e32 v[16:17], s[24:25], v[22:23]
	s_delay_alu instid0(VALU_DEP_1)
	v_add_nc_u64_e32 v[6:7], v[16:17], v[6:7]
	v_mul_f64_e32 v[16:17], s[8:9], v[14:15]
	v_mul_f64_e32 v[14:15], s[6:7], v[14:15]
	flat_store_b128 v[6:7], v[0:3]
	flat_load_b128 v[0:3], v[4:5] offset:256
	v_fma_f64 v[16:17], s[6:7], v[12:13], -v[16:17]
	v_fmac_f64_e32 v[14:15], s[8:9], v[12:13]
	s_wait_loadcnt_dscnt 0x0
	v_mul_f64_e32 v[18:19], s[40:41], v[2:3]
	v_mul_f64_e32 v[2:3], s[38:39], v[2:3]
	s_delay_alu instid0(VALU_DEP_2) | instskip(NEXT) | instid1(VALU_DEP_2)
	v_fma_f64 v[12:13], s[38:39], v[0:1], -v[18:19]
	v_fmac_f64_e32 v[2:3], s[40:41], v[0:1]
	s_delay_alu instid0(VALU_DEP_2) | instskip(NEXT) | instid1(VALU_DEP_2)
	v_add_f64_e32 v[0:1], v[16:17], v[12:13]
	v_add_f64_e32 v[2:3], v[14:15], v[2:3]
	v_mul_f64_e32 v[12:13], s[8:9], v[10:11]
	v_mul_f64_e32 v[10:11], s[6:7], v[10:11]
	flat_store_b128 v[6:7], v[0:3] offset:256
	flat_load_b128 v[0:3], v[4:5] offset:512
	v_fma_f64 v[12:13], s[6:7], v[8:9], -v[12:13]
	v_fmac_f64_e32 v[10:11], s[8:9], v[8:9]
	s_wait_loadcnt_dscnt 0x0
	v_mul_f64_e32 v[14:15], s[40:41], v[2:3]
	v_mul_f64_e32 v[2:3], s[38:39], v[2:3]
	s_delay_alu instid0(VALU_DEP_2) | instskip(NEXT) | instid1(VALU_DEP_2)
	v_fma_f64 v[8:9], s[38:39], v[0:1], -v[14:15]
	v_fmac_f64_e32 v[2:3], s[40:41], v[0:1]
	s_delay_alu instid0(VALU_DEP_2) | instskip(NEXT) | instid1(VALU_DEP_2)
	v_add_f64_e32 v[0:1], v[12:13], v[8:9]
	v_add_f64_e32 v[2:3], v[10:11], v[2:3]
	v_mul_f64_e32 v[8:9], s[6:7], v[90:91]
	flat_store_b128 v[6:7], v[0:3] offset:512
	flat_load_b128 v[0:3], v[4:5] offset:768
	s_wait_xcnt 0x0
	v_mul_f64_e32 v[4:5], s[8:9], v[90:91]
	v_fmac_f64_e32 v[8:9], s[8:9], v[88:89]
	s_delay_alu instid0(VALU_DEP_2) | instskip(SKIP_3) | instid1(VALU_DEP_2)
	v_fma_f64 v[4:5], s[6:7], v[88:89], -v[4:5]
	s_wait_loadcnt_dscnt 0x0
	v_mul_f64_e32 v[10:11], s[40:41], v[2:3]
	v_mul_f64_e32 v[2:3], s[38:39], v[2:3]
	v_fma_f64 v[10:11], s[38:39], v[0:1], -v[10:11]
	s_delay_alu instid0(VALU_DEP_2) | instskip(NEXT) | instid1(VALU_DEP_2)
	v_fmac_f64_e32 v[2:3], s[40:41], v[0:1]
	v_add_f64_e32 v[0:1], v[4:5], v[10:11]
	s_delay_alu instid0(VALU_DEP_2)
	v_add_f64_e32 v[2:3], v[8:9], v[2:3]
	v_add_nc_u64_e32 v[4:5], 0x300, v[6:7]
	flat_store_b64 v[6:7], v[0:1] offset:768
	s_branch .LBB253_2
.LBB253_11:
	s_sendmsg sendmsg(MSG_DEALLOC_VGPRS)
	s_endpgm
	.section	.rodata,"a",@progbits
	.p2align	6, 0x0
	.amdhsa_kernel _ZN12_GLOBAL__N_127rocblas_gemm_batched_kernelI19rocblas_complex_numIdELi16ELi16ELi64ELi64ELi4ELi64ELi4ELi4ELi64ELc78ELc84EKPKS2_S5_KPS2_EEvlllT_PT11_llSA_llS8_PT12_llPT13_lli
		.amdhsa_group_segment_fixed_size 8192
		.amdhsa_private_segment_fixed_size 0
		.amdhsa_kernarg_size 156
		.amdhsa_user_sgpr_count 2
		.amdhsa_user_sgpr_dispatch_ptr 0
		.amdhsa_user_sgpr_queue_ptr 0
		.amdhsa_user_sgpr_kernarg_segment_ptr 1
		.amdhsa_user_sgpr_dispatch_id 0
		.amdhsa_user_sgpr_kernarg_preload_length 0
		.amdhsa_user_sgpr_kernarg_preload_offset 0
		.amdhsa_user_sgpr_private_segment_size 0
		.amdhsa_wavefront_size32 1
		.amdhsa_uses_dynamic_stack 0
		.amdhsa_enable_private_segment 0
		.amdhsa_system_sgpr_workgroup_id_x 1
		.amdhsa_system_sgpr_workgroup_id_y 1
		.amdhsa_system_sgpr_workgroup_id_z 1
		.amdhsa_system_sgpr_workgroup_info 0
		.amdhsa_system_vgpr_workitem_id 1
		.amdhsa_next_free_vgpr 154
		.amdhsa_next_free_sgpr 52
		.amdhsa_named_barrier_count 0
		.amdhsa_reserve_vcc 1
		.amdhsa_float_round_mode_32 0
		.amdhsa_float_round_mode_16_64 0
		.amdhsa_float_denorm_mode_32 3
		.amdhsa_float_denorm_mode_16_64 3
		.amdhsa_fp16_overflow 0
		.amdhsa_memory_ordered 1
		.amdhsa_forward_progress 1
		.amdhsa_inst_pref_size 45
		.amdhsa_round_robin_scheduling 0
		.amdhsa_exception_fp_ieee_invalid_op 0
		.amdhsa_exception_fp_denorm_src 0
		.amdhsa_exception_fp_ieee_div_zero 0
		.amdhsa_exception_fp_ieee_overflow 0
		.amdhsa_exception_fp_ieee_underflow 0
		.amdhsa_exception_fp_ieee_inexact 0
		.amdhsa_exception_int_div_zero 0
	.end_amdhsa_kernel
	.section	.text._ZN12_GLOBAL__N_127rocblas_gemm_batched_kernelI19rocblas_complex_numIdELi16ELi16ELi64ELi64ELi4ELi64ELi4ELi4ELi64ELc78ELc84EKPKS2_S5_KPS2_EEvlllT_PT11_llSA_llS8_PT12_llPT13_lli,"axG",@progbits,_ZN12_GLOBAL__N_127rocblas_gemm_batched_kernelI19rocblas_complex_numIdELi16ELi16ELi64ELi64ELi4ELi64ELi4ELi4ELi64ELc78ELc84EKPKS2_S5_KPS2_EEvlllT_PT11_llSA_llS8_PT12_llPT13_lli,comdat
.Lfunc_end253:
	.size	_ZN12_GLOBAL__N_127rocblas_gemm_batched_kernelI19rocblas_complex_numIdELi16ELi16ELi64ELi64ELi4ELi64ELi4ELi4ELi64ELc78ELc84EKPKS2_S5_KPS2_EEvlllT_PT11_llSA_llS8_PT12_llPT13_lli, .Lfunc_end253-_ZN12_GLOBAL__N_127rocblas_gemm_batched_kernelI19rocblas_complex_numIdELi16ELi16ELi64ELi64ELi4ELi64ELi4ELi4ELi64ELc78ELc84EKPKS2_S5_KPS2_EEvlllT_PT11_llSA_llS8_PT12_llPT13_lli
                                        ; -- End function
	.set _ZN12_GLOBAL__N_127rocblas_gemm_batched_kernelI19rocblas_complex_numIdELi16ELi16ELi64ELi64ELi4ELi64ELi4ELi4ELi64ELc78ELc84EKPKS2_S5_KPS2_EEvlllT_PT11_llSA_llS8_PT12_llPT13_lli.num_vgpr, 154
	.set _ZN12_GLOBAL__N_127rocblas_gemm_batched_kernelI19rocblas_complex_numIdELi16ELi16ELi64ELi64ELi4ELi64ELi4ELi4ELi64ELc78ELc84EKPKS2_S5_KPS2_EEvlllT_PT11_llSA_llS8_PT12_llPT13_lli.num_agpr, 0
	.set _ZN12_GLOBAL__N_127rocblas_gemm_batched_kernelI19rocblas_complex_numIdELi16ELi16ELi64ELi64ELi4ELi64ELi4ELi4ELi64ELc78ELc84EKPKS2_S5_KPS2_EEvlllT_PT11_llSA_llS8_PT12_llPT13_lli.numbered_sgpr, 52
	.set _ZN12_GLOBAL__N_127rocblas_gemm_batched_kernelI19rocblas_complex_numIdELi16ELi16ELi64ELi64ELi4ELi64ELi4ELi4ELi64ELc78ELc84EKPKS2_S5_KPS2_EEvlllT_PT11_llSA_llS8_PT12_llPT13_lli.num_named_barrier, 0
	.set _ZN12_GLOBAL__N_127rocblas_gemm_batched_kernelI19rocblas_complex_numIdELi16ELi16ELi64ELi64ELi4ELi64ELi4ELi4ELi64ELc78ELc84EKPKS2_S5_KPS2_EEvlllT_PT11_llSA_llS8_PT12_llPT13_lli.private_seg_size, 0
	.set _ZN12_GLOBAL__N_127rocblas_gemm_batched_kernelI19rocblas_complex_numIdELi16ELi16ELi64ELi64ELi4ELi64ELi4ELi4ELi64ELc78ELc84EKPKS2_S5_KPS2_EEvlllT_PT11_llSA_llS8_PT12_llPT13_lli.uses_vcc, 1
	.set _ZN12_GLOBAL__N_127rocblas_gemm_batched_kernelI19rocblas_complex_numIdELi16ELi16ELi64ELi64ELi4ELi64ELi4ELi4ELi64ELc78ELc84EKPKS2_S5_KPS2_EEvlllT_PT11_llSA_llS8_PT12_llPT13_lli.uses_flat_scratch, 1
	.set _ZN12_GLOBAL__N_127rocblas_gemm_batched_kernelI19rocblas_complex_numIdELi16ELi16ELi64ELi64ELi4ELi64ELi4ELi4ELi64ELc78ELc84EKPKS2_S5_KPS2_EEvlllT_PT11_llSA_llS8_PT12_llPT13_lli.has_dyn_sized_stack, 0
	.set _ZN12_GLOBAL__N_127rocblas_gemm_batched_kernelI19rocblas_complex_numIdELi16ELi16ELi64ELi64ELi4ELi64ELi4ELi4ELi64ELc78ELc84EKPKS2_S5_KPS2_EEvlllT_PT11_llSA_llS8_PT12_llPT13_lli.has_recursion, 0
	.set _ZN12_GLOBAL__N_127rocblas_gemm_batched_kernelI19rocblas_complex_numIdELi16ELi16ELi64ELi64ELi4ELi64ELi4ELi4ELi64ELc78ELc84EKPKS2_S5_KPS2_EEvlllT_PT11_llSA_llS8_PT12_llPT13_lli.has_indirect_call, 0
	.section	.AMDGPU.csdata,"",@progbits
; Kernel info:
; codeLenInByte = 5688
; TotalNumSgprs: 54
; NumVgprs: 154
; ScratchSize: 0
; MemoryBound: 0
; FloatMode: 240
; IeeeMode: 1
; LDSByteSize: 8192 bytes/workgroup (compile time only)
; SGPRBlocks: 0
; VGPRBlocks: 9
; NumSGPRsForWavesPerEU: 54
; NumVGPRsForWavesPerEU: 154
; NamedBarCnt: 0
; Occupancy: 6
; WaveLimiterHint : 1
; COMPUTE_PGM_RSRC2:SCRATCH_EN: 0
; COMPUTE_PGM_RSRC2:USER_SGPR: 2
; COMPUTE_PGM_RSRC2:TRAP_HANDLER: 0
; COMPUTE_PGM_RSRC2:TGID_X_EN: 1
; COMPUTE_PGM_RSRC2:TGID_Y_EN: 1
; COMPUTE_PGM_RSRC2:TGID_Z_EN: 1
; COMPUTE_PGM_RSRC2:TIDIG_COMP_CNT: 1
	.section	.text._ZN12_GLOBAL__N_127rocblas_gemm_batched_kernelI19rocblas_complex_numIdELi16ELi16ELi64ELi64ELi4ELi64ELi4ELi4ELi64ELc84ELc84EKPKS2_S5_KPS2_EEvlllT_PT11_llSA_llS8_PT12_llPT13_lli,"axG",@progbits,_ZN12_GLOBAL__N_127rocblas_gemm_batched_kernelI19rocblas_complex_numIdELi16ELi16ELi64ELi64ELi4ELi64ELi4ELi4ELi64ELc84ELc84EKPKS2_S5_KPS2_EEvlllT_PT11_llSA_llS8_PT12_llPT13_lli,comdat
	.globl	_ZN12_GLOBAL__N_127rocblas_gemm_batched_kernelI19rocblas_complex_numIdELi16ELi16ELi64ELi64ELi4ELi64ELi4ELi4ELi64ELc84ELc84EKPKS2_S5_KPS2_EEvlllT_PT11_llSA_llS8_PT12_llPT13_lli ; -- Begin function _ZN12_GLOBAL__N_127rocblas_gemm_batched_kernelI19rocblas_complex_numIdELi16ELi16ELi64ELi64ELi4ELi64ELi4ELi4ELi64ELc84ELc84EKPKS2_S5_KPS2_EEvlllT_PT11_llSA_llS8_PT12_llPT13_lli
	.p2align	8
	.type	_ZN12_GLOBAL__N_127rocblas_gemm_batched_kernelI19rocblas_complex_numIdELi16ELi16ELi64ELi64ELi4ELi64ELi4ELi4ELi64ELc84ELc84EKPKS2_S5_KPS2_EEvlllT_PT11_llSA_llS8_PT12_llPT13_lli,@function
_ZN12_GLOBAL__N_127rocblas_gemm_batched_kernelI19rocblas_complex_numIdELi16ELi16ELi64ELi64ELi4ELi64ELi4ELi4ELi64ELc84ELc84EKPKS2_S5_KPS2_EEvlllT_PT11_llSA_llS8_PT12_llPT13_lli: ; @_ZN12_GLOBAL__N_127rocblas_gemm_batched_kernelI19rocblas_complex_numIdELi16ELi16ELi64ELi64ELi4ELi64ELi4ELi4ELi64ELc84ELc84EKPKS2_S5_KPS2_EEvlllT_PT11_llSA_llS8_PT12_llPT13_lli
; %bb.0:
	s_load_b32 s26, s[0:1], 0x98
	s_bfe_u32 s2, ttmp6, 0x40014
	s_lshr_b32 s3, ttmp7, 16
	s_add_co_i32 s2, s2, 1
	s_bfe_u32 s4, ttmp6, 0x40008
	s_mul_i32 s2, s3, s2
	s_getreg_b32 s20, hwreg(HW_REG_IB_STS2, 6, 4)
	s_add_co_i32 s4, s4, s2
	s_cmp_eq_u32 s20, 0
	s_cselect_b32 s2, s3, s4
	s_mov_b32 s3, 0
	s_wait_kmcnt 0x0
	s_cmp_ge_i32 s2, s26
	s_cbranch_scc1 .LBB254_11
; %bb.1:
	v_bfe_u32 v24, v0, 10, 10
	v_and_b32_e32 v2, 0x3ff, v0
	s_bfe_u32 s21, ttmp6, 0x4000c
	s_bfe_u32 s23, ttmp6, 0x40010
	s_clause 0x1
	s_load_b512 s[4:19], s[0:1], 0x10
	s_load_b512 s[36:51], s[0:1], 0x50
	s_add_co_i32 s21, s21, 1
	s_and_b32 s24, ttmp7, 0xffff
	s_add_co_i32 s23, s23, 1
	s_and_b32 s22, ttmp6, 15
	s_mul_i32 s21, ttmp9, s21
	s_mul_i32 s23, s24, s23
	s_bfe_u32 s25, ttmp6, 0x40004
	v_lshl_add_u32 v10, v24, 4, v2
	s_add_co_i32 s22, s22, s21
	s_add_co_i32 s25, s25, s23
	s_cmp_eq_u32 s20, 0
	s_delay_alu instid0(VALU_DEP_1) | instskip(SKIP_3) | instid1(VALU_DEP_1)
	v_dual_mov_b32 v25, 0 :: v_dual_bitop2_b32 v11, 63, v10 bitop3:0x40
	s_cselect_b32 s20, ttmp9, s22
	s_cselect_b32 s22, s24, s25
	s_ashr_i32 s21, s20, 31
	v_dual_mov_b32 v7, v25 :: v_dual_lshrrev_b32 v6, 2, v10
	s_lshl_b64 s[20:21], s[20:21], 6
	s_wait_kmcnt 0x0
	v_cmp_eq_f64_e64 s24, s[38:39], 0
	v_dual_mov_b32 v5, s21 :: v_dual_bitop2_b32 v4, s20, v11 bitop3:0x54
	v_cmp_eq_f64_e64 s25, s[40:41], 0
	v_dual_mov_b32 v3, v25 :: v_dual_lshrrev_b32 v10, 6, v10
	v_lshlrev_b32_e32 v104, 4, v2
	s_delay_alu instid0(VALU_DEP_4)
	v_mul_u64_e32 v[4:5], s[12:13], v[4:5]
	s_lshl_b32 s12, s22, 6
	s_mov_b32 s13, s3
	s_load_b64 s[22:23], s[0:1], 0x90
	v_add_nc_u64_e32 v[8:9], s[12:13], v[6:7]
	v_and_b32_e32 v7, 3, v0
	v_add_nc_u64_e32 v[0:1], s[12:13], v[24:25]
	s_wait_xcnt 0x0
	v_cmp_gt_i64_e64 s0, s[4:5], 0
	s_lshl_b64 s[12:13], s[14:15], 4
	v_lshl_add_u32 v105, v24, 6, 0x1000
	v_add_nc_u64_e32 v[30:31], s[20:21], v[2:3]
	v_mad_nc_u64_u32 v[8:9], s18, v7, v[8:9]
	v_lshlrev_b32_e32 v24, 4, v10
	v_mul_u64_e32 v[26:27], s[50:51], v[0:1]
	v_mul_u64_e32 v[28:29], s[44:45], v[0:1]
	v_lshlrev_b32_e32 v0, 4, v7
	v_lshlrev_b32_e32 v1, 4, v11
	s_lshl_b64 s[20:21], s[44:45], 4
	s_delay_alu instid0(SALU_CYCLE_1) | instskip(NEXT) | instid1(VALU_DEP_2)
	s_lshl_b64 s[20:21], s[20:21], 4
	v_lshl_or_b32 v0, v6, 6, v0
	s_delay_alu instid0(VALU_DEP_2)
	v_lshl_or_b32 v106, v10, 10, v1
	v_mad_u32 v9, s19, v7, v9
	s_wait_kmcnt 0x0
	s_lshl_b64 s[14:15], s[22:23], 4
	v_add_nc_u32_e32 v107, 0x1000, v0
	s_and_b32 s1, s24, s25
	s_lshl_b64 s[24:25], s[50:51], 4
	s_delay_alu instid0(SALU_CYCLE_1) | instskip(SKIP_1) | instid1(VALU_DEP_3)
	s_lshl_b64 s[22:23], s[24:25], 4
	v_lshl_add_u64 v[0:1], v[4:5], 4, s[12:13]
	v_lshlrev_b64_e32 v[2:3], 4, v[8:9]
	v_cndmask_b32_e64 v4, 0, 1, s0
	s_lshl_b64 s[12:13], s[18:19], 6
	s_lshl_b64 s[18:19], s[46:47], 4
	v_add_nc_u64_e32 v[32:33], v[0:1], v[24:25]
	s_delay_alu instid0(VALU_DEP_2) | instskip(NEXT) | instid1(VALU_DEP_4)
	v_cmp_ne_u32_e64 s0, 1, v4
	v_lshl_add_u64 v[34:35], s[36:37], 4, v[2:3]
	s_branch .LBB254_3
.LBB254_2:                              ;   in Loop: Header=BB254_3 Depth=1
	s_add_co_i32 s2, s2, 0x10000
	flat_store_b64 v[4:5], v[2:3] offset:8
	s_cmp_lt_i32 s2, s26
	s_cbranch_scc0 .LBB254_11
.LBB254_3:                              ; =>This Loop Header: Depth=1
                                        ;     Child Loop BB254_5 Depth 2
	s_wait_xcnt 0x1
	v_mov_b32_e32 v0, s2
	s_and_b32 vcc_lo, exec_lo, s0
	s_clause 0x1
	global_load_b64 v[36:37], v0, s[42:43] scale_offset
	global_load_b64 v[38:39], v0, s[48:49] scale_offset
	s_cbranch_vccnz .LBB254_8
; %bb.4:                                ;   in Loop: Header=BB254_3 Depth=1
	s_lshl_b64 s[24:25], s[2:3], 3
	v_mov_b64_e32 v[90:91], 0
	s_add_nc_u64 s[28:29], s[10:11], s[24:25]
	s_add_nc_u64 s[24:25], s[16:17], s[24:25]
	s_clause 0x1
	global_load_b64 v[0:1], v25, s[28:29]
	global_load_b64 v[2:3], v25, s[24:25]
	v_mov_b64_e32 v[88:89], 0
	v_mov_b64_e32 v[10:11], 0
	;; [unrolled: 1-line block ×31, first 2 shown]
	s_wait_xcnt 0x0
	s_mov_b64 s[24:25], 0
	s_wait_loadcnt 0x1
	v_add_nc_u64_e32 v[40:41], v[0:1], v[32:33]
	s_wait_loadcnt 0x0
	v_add_nc_u64_e32 v[42:43], v[2:3], v[34:35]
.LBB254_5:                              ;   Parent Loop BB254_3 Depth=1
                                        ; =>  This Inner Loop Header: Depth=2
	flat_load_b128 v[0:3], v[40:41]
	s_add_nc_u64 s[24:25], s[24:25], 4
	s_wait_xcnt 0x0
	v_add_nc_u64_e32 v[40:41], 64, v[40:41]
	v_cmp_lt_i64_e64 s27, s[24:25], s[4:5]
	s_and_b32 vcc_lo, exec_lo, s27
	s_wait_loadcnt_dscnt 0x0
	ds_store_2addr_b64 v106, v[0:1], v[2:3] offset1:1
	flat_load_b128 v[0:3], v[42:43]
	s_wait_xcnt 0x0
	v_add_nc_u64_e32 v[42:43], s[12:13], v[42:43]
	s_wait_loadcnt_dscnt 0x0
	ds_store_2addr_b64 v107, v[0:1], v[2:3] offset1:1
	s_wait_dscnt 0x0
	s_barrier_signal -1
	s_barrier_wait -1
	ds_load_b128 v[92:95], v105
	ds_load_b128 v[96:99], v105 offset:16
	ds_load_b128 v[4:7], v105 offset:32
	;; [unrolled: 1-line block ×3, first 2 shown]
	ds_load_b128 v[100:103], v104
	s_wait_dscnt 0x0
	v_mul_f64_e32 v[108:109], v[94:95], v[102:103]
	v_mul_f64_e32 v[110:111], v[92:93], v[102:103]
	s_delay_alu instid0(VALU_DEP_2) | instskip(NEXT) | instid1(VALU_DEP_2)
	v_fma_f64 v[108:109], v[92:93], v[100:101], -v[108:109]
	v_fmac_f64_e32 v[110:111], v[94:95], v[100:101]
	s_delay_alu instid0(VALU_DEP_2) | instskip(NEXT) | instid1(VALU_DEP_2)
	v_add_f64_e32 v[112:113], v[64:65], v[108:109]
	v_add_f64_e32 v[114:115], v[110:111], v[66:67]
	ds_load_b128 v[64:67], v104 offset:256
	s_wait_dscnt 0x0
	v_mul_f64_e32 v[108:109], v[94:95], v[66:67]
	v_mul_f64_e32 v[110:111], v[92:93], v[66:67]
	s_delay_alu instid0(VALU_DEP_2) | instskip(NEXT) | instid1(VALU_DEP_2)
	v_fma_f64 v[108:109], v[92:93], v[64:65], -v[108:109]
	v_fmac_f64_e32 v[110:111], v[94:95], v[64:65]
	s_delay_alu instid0(VALU_DEP_2) | instskip(NEXT) | instid1(VALU_DEP_2)
	v_add_f64_e32 v[48:49], v[48:49], v[108:109]
	v_add_f64_e32 v[116:117], v[110:111], v[52:53]
	ds_load_b128 v[108:111], v104 offset:512
	;; [unrolled: 10-line block ×3, first 2 shown]
	s_wait_dscnt 0x0
	v_mul_f64_e32 v[52:53], v[94:95], v[46:47]
	s_delay_alu instid0(VALU_DEP_1) | instskip(SKIP_1) | instid1(VALU_DEP_1)
	v_fma_f64 v[52:53], v[92:93], v[44:45], -v[52:53]
	v_mul_f64_e32 v[92:93], v[92:93], v[46:47]
	v_fmac_f64_e32 v[92:93], v[94:95], v[44:45]
	s_delay_alu instid0(VALU_DEP_3) | instskip(NEXT) | instid1(VALU_DEP_2)
	v_add_f64_e32 v[94:95], v[20:21], v[52:53]
	v_add_f64_e32 v[92:93], v[92:93], v[22:23]
	ds_load_b128 v[20:23], v105 offset:1024
	s_wait_dscnt 0x0
	v_mul_f64_e32 v[52:53], v[22:23], v[102:103]
	v_mul_f64_e32 v[122:123], v[20:21], v[102:103]
	s_delay_alu instid0(VALU_DEP_2) | instskip(NEXT) | instid1(VALU_DEP_2)
	v_fma_f64 v[52:53], v[20:21], v[100:101], -v[52:53]
	v_fmac_f64_e32 v[122:123], v[22:23], v[100:101]
	s_delay_alu instid0(VALU_DEP_2) | instskip(SKIP_1) | instid1(VALU_DEP_3)
	v_add_f64_e32 v[84:85], v[84:85], v[52:53]
	v_mul_f64_e32 v[52:53], v[22:23], v[66:67]
	v_add_f64_e32 v[86:87], v[122:123], v[86:87]
	v_mul_f64_e32 v[122:123], v[20:21], v[66:67]
	s_delay_alu instid0(VALU_DEP_3) | instskip(NEXT) | instid1(VALU_DEP_2)
	v_fma_f64 v[52:53], v[20:21], v[64:65], -v[52:53]
	v_fmac_f64_e32 v[122:123], v[22:23], v[64:65]
	s_delay_alu instid0(VALU_DEP_2) | instskip(SKIP_2) | instid1(VALU_DEP_4)
	v_add_f64_e32 v[124:125], v[76:77], v[52:53]
	v_mul_f64_e32 v[52:53], v[22:23], v[110:111]
	v_mul_f64_e32 v[76:77], v[20:21], v[110:111]
	v_add_f64_e32 v[122:123], v[122:123], v[80:81]
	s_delay_alu instid0(VALU_DEP_3) | instskip(NEXT) | instid1(VALU_DEP_3)
	v_fma_f64 v[52:53], v[20:21], v[108:109], -v[52:53]
	v_fmac_f64_e32 v[76:77], v[22:23], v[108:109]
	s_delay_alu instid0(VALU_DEP_2) | instskip(SKIP_1) | instid1(VALU_DEP_3)
	v_add_f64_e32 v[126:127], v[68:69], v[52:53]
	v_mul_f64_e32 v[52:53], v[22:23], v[46:47]
	v_add_f64_e32 v[128:129], v[76:77], v[72:73]
	s_delay_alu instid0(VALU_DEP_2) | instskip(SKIP_1) | instid1(VALU_DEP_2)
	v_fma_f64 v[52:53], v[20:21], v[44:45], -v[52:53]
	v_mul_f64_e32 v[20:21], v[20:21], v[46:47]
	v_add_f64_e32 v[130:131], v[56:57], v[52:53]
	s_delay_alu instid0(VALU_DEP_2) | instskip(NEXT) | instid1(VALU_DEP_1)
	v_fmac_f64_e32 v[20:21], v[22:23], v[44:45]
	v_add_f64_e32 v[132:133], v[20:21], v[60:61]
	ds_load_b128 v[20:23], v105 offset:2048
	s_wait_dscnt 0x0
	v_mul_f64_e32 v[52:53], v[22:23], v[102:103]
	v_mul_f64_e32 v[56:57], v[20:21], v[102:103]
	s_delay_alu instid0(VALU_DEP_2) | instskip(NEXT) | instid1(VALU_DEP_2)
	v_fma_f64 v[52:53], v[20:21], v[100:101], -v[52:53]
	v_fmac_f64_e32 v[56:57], v[22:23], v[100:101]
	s_delay_alu instid0(VALU_DEP_2) | instskip(SKIP_1) | instid1(VALU_DEP_3)
	v_add_f64_e32 v[134:135], v[78:79], v[52:53]
	v_mul_f64_e32 v[52:53], v[22:23], v[66:67]
	v_add_f64_e32 v[136:137], v[56:57], v[82:83]
	v_mul_f64_e32 v[56:57], v[20:21], v[66:67]
	s_delay_alu instid0(VALU_DEP_3) | instskip(NEXT) | instid1(VALU_DEP_2)
	v_fma_f64 v[52:53], v[20:21], v[64:65], -v[52:53]
	v_fmac_f64_e32 v[56:57], v[22:23], v[64:65]
	s_delay_alu instid0(VALU_DEP_2) | instskip(SKIP_1) | instid1(VALU_DEP_3)
	v_add_f64_e32 v[138:139], v[70:71], v[52:53]
	v_mul_f64_e32 v[52:53], v[22:23], v[110:111]
	v_add_f64_e32 v[140:141], v[56:57], v[74:75]
	v_mul_f64_e32 v[56:57], v[20:21], v[110:111]
	s_delay_alu instid0(VALU_DEP_3) | instskip(NEXT) | instid1(VALU_DEP_2)
	v_fma_f64 v[52:53], v[20:21], v[108:109], -v[52:53]
	v_fmac_f64_e32 v[56:57], v[22:23], v[108:109]
	s_delay_alu instid0(VALU_DEP_2) | instskip(SKIP_1) | instid1(VALU_DEP_3)
	v_add_f64_e32 v[142:143], v[58:59], v[52:53]
	v_mul_f64_e32 v[52:53], v[22:23], v[46:47]
	v_add_f64_e32 v[144:145], v[56:57], v[62:63]
	s_delay_alu instid0(VALU_DEP_2) | instskip(SKIP_1) | instid1(VALU_DEP_2)
	v_fma_f64 v[52:53], v[20:21], v[44:45], -v[52:53]
	v_mul_f64_e32 v[20:21], v[20:21], v[46:47]
	v_add_f64_e32 v[146:147], v[50:51], v[52:53]
	s_delay_alu instid0(VALU_DEP_2) | instskip(NEXT) | instid1(VALU_DEP_1)
	v_fmac_f64_e32 v[20:21], v[22:23], v[44:45]
	v_add_f64_e32 v[148:149], v[20:21], v[54:55]
	ds_load_b128 v[20:23], v105 offset:3072
	s_wait_dscnt 0x0
	v_mul_f64_e32 v[50:51], v[22:23], v[102:103]
	v_mul_f64_e32 v[52:53], v[20:21], v[102:103]
	s_delay_alu instid0(VALU_DEP_2) | instskip(NEXT) | instid1(VALU_DEP_2)
	v_fma_f64 v[50:51], v[20:21], v[100:101], -v[50:51]
	v_fmac_f64_e32 v[52:53], v[22:23], v[100:101]
	s_delay_alu instid0(VALU_DEP_2) | instskip(NEXT) | instid1(VALU_DEP_2)
	v_add_f64_e32 v[72:73], v[16:17], v[50:51]
	v_add_f64_e32 v[74:75], v[52:53], v[18:19]
	v_mul_f64_e32 v[16:17], v[22:23], v[66:67]
	v_mul_f64_e32 v[18:19], v[20:21], v[66:67]
	s_delay_alu instid0(VALU_DEP_2) | instskip(NEXT) | instid1(VALU_DEP_2)
	v_fma_f64 v[16:17], v[20:21], v[64:65], -v[16:17]
	v_fmac_f64_e32 v[18:19], v[22:23], v[64:65]
	s_delay_alu instid0(VALU_DEP_2) | instskip(NEXT) | instid1(VALU_DEP_2)
	v_add_f64_e32 v[68:69], v[12:13], v[16:17]
	v_add_f64_e32 v[70:71], v[18:19], v[14:15]
	v_mul_f64_e32 v[12:13], v[22:23], v[110:111]
	v_mul_f64_e32 v[14:15], v[20:21], v[110:111]
	ds_load_b128 v[16:19], v104 offset:1280
	v_fma_f64 v[12:13], v[20:21], v[108:109], -v[12:13]
	v_fmac_f64_e32 v[14:15], v[22:23], v[108:109]
	s_delay_alu instid0(VALU_DEP_2) | instskip(NEXT) | instid1(VALU_DEP_2)
	v_add_f64_e32 v[64:65], v[8:9], v[12:13]
	v_add_f64_e32 v[66:67], v[14:15], v[10:11]
	v_mul_f64_e32 v[8:9], v[22:23], v[46:47]
	v_mul_f64_e32 v[10:11], v[20:21], v[46:47]
	ds_load_b128 v[12:15], v104 offset:1536
	v_fma_f64 v[8:9], v[20:21], v[44:45], -v[8:9]
	v_fmac_f64_e32 v[10:11], v[22:23], v[44:45]
	ds_load_b128 v[20:23], v104 offset:1024
	v_add_f64_e32 v[60:61], v[88:89], v[8:9]
	v_add_f64_e32 v[62:63], v[10:11], v[90:91]
	s_wait_dscnt 0x0
	v_mul_f64_e32 v[8:9], v[98:99], v[22:23]
	v_mul_f64_e32 v[10:11], v[96:97], v[22:23]
	ds_load_b128 v[88:91], v105 offset:1040
	s_wait_dscnt 0x0
	v_mul_f64_e32 v[76:77], v[90:91], v[22:23]
	v_mul_f64_e32 v[78:79], v[88:89], v[22:23]
	;; [unrolled: 1-line block ×4, first 2 shown]
	v_fma_f64 v[8:9], v[96:97], v[20:21], -v[8:9]
	v_fmac_f64_e32 v[10:11], v[98:99], v[20:21]
	v_fma_f64 v[76:77], v[88:89], v[20:21], -v[76:77]
	v_fmac_f64_e32 v[78:79], v[90:91], v[20:21]
	;; [unrolled: 2-line block ×3, first 2 shown]
	v_add_f64_e32 v[56:57], v[112:113], v[8:9]
	v_add_f64_e32 v[58:59], v[10:11], v[114:115]
	v_mul_f64_e32 v[8:9], v[98:99], v[18:19]
	v_mul_f64_e32 v[10:11], v[96:97], v[18:19]
	v_add_f64_e32 v[76:77], v[84:85], v[76:77]
	v_add_f64_e32 v[78:79], v[78:79], v[86:87]
	v_mul_f64_e32 v[84:85], v[90:91], v[14:15]
	v_mul_f64_e32 v[86:87], v[88:89], v[14:15]
	v_add_f64_e32 v[80:81], v[124:125], v[80:81]
	v_add_f64_e32 v[82:83], v[82:83], v[122:123]
	v_fma_f64 v[8:9], v[96:97], v[16:17], -v[8:9]
	v_fmac_f64_e32 v[10:11], v[98:99], v[16:17]
	v_fma_f64 v[84:85], v[88:89], v[12:13], -v[84:85]
	v_fmac_f64_e32 v[86:87], v[90:91], v[12:13]
	s_delay_alu instid0(VALU_DEP_4) | instskip(NEXT) | instid1(VALU_DEP_4)
	v_add_f64_e32 v[52:53], v[48:49], v[8:9]
	v_add_f64_e32 v[54:55], v[10:11], v[116:117]
	v_mul_f64_e32 v[8:9], v[98:99], v[14:15]
	v_mul_f64_e32 v[10:11], v[96:97], v[14:15]
	v_add_f64_e32 v[84:85], v[126:127], v[84:85]
	v_add_f64_e32 v[86:87], v[86:87], v[128:129]
	s_delay_alu instid0(VALU_DEP_4) | instskip(NEXT) | instid1(VALU_DEP_4)
	v_fma_f64 v[8:9], v[96:97], v[12:13], -v[8:9]
	v_fmac_f64_e32 v[10:11], v[98:99], v[12:13]
	s_delay_alu instid0(VALU_DEP_2) | instskip(NEXT) | instid1(VALU_DEP_2)
	v_add_f64_e32 v[48:49], v[120:121], v[8:9]
	v_add_f64_e32 v[50:51], v[10:11], v[118:119]
	ds_load_b128 v[8:11], v104 offset:1792
	s_wait_dscnt 0x0
	v_mul_f64_e32 v[44:45], v[98:99], v[10:11]
	v_mul_f64_e32 v[46:47], v[96:97], v[10:11]
	s_delay_alu instid0(VALU_DEP_2) | instskip(NEXT) | instid1(VALU_DEP_2)
	v_fma_f64 v[44:45], v[96:97], v[8:9], -v[44:45]
	v_fmac_f64_e32 v[46:47], v[98:99], v[8:9]
	s_delay_alu instid0(VALU_DEP_2) | instskip(NEXT) | instid1(VALU_DEP_2)
	v_add_f64_e32 v[44:45], v[94:95], v[44:45]
	v_add_f64_e32 v[46:47], v[46:47], v[92:93]
	v_mul_f64_e32 v[92:93], v[90:91], v[10:11]
	v_mul_f64_e32 v[94:95], v[88:89], v[10:11]
	s_delay_alu instid0(VALU_DEP_2) | instskip(NEXT) | instid1(VALU_DEP_2)
	v_fma_f64 v[92:93], v[88:89], v[8:9], -v[92:93]
	v_fmac_f64_e32 v[94:95], v[90:91], v[8:9]
	s_delay_alu instid0(VALU_DEP_2) | instskip(NEXT) | instid1(VALU_DEP_2)
	v_add_f64_e32 v[88:89], v[130:131], v[92:93]
	v_add_f64_e32 v[90:91], v[94:95], v[132:133]
	ds_load_b128 v[92:95], v105 offset:2064
	s_wait_dscnt 0x0
	v_mul_f64_e32 v[96:97], v[94:95], v[22:23]
	v_mul_f64_e32 v[100:101], v[94:95], v[18:19]
	v_mul_f64_e32 v[108:109], v[94:95], v[14:15]
	v_mul_f64_e32 v[112:113], v[94:95], v[10:11]
	v_mul_f64_e32 v[98:99], v[92:93], v[22:23]
	v_mul_f64_e32 v[102:103], v[92:93], v[18:19]
	v_mul_f64_e32 v[110:111], v[92:93], v[14:15]
	v_fma_f64 v[96:97], v[92:93], v[20:21], -v[96:97]
	v_fma_f64 v[100:101], v[92:93], v[16:17], -v[100:101]
	;; [unrolled: 1-line block ×4, first 2 shown]
	v_mul_f64_e32 v[92:93], v[92:93], v[10:11]
	v_fmac_f64_e32 v[98:99], v[94:95], v[20:21]
	v_fmac_f64_e32 v[102:103], v[94:95], v[16:17]
	;; [unrolled: 1-line block ×3, first 2 shown]
	v_add_f64_e32 v[96:97], v[134:135], v[96:97]
	v_add_f64_e32 v[100:101], v[138:139], v[100:101]
	;; [unrolled: 1-line block ×4, first 2 shown]
	v_fmac_f64_e32 v[92:93], v[94:95], v[8:9]
	v_add_f64_e32 v[98:99], v[98:99], v[136:137]
	v_add_f64_e32 v[102:103], v[102:103], v[140:141]
	;; [unrolled: 1-line block ×3, first 2 shown]
	s_delay_alu instid0(VALU_DEP_4) | instskip(SKIP_4) | instid1(VALU_DEP_2)
	v_add_f64_e32 v[114:115], v[92:93], v[148:149]
	ds_load_b128 v[92:95], v105 offset:3088
	s_wait_dscnt 0x0
	v_mul_f64_e32 v[116:117], v[94:95], v[22:23]
	v_mul_f64_e32 v[22:23], v[92:93], v[22:23]
	v_fma_f64 v[116:117], v[92:93], v[20:21], -v[116:117]
	s_delay_alu instid0(VALU_DEP_2) | instskip(SKIP_2) | instid1(VALU_DEP_4)
	v_fmac_f64_e32 v[22:23], v[94:95], v[20:21]
	v_mul_f64_e32 v[20:21], v[94:95], v[18:19]
	v_mul_f64_e32 v[18:19], v[92:93], v[18:19]
	v_add_f64_e32 v[72:73], v[72:73], v[116:117]
	s_delay_alu instid0(VALU_DEP_4) | instskip(NEXT) | instid1(VALU_DEP_4)
	v_add_f64_e32 v[74:75], v[22:23], v[74:75]
	v_fma_f64 v[20:21], v[92:93], v[16:17], -v[20:21]
	s_delay_alu instid0(VALU_DEP_4) | instskip(SKIP_2) | instid1(VALU_DEP_4)
	v_fmac_f64_e32 v[18:19], v[94:95], v[16:17]
	v_mul_f64_e32 v[16:17], v[94:95], v[14:15]
	v_mul_f64_e32 v[14:15], v[92:93], v[14:15]
	v_add_f64_e32 v[68:69], v[68:69], v[20:21]
	s_delay_alu instid0(VALU_DEP_4) | instskip(NEXT) | instid1(VALU_DEP_4)
	v_add_f64_e32 v[70:71], v[18:19], v[70:71]
	v_fma_f64 v[16:17], v[92:93], v[12:13], -v[16:17]
	s_delay_alu instid0(VALU_DEP_4) | instskip(SKIP_2) | instid1(VALU_DEP_4)
	v_fmac_f64_e32 v[14:15], v[94:95], v[12:13]
	v_mul_f64_e32 v[12:13], v[94:95], v[10:11]
	v_mul_f64_e32 v[10:11], v[92:93], v[10:11]
	v_add_f64_e32 v[64:65], v[64:65], v[16:17]
	s_delay_alu instid0(VALU_DEP_4) | instskip(NEXT) | instid1(VALU_DEP_4)
	v_add_f64_e32 v[66:67], v[14:15], v[66:67]
	v_fma_f64 v[12:13], v[92:93], v[8:9], -v[12:13]
	s_delay_alu instid0(VALU_DEP_4) | instskip(NEXT) | instid1(VALU_DEP_2)
	v_fmac_f64_e32 v[10:11], v[94:95], v[8:9]
	v_add_f64_e32 v[60:61], v[60:61], v[12:13]
	s_delay_alu instid0(VALU_DEP_2) | instskip(SKIP_4) | instid1(VALU_DEP_2)
	v_add_f64_e32 v[62:63], v[10:11], v[62:63]
	ds_load_b128 v[8:11], v104 offset:2048
	s_wait_dscnt 0x0
	v_mul_f64_e32 v[12:13], v[6:7], v[10:11]
	v_mul_f64_e32 v[14:15], v[4:5], v[10:11]
	v_fma_f64 v[12:13], v[4:5], v[8:9], -v[12:13]
	s_delay_alu instid0(VALU_DEP_2) | instskip(NEXT) | instid1(VALU_DEP_2)
	v_fmac_f64_e32 v[14:15], v[6:7], v[8:9]
	v_add_f64_e32 v[56:57], v[56:57], v[12:13]
	s_delay_alu instid0(VALU_DEP_2) | instskip(SKIP_4) | instid1(VALU_DEP_2)
	v_add_f64_e32 v[58:59], v[14:15], v[58:59]
	ds_load_b128 v[12:15], v104 offset:2304
	s_wait_dscnt 0x0
	v_mul_f64_e32 v[16:17], v[6:7], v[14:15]
	v_mul_f64_e32 v[18:19], v[4:5], v[14:15]
	v_fma_f64 v[16:17], v[4:5], v[12:13], -v[16:17]
	s_delay_alu instid0(VALU_DEP_2) | instskip(NEXT) | instid1(VALU_DEP_2)
	;; [unrolled: 10-line block ×3, first 2 shown]
	v_fmac_f64_e32 v[22:23], v[6:7], v[16:17]
	v_add_f64_e32 v[116:117], v[48:49], v[20:21]
	s_delay_alu instid0(VALU_DEP_2) | instskip(SKIP_3) | instid1(VALU_DEP_1)
	v_add_f64_e32 v[50:51], v[22:23], v[50:51]
	ds_load_b128 v[20:23], v104 offset:2816
	s_wait_dscnt 0x0
	v_mul_f64_e32 v[48:49], v[6:7], v[22:23]
	v_fma_f64 v[48:49], v[4:5], v[20:21], -v[48:49]
	v_mul_f64_e32 v[4:5], v[4:5], v[22:23]
	s_delay_alu instid0(VALU_DEP_2) | instskip(NEXT) | instid1(VALU_DEP_2)
	v_add_f64_e32 v[118:119], v[44:45], v[48:49]
	v_fmac_f64_e32 v[4:5], v[6:7], v[20:21]
	s_delay_alu instid0(VALU_DEP_1) | instskip(SKIP_4) | instid1(VALU_DEP_2)
	v_add_f64_e32 v[120:121], v[4:5], v[46:47]
	ds_load_b128 v[4:7], v105 offset:1056
	s_wait_dscnt 0x0
	v_mul_f64_e32 v[44:45], v[6:7], v[10:11]
	v_mul_f64_e32 v[46:47], v[4:5], v[10:11]
	v_fma_f64 v[44:45], v[4:5], v[8:9], -v[44:45]
	s_delay_alu instid0(VALU_DEP_2) | instskip(NEXT) | instid1(VALU_DEP_2)
	v_fmac_f64_e32 v[46:47], v[6:7], v[8:9]
	v_add_f64_e32 v[76:77], v[76:77], v[44:45]
	v_mul_f64_e32 v[44:45], v[6:7], v[14:15]
	s_delay_alu instid0(VALU_DEP_3) | instskip(SKIP_1) | instid1(VALU_DEP_3)
	v_add_f64_e32 v[78:79], v[46:47], v[78:79]
	v_mul_f64_e32 v[46:47], v[4:5], v[14:15]
	v_fma_f64 v[44:45], v[4:5], v[12:13], -v[44:45]
	s_delay_alu instid0(VALU_DEP_2) | instskip(NEXT) | instid1(VALU_DEP_2)
	v_fmac_f64_e32 v[46:47], v[6:7], v[12:13]
	v_add_f64_e32 v[80:81], v[80:81], v[44:45]
	v_mul_f64_e32 v[44:45], v[6:7], v[18:19]
	s_delay_alu instid0(VALU_DEP_3) | instskip(SKIP_1) | instid1(VALU_DEP_3)
	v_add_f64_e32 v[82:83], v[46:47], v[82:83]
	v_mul_f64_e32 v[46:47], v[4:5], v[18:19]
	v_fma_f64 v[44:45], v[4:5], v[16:17], -v[44:45]
	s_delay_alu instid0(VALU_DEP_2) | instskip(NEXT) | instid1(VALU_DEP_2)
	v_fmac_f64_e32 v[46:47], v[6:7], v[16:17]
	v_add_f64_e32 v[122:123], v[84:85], v[44:45]
	v_mul_f64_e32 v[44:45], v[6:7], v[22:23]
	s_delay_alu instid0(VALU_DEP_3) | instskip(NEXT) | instid1(VALU_DEP_2)
	v_add_f64_e32 v[124:125], v[46:47], v[86:87]
	v_fma_f64 v[44:45], v[4:5], v[20:21], -v[44:45]
	v_mul_f64_e32 v[4:5], v[4:5], v[22:23]
	s_delay_alu instid0(VALU_DEP_2) | instskip(NEXT) | instid1(VALU_DEP_2)
	v_add_f64_e32 v[126:127], v[88:89], v[44:45]
	v_fmac_f64_e32 v[4:5], v[6:7], v[20:21]
	s_delay_alu instid0(VALU_DEP_1) | instskip(SKIP_4) | instid1(VALU_DEP_2)
	v_add_f64_e32 v[128:129], v[4:5], v[90:91]
	ds_load_b128 v[4:7], v105 offset:2080
	s_wait_dscnt 0x0
	v_mul_f64_e32 v[44:45], v[6:7], v[10:11]
	v_mul_f64_e32 v[46:47], v[4:5], v[10:11]
	v_fma_f64 v[44:45], v[4:5], v[8:9], -v[44:45]
	s_delay_alu instid0(VALU_DEP_2) | instskip(NEXT) | instid1(VALU_DEP_2)
	v_fmac_f64_e32 v[46:47], v[6:7], v[8:9]
	v_add_f64_e32 v[130:131], v[96:97], v[44:45]
	v_mul_f64_e32 v[44:45], v[6:7], v[14:15]
	s_delay_alu instid0(VALU_DEP_3) | instskip(SKIP_1) | instid1(VALU_DEP_3)
	v_add_f64_e32 v[132:133], v[46:47], v[98:99]
	v_mul_f64_e32 v[46:47], v[4:5], v[14:15]
	v_fma_f64 v[44:45], v[4:5], v[12:13], -v[44:45]
	s_delay_alu instid0(VALU_DEP_2) | instskip(NEXT) | instid1(VALU_DEP_2)
	v_fmac_f64_e32 v[46:47], v[6:7], v[12:13]
	v_add_f64_e32 v[134:135], v[100:101], v[44:45]
	v_mul_f64_e32 v[44:45], v[6:7], v[18:19]
	s_delay_alu instid0(VALU_DEP_3) | instskip(SKIP_1) | instid1(VALU_DEP_3)
	v_add_f64_e32 v[136:137], v[46:47], v[102:103]
	v_mul_f64_e32 v[46:47], v[4:5], v[18:19]
	v_fma_f64 v[44:45], v[4:5], v[16:17], -v[44:45]
	s_delay_alu instid0(VALU_DEP_2) | instskip(NEXT) | instid1(VALU_DEP_2)
	v_fmac_f64_e32 v[46:47], v[6:7], v[16:17]
	v_add_f64_e32 v[108:109], v[108:109], v[44:45]
	v_mul_f64_e32 v[44:45], v[6:7], v[22:23]
	s_delay_alu instid0(VALU_DEP_3) | instskip(NEXT) | instid1(VALU_DEP_2)
	v_add_f64_e32 v[110:111], v[46:47], v[110:111]
	v_fma_f64 v[44:45], v[4:5], v[20:21], -v[44:45]
	v_mul_f64_e32 v[4:5], v[4:5], v[22:23]
	s_delay_alu instid0(VALU_DEP_2) | instskip(NEXT) | instid1(VALU_DEP_2)
	v_add_f64_e32 v[112:113], v[112:113], v[44:45]
	v_fmac_f64_e32 v[4:5], v[6:7], v[20:21]
	s_delay_alu instid0(VALU_DEP_1) | instskip(SKIP_4) | instid1(VALU_DEP_2)
	v_add_f64_e32 v[114:115], v[4:5], v[114:115]
	ds_load_b128 v[4:7], v105 offset:3104
	s_wait_dscnt 0x0
	v_mul_f64_e32 v[44:45], v[6:7], v[10:11]
	v_mul_f64_e32 v[10:11], v[4:5], v[10:11]
	v_fma_f64 v[44:45], v[4:5], v[8:9], -v[44:45]
	s_delay_alu instid0(VALU_DEP_2) | instskip(SKIP_1) | instid1(VALU_DEP_3)
	v_fmac_f64_e32 v[10:11], v[6:7], v[8:9]
	v_mul_f64_e32 v[8:9], v[6:7], v[14:15]
	v_add_f64_e32 v[100:101], v[72:73], v[44:45]
	s_delay_alu instid0(VALU_DEP_3) | instskip(NEXT) | instid1(VALU_DEP_3)
	v_add_f64_e32 v[102:103], v[10:11], v[74:75]
	v_fma_f64 v[8:9], v[4:5], v[12:13], -v[8:9]
	v_mul_f64_e32 v[10:11], v[4:5], v[14:15]
	s_delay_alu instid0(VALU_DEP_2) | instskip(SKIP_1) | instid1(VALU_DEP_3)
	v_add_f64_e32 v[96:97], v[68:69], v[8:9]
	v_mul_f64_e32 v[8:9], v[6:7], v[18:19]
	v_fmac_f64_e32 v[10:11], v[6:7], v[12:13]
	ds_load_b128 v[12:15], v104 offset:3328
	v_fma_f64 v[8:9], v[4:5], v[16:17], -v[8:9]
	v_add_f64_e32 v[98:99], v[10:11], v[70:71]
	v_mul_f64_e32 v[10:11], v[4:5], v[18:19]
	s_delay_alu instid0(VALU_DEP_3) | instskip(SKIP_1) | instid1(VALU_DEP_3)
	v_add_f64_e32 v[92:93], v[64:65], v[8:9]
	v_mul_f64_e32 v[8:9], v[6:7], v[22:23]
	v_fmac_f64_e32 v[10:11], v[6:7], v[16:17]
	ds_load_b128 v[16:19], v104 offset:3072
	v_fma_f64 v[8:9], v[4:5], v[20:21], -v[8:9]
	v_mul_f64_e32 v[4:5], v[4:5], v[22:23]
	v_add_f64_e32 v[94:95], v[10:11], v[66:67]
	s_delay_alu instid0(VALU_DEP_3) | instskip(NEXT) | instid1(VALU_DEP_3)
	v_add_f64_e32 v[88:89], v[60:61], v[8:9]
	v_fmac_f64_e32 v[4:5], v[6:7], v[20:21]
	s_wait_dscnt 0x0
	v_mul_f64_e32 v[6:7], v[0:1], v[18:19]
	ds_load_b128 v[8:11], v104 offset:3584
	v_add_f64_e32 v[90:91], v[4:5], v[62:63]
	v_mul_f64_e32 v[4:5], v[2:3], v[18:19]
	v_fmac_f64_e32 v[6:7], v[2:3], v[16:17]
	s_delay_alu instid0(VALU_DEP_2) | instskip(NEXT) | instid1(VALU_DEP_2)
	v_fma_f64 v[4:5], v[0:1], v[16:17], -v[4:5]
	v_add_f64_e32 v[66:67], v[6:7], v[58:59]
	v_mul_f64_e32 v[6:7], v[0:1], v[14:15]
	s_delay_alu instid0(VALU_DEP_3) | instskip(SKIP_1) | instid1(VALU_DEP_3)
	v_add_f64_e32 v[64:65], v[56:57], v[4:5]
	v_mul_f64_e32 v[4:5], v[2:3], v[14:15]
	v_fmac_f64_e32 v[6:7], v[2:3], v[12:13]
	s_delay_alu instid0(VALU_DEP_2) | instskip(NEXT) | instid1(VALU_DEP_1)
	v_fma_f64 v[4:5], v[0:1], v[12:13], -v[4:5]
	v_add_f64_e32 v[48:49], v[52:53], v[4:5]
	s_delay_alu instid0(VALU_DEP_3) | instskip(SKIP_3) | instid1(VALU_DEP_2)
	v_add_f64_e32 v[52:53], v[6:7], v[54:55]
	s_wait_dscnt 0x0
	v_mul_f64_e32 v[4:5], v[2:3], v[10:11]
	v_mul_f64_e32 v[6:7], v[0:1], v[10:11]
	v_fma_f64 v[4:5], v[0:1], v[8:9], -v[4:5]
	s_delay_alu instid0(VALU_DEP_2) | instskip(NEXT) | instid1(VALU_DEP_2)
	v_fmac_f64_e32 v[6:7], v[2:3], v[8:9]
	v_add_f64_e32 v[44:45], v[116:117], v[4:5]
	s_delay_alu instid0(VALU_DEP_2) | instskip(SKIP_3) | instid1(VALU_DEP_1)
	v_add_f64_e32 v[46:47], v[6:7], v[50:51]
	ds_load_b128 v[4:7], v104 offset:3840
	s_wait_dscnt 0x0
	v_mul_f64_e32 v[20:21], v[2:3], v[6:7]
	v_fma_f64 v[20:21], v[0:1], v[4:5], -v[20:21]
	v_mul_f64_e32 v[0:1], v[0:1], v[6:7]
	s_delay_alu instid0(VALU_DEP_2) | instskip(NEXT) | instid1(VALU_DEP_2)
	v_add_f64_e32 v[20:21], v[118:119], v[20:21]
	v_fmac_f64_e32 v[0:1], v[2:3], v[4:5]
	s_delay_alu instid0(VALU_DEP_1) | instskip(SKIP_4) | instid1(VALU_DEP_2)
	v_add_f64_e32 v[22:23], v[0:1], v[120:121]
	ds_load_b128 v[0:3], v105 offset:1072
	s_wait_dscnt 0x0
	v_mul_f64_e32 v[50:51], v[2:3], v[18:19]
	v_mul_f64_e32 v[54:55], v[0:1], v[18:19]
	v_fma_f64 v[50:51], v[0:1], v[16:17], -v[50:51]
	s_delay_alu instid0(VALU_DEP_2) | instskip(NEXT) | instid1(VALU_DEP_2)
	v_fmac_f64_e32 v[54:55], v[2:3], v[16:17]
	v_add_f64_e32 v[84:85], v[76:77], v[50:51]
	v_mul_f64_e32 v[50:51], v[2:3], v[14:15]
	s_delay_alu instid0(VALU_DEP_3) | instskip(SKIP_1) | instid1(VALU_DEP_3)
	v_add_f64_e32 v[86:87], v[54:55], v[78:79]
	v_mul_f64_e32 v[54:55], v[0:1], v[14:15]
	v_fma_f64 v[50:51], v[0:1], v[12:13], -v[50:51]
	s_delay_alu instid0(VALU_DEP_2) | instskip(NEXT) | instid1(VALU_DEP_2)
	v_fmac_f64_e32 v[54:55], v[2:3], v[12:13]
	v_add_f64_e32 v[76:77], v[80:81], v[50:51]
	v_mul_f64_e32 v[50:51], v[2:3], v[10:11]
	s_delay_alu instid0(VALU_DEP_3) | instskip(SKIP_1) | instid1(VALU_DEP_3)
	v_add_f64_e32 v[80:81], v[54:55], v[82:83]
	v_mul_f64_e32 v[54:55], v[0:1], v[10:11]
	v_fma_f64 v[50:51], v[0:1], v[8:9], -v[50:51]
	s_delay_alu instid0(VALU_DEP_2) | instskip(NEXT) | instid1(VALU_DEP_2)
	v_fmac_f64_e32 v[54:55], v[2:3], v[8:9]
	v_add_f64_e32 v[68:69], v[122:123], v[50:51]
	v_mul_f64_e32 v[50:51], v[2:3], v[6:7]
	s_delay_alu instid0(VALU_DEP_3) | instskip(NEXT) | instid1(VALU_DEP_2)
	v_add_f64_e32 v[72:73], v[54:55], v[124:125]
	v_fma_f64 v[50:51], v[0:1], v[4:5], -v[50:51]
	v_mul_f64_e32 v[0:1], v[0:1], v[6:7]
	s_delay_alu instid0(VALU_DEP_2) | instskip(NEXT) | instid1(VALU_DEP_2)
	v_add_f64_e32 v[56:57], v[126:127], v[50:51]
	v_fmac_f64_e32 v[0:1], v[2:3], v[4:5]
	s_delay_alu instid0(VALU_DEP_1) | instskip(SKIP_4) | instid1(VALU_DEP_2)
	v_add_f64_e32 v[60:61], v[0:1], v[128:129]
	ds_load_b128 v[0:3], v105 offset:2096
	s_wait_dscnt 0x0
	v_mul_f64_e32 v[50:51], v[2:3], v[18:19]
	v_mul_f64_e32 v[54:55], v[0:1], v[18:19]
	v_fma_f64 v[50:51], v[0:1], v[16:17], -v[50:51]
	s_delay_alu instid0(VALU_DEP_2) | instskip(NEXT) | instid1(VALU_DEP_2)
	v_fmac_f64_e32 v[54:55], v[2:3], v[16:17]
	v_add_f64_e32 v[78:79], v[130:131], v[50:51]
	v_mul_f64_e32 v[50:51], v[2:3], v[14:15]
	s_delay_alu instid0(VALU_DEP_3) | instskip(SKIP_1) | instid1(VALU_DEP_3)
	v_add_f64_e32 v[82:83], v[54:55], v[132:133]
	v_mul_f64_e32 v[54:55], v[0:1], v[14:15]
	v_fma_f64 v[50:51], v[0:1], v[12:13], -v[50:51]
	s_delay_alu instid0(VALU_DEP_2) | instskip(NEXT) | instid1(VALU_DEP_2)
	v_fmac_f64_e32 v[54:55], v[2:3], v[12:13]
	v_add_f64_e32 v[70:71], v[134:135], v[50:51]
	v_mul_f64_e32 v[50:51], v[2:3], v[10:11]
	s_delay_alu instid0(VALU_DEP_3) | instskip(SKIP_1) | instid1(VALU_DEP_3)
	v_add_f64_e32 v[74:75], v[54:55], v[136:137]
	v_mul_f64_e32 v[54:55], v[0:1], v[10:11]
	v_fma_f64 v[50:51], v[0:1], v[8:9], -v[50:51]
	s_delay_alu instid0(VALU_DEP_2) | instskip(NEXT) | instid1(VALU_DEP_2)
	v_fmac_f64_e32 v[54:55], v[2:3], v[8:9]
	v_add_f64_e32 v[58:59], v[108:109], v[50:51]
	v_mul_f64_e32 v[50:51], v[2:3], v[6:7]
	s_delay_alu instid0(VALU_DEP_3) | instskip(NEXT) | instid1(VALU_DEP_2)
	v_add_f64_e32 v[62:63], v[54:55], v[110:111]
	v_fma_f64 v[50:51], v[0:1], v[4:5], -v[50:51]
	v_mul_f64_e32 v[0:1], v[0:1], v[6:7]
	s_delay_alu instid0(VALU_DEP_2) | instskip(NEXT) | instid1(VALU_DEP_2)
	v_add_f64_e32 v[50:51], v[112:113], v[50:51]
	v_fmac_f64_e32 v[0:1], v[2:3], v[4:5]
	s_delay_alu instid0(VALU_DEP_1)
	v_add_f64_e32 v[54:55], v[0:1], v[114:115]
	ds_load_b128 v[0:3], v105 offset:3120
	s_wait_dscnt 0x0
	s_barrier_signal -1
	s_barrier_wait -1
	v_mul_f64_e32 v[108:109], v[2:3], v[18:19]
	v_mul_f64_e32 v[18:19], v[0:1], v[18:19]
	s_delay_alu instid0(VALU_DEP_2) | instskip(NEXT) | instid1(VALU_DEP_2)
	v_fma_f64 v[108:109], v[0:1], v[16:17], -v[108:109]
	v_fmac_f64_e32 v[18:19], v[2:3], v[16:17]
	s_delay_alu instid0(VALU_DEP_2) | instskip(SKIP_2) | instid1(VALU_DEP_4)
	v_add_f64_e32 v[16:17], v[100:101], v[108:109]
	v_mul_f64_e32 v[100:101], v[2:3], v[14:15]
	v_mul_f64_e32 v[14:15], v[0:1], v[14:15]
	v_add_f64_e32 v[18:19], v[18:19], v[102:103]
	s_delay_alu instid0(VALU_DEP_3) | instskip(NEXT) | instid1(VALU_DEP_3)
	v_fma_f64 v[100:101], v[0:1], v[12:13], -v[100:101]
	v_fmac_f64_e32 v[14:15], v[2:3], v[12:13]
	s_delay_alu instid0(VALU_DEP_2) | instskip(SKIP_2) | instid1(VALU_DEP_4)
	v_add_f64_e32 v[12:13], v[96:97], v[100:101]
	v_mul_f64_e32 v[96:97], v[2:3], v[10:11]
	v_mul_f64_e32 v[10:11], v[0:1], v[10:11]
	v_add_f64_e32 v[14:15], v[14:15], v[98:99]
	s_delay_alu instid0(VALU_DEP_3) | instskip(NEXT) | instid1(VALU_DEP_3)
	v_fma_f64 v[96:97], v[0:1], v[8:9], -v[96:97]
	v_fmac_f64_e32 v[10:11], v[2:3], v[8:9]
	s_delay_alu instid0(VALU_DEP_2) | instskip(SKIP_1) | instid1(VALU_DEP_3)
	v_add_f64_e32 v[8:9], v[92:93], v[96:97]
	v_mul_f64_e32 v[92:93], v[2:3], v[6:7]
	v_add_f64_e32 v[10:11], v[10:11], v[94:95]
	s_delay_alu instid0(VALU_DEP_2) | instskip(SKIP_1) | instid1(VALU_DEP_2)
	v_fma_f64 v[92:93], v[0:1], v[4:5], -v[92:93]
	v_mul_f64_e32 v[0:1], v[0:1], v[6:7]
	v_add_f64_e32 v[88:89], v[88:89], v[92:93]
	s_delay_alu instid0(VALU_DEP_2) | instskip(NEXT) | instid1(VALU_DEP_1)
	v_fmac_f64_e32 v[0:1], v[2:3], v[4:5]
	v_add_f64_e32 v[90:91], v[0:1], v[90:91]
	s_cbranch_vccnz .LBB254_5
; %bb.6:                                ;   in Loop: Header=BB254_3 Depth=1
	v_add_nc_u64_e32 v[0:1], s[14:15], v[38:39]
	s_and_not1_b32 vcc_lo, exec_lo, s1
	s_mov_b32 s24, -1
                                        ; implicit-def: $vgpr2_vgpr3
                                        ; implicit-def: $vgpr4_vgpr5
	s_cbranch_vccnz .LBB254_9
.LBB254_7:                              ;   in Loop: Header=BB254_3 Depth=1
	v_mul_f64_e32 v[2:3], s[8:9], v[66:67]
	v_mul_f64_e32 v[42:43], s[8:9], v[46:47]
	;; [unrolled: 1-line block ×30, first 2 shown]
	v_lshlrev_b64_e32 v[148:149], 4, v[30:31]
	v_lshl_add_u64 v[150:151], v[26:27], 4, v[0:1]
	v_fma_f64 v[4:5], s[6:7], v[64:65], -v[2:3]
	v_mul_f64_e32 v[2:3], s[6:7], v[90:91]
	v_fma_f64 v[92:93], s[6:7], v[44:45], -v[42:43]
	v_mul_f64_e32 v[42:43], s[8:9], v[90:91]
	v_fmac_f64_e32 v[6:7], s[8:9], v[64:65]
	v_fma_f64 v[38:39], s[6:7], v[48:49], -v[38:39]
	v_fmac_f64_e32 v[40:41], s[8:9], v[48:49]
	v_add_nc_u64_e32 v[152:153], v[150:151], v[148:149]
	v_add_nc_u64_e32 v[150:151], s[22:23], v[150:151]
	v_fma_f64 v[100:101], s[6:7], v[84:85], -v[100:101]
	v_fma_f64 v[128:129], s[6:7], v[58:59], -v[128:129]
	v_fmac_f64_e32 v[94:95], s[8:9], v[44:45]
	v_fma_f64 v[144:145], s[6:7], v[8:9], -v[144:145]
	v_fmac_f64_e32 v[102:103], s[8:9], v[84:85]
	v_fmac_f64_e32 v[130:131], s[8:9], v[58:59]
	v_fmac_f64_e32 v[146:147], s[8:9], v[8:9]
	v_fma_f64 v[96:97], s[6:7], v[20:21], -v[96:97]
	v_fma_f64 v[108:109], s[6:7], v[76:77], -v[108:109]
	;; [unrolled: 1-line block ×3, first 2 shown]
	v_fmac_f64_e32 v[98:99], s[8:9], v[20:21]
	v_fmac_f64_e32 v[110:111], s[8:9], v[76:77]
	;; [unrolled: 1-line block ×3, first 2 shown]
	v_fma_f64 v[112:113], s[6:7], v[68:69], -v[112:113]
	v_fma_f64 v[136:137], s[6:7], v[16:17], -v[136:137]
	v_fmac_f64_e32 v[114:115], s[8:9], v[68:69]
	v_fmac_f64_e32 v[138:139], s[8:9], v[16:17]
	v_fma_f64 v[116:117], s[6:7], v[56:57], -v[116:117]
	v_fma_f64 v[140:141], s[6:7], v[12:13], -v[140:141]
	v_fmac_f64_e32 v[118:119], s[8:9], v[56:57]
	v_fmac_f64_e32 v[142:143], s[8:9], v[12:13]
	v_fma_f64 v[120:121], s[6:7], v[78:79], -v[120:121]
	v_fmac_f64_e32 v[122:123], s[8:9], v[78:79]
	v_fma_f64 v[124:125], s[6:7], v[70:71], -v[124:125]
	v_fmac_f64_e32 v[2:3], s[8:9], v[88:89]
	v_fmac_f64_e32 v[126:127], s[8:9], v[70:71]
	v_fma_f64 v[42:43], s[6:7], v[88:89], -v[42:43]
	flat_store_b128 v[152:153], v[4:7]
	s_wait_xcnt 0x0
	v_add_nc_u64_e32 v[4:5], s[22:23], v[150:151]
	v_add_nc_u64_e32 v[150:151], v[150:151], v[148:149]
	flat_store_b128 v[152:153], v[38:41] offset:256
	s_clause 0x1
	flat_store_b128 v[152:153], v[92:95] offset:512
	flat_store_b128 v[152:153], v[96:99] offset:768
	v_add_nc_u64_e32 v[6:7], s[22:23], v[4:5]
	s_wait_xcnt 0x2
	v_add_nc_u64_e32 v[38:39], v[4:5], v[148:149]
	s_clause 0x5
	flat_store_b128 v[150:151], v[100:103]
	flat_store_b128 v[150:151], v[108:111] offset:256
	flat_store_b128 v[150:151], v[112:115] offset:512
	;; [unrolled: 1-line block ×3, first 2 shown]
	flat_store_b128 v[38:39], v[120:123]
	flat_store_b128 v[38:39], v[124:127] offset:256
	v_add_nc_u64_e32 v[6:7], v[6:7], v[148:149]
	s_clause 0x5
	flat_store_b128 v[38:39], v[128:131] offset:512
	flat_store_b128 v[38:39], v[132:135] offset:768
	flat_store_b128 v[6:7], v[136:139]
	flat_store_b128 v[6:7], v[140:143] offset:256
	flat_store_b128 v[6:7], v[144:147] offset:512
	flat_store_b64 v[6:7], v[42:43] offset:768
	v_add_nc_u64_e32 v[4:5], 0x300, v[6:7]
	s_cbranch_execnz .LBB254_2
	s_branch .LBB254_10
.LBB254_8:                              ;   in Loop: Header=BB254_3 Depth=1
	v_mov_b64_e32 v[64:65], 0
	v_mov_b64_e32 v[66:67], 0
	;; [unrolled: 1-line block ×32, first 2 shown]
	s_wait_loadcnt 0x0
	s_wait_xcnt 0x0
	v_add_nc_u64_e32 v[0:1], s[14:15], v[38:39]
	s_and_not1_b32 vcc_lo, exec_lo, s1
	s_mov_b32 s24, -1
                                        ; implicit-def: $vgpr2_vgpr3
                                        ; implicit-def: $vgpr4_vgpr5
	s_cbranch_vccz .LBB254_7
.LBB254_9:                              ;   in Loop: Header=BB254_3 Depth=1
	s_and_not1_b32 vcc_lo, exec_lo, s24
	s_cbranch_vccnz .LBB254_2
.LBB254_10:                             ;   in Loop: Header=BB254_3 Depth=1
	v_add_nc_u64_e32 v[2:3], s[18:19], v[36:37]
	s_wait_xcnt 0x0
	v_lshlrev_b64_e32 v[6:7], 4, v[30:31]
	v_mul_f64_e32 v[40:41], s[8:9], v[66:67]
	v_mul_f64_e32 v[42:43], s[6:7], v[66:67]
	s_delay_alu instid0(VALU_DEP_4) | instskip(NEXT) | instid1(VALU_DEP_1)
	v_lshl_add_u64 v[36:37], v[28:29], 4, v[2:3]
	v_add_nc_u64_e32 v[38:39], v[36:37], v[6:7]
	flat_load_b128 v[2:5], v[38:39]
	v_fma_f64 v[40:41], s[6:7], v[64:65], -v[40:41]
	v_fmac_f64_e32 v[42:43], s[8:9], v[64:65]
	s_wait_loadcnt_dscnt 0x0
	v_mul_f64_e32 v[66:67], s[40:41], v[4:5]
	v_mul_f64_e32 v[4:5], s[38:39], v[4:5]
	s_delay_alu instid0(VALU_DEP_2) | instskip(NEXT) | instid1(VALU_DEP_2)
	v_fma_f64 v[64:65], s[38:39], v[2:3], -v[66:67]
	v_fmac_f64_e32 v[4:5], s[40:41], v[2:3]
	s_delay_alu instid0(VALU_DEP_2) | instskip(NEXT) | instid1(VALU_DEP_2)
	v_add_f64_e32 v[2:3], v[40:41], v[64:65]
	v_add_f64_e32 v[4:5], v[42:43], v[4:5]
	v_lshl_add_u64 v[40:41], v[26:27], 4, v[0:1]
	s_delay_alu instid0(VALU_DEP_1) | instskip(SKIP_4) | instid1(VALU_DEP_2)
	v_add_nc_u64_e32 v[42:43], v[40:41], v[6:7]
	flat_store_b128 v[42:43], v[2:5]
	flat_load_b128 v[0:3], v[38:39] offset:256
	v_mul_f64_e32 v[4:5], s[8:9], v[52:53]
	v_mul_f64_e32 v[52:53], s[6:7], v[52:53]
	v_fma_f64 v[4:5], s[6:7], v[48:49], -v[4:5]
	s_delay_alu instid0(VALU_DEP_2) | instskip(SKIP_3) | instid1(VALU_DEP_2)
	v_fmac_f64_e32 v[52:53], s[8:9], v[48:49]
	s_wait_loadcnt_dscnt 0x0
	v_mul_f64_e32 v[64:65], s[40:41], v[2:3]
	v_mul_f64_e32 v[2:3], s[38:39], v[2:3]
	v_fma_f64 v[48:49], s[38:39], v[0:1], -v[64:65]
	s_delay_alu instid0(VALU_DEP_2) | instskip(NEXT) | instid1(VALU_DEP_2)
	v_fmac_f64_e32 v[2:3], s[40:41], v[0:1]
	v_add_f64_e32 v[0:1], v[4:5], v[48:49]
	s_delay_alu instid0(VALU_DEP_2)
	v_add_f64_e32 v[2:3], v[52:53], v[2:3]
	v_mul_f64_e32 v[4:5], s[8:9], v[46:47]
	v_mul_f64_e32 v[46:47], s[6:7], v[46:47]
	flat_store_b128 v[42:43], v[0:3] offset:256
	flat_load_b128 v[0:3], v[38:39] offset:512
	v_fma_f64 v[4:5], s[6:7], v[44:45], -v[4:5]
	v_fmac_f64_e32 v[46:47], s[8:9], v[44:45]
	s_wait_loadcnt_dscnt 0x0
	v_mul_f64_e32 v[48:49], s[40:41], v[2:3]
	v_mul_f64_e32 v[2:3], s[38:39], v[2:3]
	s_delay_alu instid0(VALU_DEP_2) | instskip(NEXT) | instid1(VALU_DEP_2)
	v_fma_f64 v[44:45], s[38:39], v[0:1], -v[48:49]
	v_fmac_f64_e32 v[2:3], s[40:41], v[0:1]
	s_delay_alu instid0(VALU_DEP_2) | instskip(NEXT) | instid1(VALU_DEP_2)
	v_add_f64_e32 v[0:1], v[4:5], v[44:45]
	v_add_f64_e32 v[2:3], v[46:47], v[2:3]
	v_mul_f64_e32 v[4:5], s[8:9], v[22:23]
	v_mul_f64_e32 v[22:23], s[6:7], v[22:23]
	flat_store_b128 v[42:43], v[0:3] offset:512
	flat_load_b128 v[0:3], v[38:39] offset:768
	v_fma_f64 v[4:5], s[6:7], v[20:21], -v[4:5]
	v_fmac_f64_e32 v[22:23], s[8:9], v[20:21]
	s_wait_loadcnt_dscnt 0x0
	s_wait_xcnt 0x0
	v_mul_f64_e32 v[38:39], s[40:41], v[2:3]
	v_mul_f64_e32 v[2:3], s[38:39], v[2:3]
	s_delay_alu instid0(VALU_DEP_2) | instskip(NEXT) | instid1(VALU_DEP_2)
	v_fma_f64 v[20:21], s[38:39], v[0:1], -v[38:39]
	v_fmac_f64_e32 v[2:3], s[40:41], v[0:1]
	s_delay_alu instid0(VALU_DEP_2) | instskip(NEXT) | instid1(VALU_DEP_2)
	v_add_f64_e32 v[0:1], v[4:5], v[20:21]
	v_add_f64_e32 v[2:3], v[22:23], v[2:3]
	v_add_nc_u64_e32 v[4:5], s[20:21], v[36:37]
	v_mul_f64_e32 v[22:23], s[8:9], v[86:87]
	v_mul_f64_e32 v[36:37], s[6:7], v[86:87]
	s_delay_alu instid0(VALU_DEP_3)
	v_add_nc_u64_e32 v[20:21], v[4:5], v[6:7]
	v_add_nc_u64_e32 v[4:5], s[20:21], v[4:5]
	flat_store_b128 v[42:43], v[0:3] offset:768
	flat_load_b128 v[0:3], v[20:21]
	v_fma_f64 v[22:23], s[6:7], v[84:85], -v[22:23]
	v_fmac_f64_e32 v[36:37], s[8:9], v[84:85]
	s_wait_loadcnt_dscnt 0x0
	v_mul_f64_e32 v[38:39], s[40:41], v[2:3]
	v_mul_f64_e32 v[2:3], s[38:39], v[2:3]
	s_delay_alu instid0(VALU_DEP_2) | instskip(NEXT) | instid1(VALU_DEP_2)
	v_fma_f64 v[38:39], s[38:39], v[0:1], -v[38:39]
	v_fmac_f64_e32 v[2:3], s[40:41], v[0:1]
	s_delay_alu instid0(VALU_DEP_2) | instskip(NEXT) | instid1(VALU_DEP_2)
	v_add_f64_e32 v[0:1], v[22:23], v[38:39]
	v_add_f64_e32 v[2:3], v[36:37], v[2:3]
	v_add_nc_u64_e32 v[22:23], s[22:23], v[40:41]
	v_mul_f64_e32 v[38:39], s[8:9], v[80:81]
	v_mul_f64_e32 v[40:41], s[6:7], v[80:81]
	s_delay_alu instid0(VALU_DEP_3)
	v_add_nc_u64_e32 v[36:37], v[22:23], v[6:7]
	v_add_nc_u64_e32 v[22:23], s[22:23], v[22:23]
	flat_store_b128 v[36:37], v[0:3]
	flat_load_b128 v[0:3], v[20:21] offset:256
	v_fma_f64 v[38:39], s[6:7], v[76:77], -v[38:39]
	v_fmac_f64_e32 v[40:41], s[8:9], v[76:77]
	s_wait_loadcnt_dscnt 0x0
	v_mul_f64_e32 v[42:43], s[40:41], v[2:3]
	v_mul_f64_e32 v[2:3], s[38:39], v[2:3]
	s_delay_alu instid0(VALU_DEP_2) | instskip(NEXT) | instid1(VALU_DEP_2)
	v_fma_f64 v[42:43], s[38:39], v[0:1], -v[42:43]
	v_fmac_f64_e32 v[2:3], s[40:41], v[0:1]
	s_delay_alu instid0(VALU_DEP_2) | instskip(NEXT) | instid1(VALU_DEP_2)
	v_add_f64_e32 v[0:1], v[38:39], v[42:43]
	v_add_f64_e32 v[2:3], v[40:41], v[2:3]
	v_mul_f64_e32 v[38:39], s[8:9], v[72:73]
	v_mul_f64_e32 v[40:41], s[6:7], v[72:73]
	flat_store_b128 v[36:37], v[0:3] offset:256
	flat_load_b128 v[0:3], v[20:21] offset:512
	v_fma_f64 v[38:39], s[6:7], v[68:69], -v[38:39]
	v_fmac_f64_e32 v[40:41], s[8:9], v[68:69]
	s_wait_loadcnt_dscnt 0x0
	v_mul_f64_e32 v[42:43], s[40:41], v[2:3]
	v_mul_f64_e32 v[2:3], s[38:39], v[2:3]
	s_delay_alu instid0(VALU_DEP_2) | instskip(NEXT) | instid1(VALU_DEP_2)
	v_fma_f64 v[42:43], s[38:39], v[0:1], -v[42:43]
	v_fmac_f64_e32 v[2:3], s[40:41], v[0:1]
	s_delay_alu instid0(VALU_DEP_2) | instskip(NEXT) | instid1(VALU_DEP_2)
	v_add_f64_e32 v[0:1], v[38:39], v[42:43]
	v_add_f64_e32 v[2:3], v[40:41], v[2:3]
	v_mul_f64_e32 v[38:39], s[6:7], v[60:61]
	flat_store_b128 v[36:37], v[0:3] offset:512
	flat_load_b128 v[0:3], v[20:21] offset:768
	s_wait_xcnt 0x0
	v_mul_f64_e32 v[20:21], s[8:9], v[60:61]
	v_fmac_f64_e32 v[38:39], s[8:9], v[56:57]
	s_delay_alu instid0(VALU_DEP_2) | instskip(SKIP_3) | instid1(VALU_DEP_2)
	v_fma_f64 v[20:21], s[6:7], v[56:57], -v[20:21]
	s_wait_loadcnt_dscnt 0x0
	v_mul_f64_e32 v[40:41], s[40:41], v[2:3]
	v_mul_f64_e32 v[2:3], s[38:39], v[2:3]
	v_fma_f64 v[40:41], s[38:39], v[0:1], -v[40:41]
	s_delay_alu instid0(VALU_DEP_2) | instskip(NEXT) | instid1(VALU_DEP_2)
	v_fmac_f64_e32 v[2:3], s[40:41], v[0:1]
	v_add_f64_e32 v[0:1], v[20:21], v[40:41]
	s_delay_alu instid0(VALU_DEP_2) | instskip(SKIP_3) | instid1(VALU_DEP_1)
	v_add_f64_e32 v[2:3], v[38:39], v[2:3]
	v_add_nc_u64_e32 v[20:21], v[4:5], v[6:7]
	v_mul_f64_e32 v[38:39], s[6:7], v[82:83]
	v_add_nc_u64_e32 v[4:5], s[20:21], v[4:5]
	v_add_nc_u64_e32 v[4:5], v[4:5], v[6:7]
	flat_store_b128 v[36:37], v[0:3] offset:768
	flat_load_b128 v[0:3], v[20:21]
	v_mul_f64_e32 v[36:37], s[8:9], v[82:83]
	v_fmac_f64_e32 v[38:39], s[8:9], v[78:79]
	s_delay_alu instid0(VALU_DEP_2) | instskip(SKIP_3) | instid1(VALU_DEP_2)
	v_fma_f64 v[36:37], s[6:7], v[78:79], -v[36:37]
	s_wait_loadcnt_dscnt 0x0
	v_mul_f64_e32 v[40:41], s[40:41], v[2:3]
	v_mul_f64_e32 v[2:3], s[38:39], v[2:3]
	v_fma_f64 v[40:41], s[38:39], v[0:1], -v[40:41]
	s_delay_alu instid0(VALU_DEP_2) | instskip(NEXT) | instid1(VALU_DEP_2)
	v_fmac_f64_e32 v[2:3], s[40:41], v[0:1]
	v_add_f64_e32 v[0:1], v[36:37], v[40:41]
	s_delay_alu instid0(VALU_DEP_2)
	v_add_f64_e32 v[2:3], v[38:39], v[2:3]
	v_add_nc_u64_e32 v[36:37], v[22:23], v[6:7]
	v_mul_f64_e32 v[38:39], s[8:9], v[74:75]
	v_mul_f64_e32 v[40:41], s[6:7], v[74:75]
	flat_store_b128 v[36:37], v[0:3]
	flat_load_b128 v[0:3], v[20:21] offset:256
	v_fma_f64 v[38:39], s[6:7], v[70:71], -v[38:39]
	v_fmac_f64_e32 v[40:41], s[8:9], v[70:71]
	s_wait_loadcnt_dscnt 0x0
	v_mul_f64_e32 v[42:43], s[40:41], v[2:3]
	v_mul_f64_e32 v[2:3], s[38:39], v[2:3]
	s_delay_alu instid0(VALU_DEP_2) | instskip(NEXT) | instid1(VALU_DEP_2)
	v_fma_f64 v[42:43], s[38:39], v[0:1], -v[42:43]
	v_fmac_f64_e32 v[2:3], s[40:41], v[0:1]
	s_delay_alu instid0(VALU_DEP_2) | instskip(NEXT) | instid1(VALU_DEP_2)
	v_add_f64_e32 v[0:1], v[38:39], v[42:43]
	v_add_f64_e32 v[2:3], v[40:41], v[2:3]
	v_mul_f64_e32 v[38:39], s[8:9], v[62:63]
	v_mul_f64_e32 v[40:41], s[6:7], v[62:63]
	flat_store_b128 v[36:37], v[0:3] offset:256
	flat_load_b128 v[0:3], v[20:21] offset:512
	v_fma_f64 v[38:39], s[6:7], v[58:59], -v[38:39]
	v_fmac_f64_e32 v[40:41], s[8:9], v[58:59]
	s_wait_loadcnt_dscnt 0x0
	v_mul_f64_e32 v[42:43], s[40:41], v[2:3]
	v_mul_f64_e32 v[2:3], s[38:39], v[2:3]
	s_delay_alu instid0(VALU_DEP_2) | instskip(NEXT) | instid1(VALU_DEP_2)
	v_fma_f64 v[42:43], s[38:39], v[0:1], -v[42:43]
	v_fmac_f64_e32 v[2:3], s[40:41], v[0:1]
	s_delay_alu instid0(VALU_DEP_2) | instskip(NEXT) | instid1(VALU_DEP_2)
	v_add_f64_e32 v[0:1], v[38:39], v[42:43]
	v_add_f64_e32 v[2:3], v[40:41], v[2:3]
	v_mul_f64_e32 v[38:39], s[6:7], v[54:55]
	flat_store_b128 v[36:37], v[0:3] offset:512
	flat_load_b128 v[0:3], v[20:21] offset:768
	s_wait_xcnt 0x0
	v_mul_f64_e32 v[20:21], s[8:9], v[54:55]
	v_fmac_f64_e32 v[38:39], s[8:9], v[50:51]
	s_delay_alu instid0(VALU_DEP_2) | instskip(SKIP_3) | instid1(VALU_DEP_2)
	v_fma_f64 v[20:21], s[6:7], v[50:51], -v[20:21]
	s_wait_loadcnt_dscnt 0x0
	v_mul_f64_e32 v[40:41], s[40:41], v[2:3]
	v_mul_f64_e32 v[2:3], s[38:39], v[2:3]
	v_fma_f64 v[40:41], s[38:39], v[0:1], -v[40:41]
	s_delay_alu instid0(VALU_DEP_2) | instskip(NEXT) | instid1(VALU_DEP_2)
	v_fmac_f64_e32 v[2:3], s[40:41], v[0:1]
	v_add_f64_e32 v[0:1], v[20:21], v[40:41]
	s_delay_alu instid0(VALU_DEP_2)
	v_add_f64_e32 v[2:3], v[38:39], v[2:3]
	v_mul_f64_e32 v[20:21], s[8:9], v[18:19]
	v_mul_f64_e32 v[18:19], s[6:7], v[18:19]
	flat_store_b128 v[36:37], v[0:3] offset:768
	flat_load_b128 v[0:3], v[4:5]
	v_fma_f64 v[20:21], s[6:7], v[16:17], -v[20:21]
	v_fmac_f64_e32 v[18:19], s[8:9], v[16:17]
	s_wait_loadcnt_dscnt 0x0
	v_mul_f64_e32 v[36:37], s[40:41], v[2:3]
	v_mul_f64_e32 v[2:3], s[38:39], v[2:3]
	s_delay_alu instid0(VALU_DEP_2) | instskip(NEXT) | instid1(VALU_DEP_2)
	v_fma_f64 v[16:17], s[38:39], v[0:1], -v[36:37]
	v_fmac_f64_e32 v[2:3], s[40:41], v[0:1]
	s_delay_alu instid0(VALU_DEP_2) | instskip(NEXT) | instid1(VALU_DEP_2)
	v_add_f64_e32 v[0:1], v[20:21], v[16:17]
	v_add_f64_e32 v[2:3], v[18:19], v[2:3]
	v_add_nc_u64_e32 v[16:17], s[22:23], v[22:23]
	s_delay_alu instid0(VALU_DEP_1)
	v_add_nc_u64_e32 v[6:7], v[16:17], v[6:7]
	v_mul_f64_e32 v[16:17], s[8:9], v[14:15]
	v_mul_f64_e32 v[14:15], s[6:7], v[14:15]
	flat_store_b128 v[6:7], v[0:3]
	flat_load_b128 v[0:3], v[4:5] offset:256
	v_fma_f64 v[16:17], s[6:7], v[12:13], -v[16:17]
	v_fmac_f64_e32 v[14:15], s[8:9], v[12:13]
	s_wait_loadcnt_dscnt 0x0
	v_mul_f64_e32 v[18:19], s[40:41], v[2:3]
	v_mul_f64_e32 v[2:3], s[38:39], v[2:3]
	s_delay_alu instid0(VALU_DEP_2) | instskip(NEXT) | instid1(VALU_DEP_2)
	v_fma_f64 v[12:13], s[38:39], v[0:1], -v[18:19]
	v_fmac_f64_e32 v[2:3], s[40:41], v[0:1]
	s_delay_alu instid0(VALU_DEP_2) | instskip(NEXT) | instid1(VALU_DEP_2)
	v_add_f64_e32 v[0:1], v[16:17], v[12:13]
	v_add_f64_e32 v[2:3], v[14:15], v[2:3]
	v_mul_f64_e32 v[12:13], s[8:9], v[10:11]
	v_mul_f64_e32 v[10:11], s[6:7], v[10:11]
	flat_store_b128 v[6:7], v[0:3] offset:256
	flat_load_b128 v[0:3], v[4:5] offset:512
	v_fma_f64 v[12:13], s[6:7], v[8:9], -v[12:13]
	v_fmac_f64_e32 v[10:11], s[8:9], v[8:9]
	s_wait_loadcnt_dscnt 0x0
	v_mul_f64_e32 v[14:15], s[40:41], v[2:3]
	v_mul_f64_e32 v[2:3], s[38:39], v[2:3]
	s_delay_alu instid0(VALU_DEP_2) | instskip(NEXT) | instid1(VALU_DEP_2)
	v_fma_f64 v[8:9], s[38:39], v[0:1], -v[14:15]
	v_fmac_f64_e32 v[2:3], s[40:41], v[0:1]
	s_delay_alu instid0(VALU_DEP_2) | instskip(NEXT) | instid1(VALU_DEP_2)
	v_add_f64_e32 v[0:1], v[12:13], v[8:9]
	v_add_f64_e32 v[2:3], v[10:11], v[2:3]
	v_mul_f64_e32 v[8:9], s[6:7], v[90:91]
	flat_store_b128 v[6:7], v[0:3] offset:512
	flat_load_b128 v[0:3], v[4:5] offset:768
	s_wait_xcnt 0x0
	v_mul_f64_e32 v[4:5], s[8:9], v[90:91]
	v_fmac_f64_e32 v[8:9], s[8:9], v[88:89]
	s_delay_alu instid0(VALU_DEP_2) | instskip(SKIP_3) | instid1(VALU_DEP_2)
	v_fma_f64 v[4:5], s[6:7], v[88:89], -v[4:5]
	s_wait_loadcnt_dscnt 0x0
	v_mul_f64_e32 v[10:11], s[40:41], v[2:3]
	v_mul_f64_e32 v[2:3], s[38:39], v[2:3]
	v_fma_f64 v[10:11], s[38:39], v[0:1], -v[10:11]
	s_delay_alu instid0(VALU_DEP_2) | instskip(NEXT) | instid1(VALU_DEP_2)
	v_fmac_f64_e32 v[2:3], s[40:41], v[0:1]
	v_add_f64_e32 v[0:1], v[4:5], v[10:11]
	s_delay_alu instid0(VALU_DEP_2)
	v_add_f64_e32 v[2:3], v[8:9], v[2:3]
	v_add_nc_u64_e32 v[4:5], 0x300, v[6:7]
	flat_store_b64 v[6:7], v[0:1] offset:768
	s_branch .LBB254_2
.LBB254_11:
	s_sendmsg sendmsg(MSG_DEALLOC_VGPRS)
	s_endpgm
	.section	.rodata,"a",@progbits
	.p2align	6, 0x0
	.amdhsa_kernel _ZN12_GLOBAL__N_127rocblas_gemm_batched_kernelI19rocblas_complex_numIdELi16ELi16ELi64ELi64ELi4ELi64ELi4ELi4ELi64ELc84ELc84EKPKS2_S5_KPS2_EEvlllT_PT11_llSA_llS8_PT12_llPT13_lli
		.amdhsa_group_segment_fixed_size 8192
		.amdhsa_private_segment_fixed_size 0
		.amdhsa_kernarg_size 156
		.amdhsa_user_sgpr_count 2
		.amdhsa_user_sgpr_dispatch_ptr 0
		.amdhsa_user_sgpr_queue_ptr 0
		.amdhsa_user_sgpr_kernarg_segment_ptr 1
		.amdhsa_user_sgpr_dispatch_id 0
		.amdhsa_user_sgpr_kernarg_preload_length 0
		.amdhsa_user_sgpr_kernarg_preload_offset 0
		.amdhsa_user_sgpr_private_segment_size 0
		.amdhsa_wavefront_size32 1
		.amdhsa_uses_dynamic_stack 0
		.amdhsa_enable_private_segment 0
		.amdhsa_system_sgpr_workgroup_id_x 1
		.amdhsa_system_sgpr_workgroup_id_y 1
		.amdhsa_system_sgpr_workgroup_id_z 1
		.amdhsa_system_sgpr_workgroup_info 0
		.amdhsa_system_vgpr_workitem_id 1
		.amdhsa_next_free_vgpr 154
		.amdhsa_next_free_sgpr 52
		.amdhsa_named_barrier_count 0
		.amdhsa_reserve_vcc 1
		.amdhsa_float_round_mode_32 0
		.amdhsa_float_round_mode_16_64 0
		.amdhsa_float_denorm_mode_32 3
		.amdhsa_float_denorm_mode_16_64 3
		.amdhsa_fp16_overflow 0
		.amdhsa_memory_ordered 1
		.amdhsa_forward_progress 1
		.amdhsa_inst_pref_size 45
		.amdhsa_round_robin_scheduling 0
		.amdhsa_exception_fp_ieee_invalid_op 0
		.amdhsa_exception_fp_denorm_src 0
		.amdhsa_exception_fp_ieee_div_zero 0
		.amdhsa_exception_fp_ieee_overflow 0
		.amdhsa_exception_fp_ieee_underflow 0
		.amdhsa_exception_fp_ieee_inexact 0
		.amdhsa_exception_int_div_zero 0
	.end_amdhsa_kernel
	.section	.text._ZN12_GLOBAL__N_127rocblas_gemm_batched_kernelI19rocblas_complex_numIdELi16ELi16ELi64ELi64ELi4ELi64ELi4ELi4ELi64ELc84ELc84EKPKS2_S5_KPS2_EEvlllT_PT11_llSA_llS8_PT12_llPT13_lli,"axG",@progbits,_ZN12_GLOBAL__N_127rocblas_gemm_batched_kernelI19rocblas_complex_numIdELi16ELi16ELi64ELi64ELi4ELi64ELi4ELi4ELi64ELc84ELc84EKPKS2_S5_KPS2_EEvlllT_PT11_llSA_llS8_PT12_llPT13_lli,comdat
.Lfunc_end254:
	.size	_ZN12_GLOBAL__N_127rocblas_gemm_batched_kernelI19rocblas_complex_numIdELi16ELi16ELi64ELi64ELi4ELi64ELi4ELi4ELi64ELc84ELc84EKPKS2_S5_KPS2_EEvlllT_PT11_llSA_llS8_PT12_llPT13_lli, .Lfunc_end254-_ZN12_GLOBAL__N_127rocblas_gemm_batched_kernelI19rocblas_complex_numIdELi16ELi16ELi64ELi64ELi4ELi64ELi4ELi4ELi64ELc84ELc84EKPKS2_S5_KPS2_EEvlllT_PT11_llSA_llS8_PT12_llPT13_lli
                                        ; -- End function
	.set _ZN12_GLOBAL__N_127rocblas_gemm_batched_kernelI19rocblas_complex_numIdELi16ELi16ELi64ELi64ELi4ELi64ELi4ELi4ELi64ELc84ELc84EKPKS2_S5_KPS2_EEvlllT_PT11_llSA_llS8_PT12_llPT13_lli.num_vgpr, 154
	.set _ZN12_GLOBAL__N_127rocblas_gemm_batched_kernelI19rocblas_complex_numIdELi16ELi16ELi64ELi64ELi4ELi64ELi4ELi4ELi64ELc84ELc84EKPKS2_S5_KPS2_EEvlllT_PT11_llSA_llS8_PT12_llPT13_lli.num_agpr, 0
	.set _ZN12_GLOBAL__N_127rocblas_gemm_batched_kernelI19rocblas_complex_numIdELi16ELi16ELi64ELi64ELi4ELi64ELi4ELi4ELi64ELc84ELc84EKPKS2_S5_KPS2_EEvlllT_PT11_llSA_llS8_PT12_llPT13_lli.numbered_sgpr, 52
	.set _ZN12_GLOBAL__N_127rocblas_gemm_batched_kernelI19rocblas_complex_numIdELi16ELi16ELi64ELi64ELi4ELi64ELi4ELi4ELi64ELc84ELc84EKPKS2_S5_KPS2_EEvlllT_PT11_llSA_llS8_PT12_llPT13_lli.num_named_barrier, 0
	.set _ZN12_GLOBAL__N_127rocblas_gemm_batched_kernelI19rocblas_complex_numIdELi16ELi16ELi64ELi64ELi4ELi64ELi4ELi4ELi64ELc84ELc84EKPKS2_S5_KPS2_EEvlllT_PT11_llSA_llS8_PT12_llPT13_lli.private_seg_size, 0
	.set _ZN12_GLOBAL__N_127rocblas_gemm_batched_kernelI19rocblas_complex_numIdELi16ELi16ELi64ELi64ELi4ELi64ELi4ELi4ELi64ELc84ELc84EKPKS2_S5_KPS2_EEvlllT_PT11_llSA_llS8_PT12_llPT13_lli.uses_vcc, 1
	.set _ZN12_GLOBAL__N_127rocblas_gemm_batched_kernelI19rocblas_complex_numIdELi16ELi16ELi64ELi64ELi4ELi64ELi4ELi4ELi64ELc84ELc84EKPKS2_S5_KPS2_EEvlllT_PT11_llSA_llS8_PT12_llPT13_lli.uses_flat_scratch, 1
	.set _ZN12_GLOBAL__N_127rocblas_gemm_batched_kernelI19rocblas_complex_numIdELi16ELi16ELi64ELi64ELi4ELi64ELi4ELi4ELi64ELc84ELc84EKPKS2_S5_KPS2_EEvlllT_PT11_llSA_llS8_PT12_llPT13_lli.has_dyn_sized_stack, 0
	.set _ZN12_GLOBAL__N_127rocblas_gemm_batched_kernelI19rocblas_complex_numIdELi16ELi16ELi64ELi64ELi4ELi64ELi4ELi4ELi64ELc84ELc84EKPKS2_S5_KPS2_EEvlllT_PT11_llSA_llS8_PT12_llPT13_lli.has_recursion, 0
	.set _ZN12_GLOBAL__N_127rocblas_gemm_batched_kernelI19rocblas_complex_numIdELi16ELi16ELi64ELi64ELi4ELi64ELi4ELi4ELi64ELc84ELc84EKPKS2_S5_KPS2_EEvlllT_PT11_llSA_llS8_PT12_llPT13_lli.has_indirect_call, 0
	.section	.AMDGPU.csdata,"",@progbits
; Kernel info:
; codeLenInByte = 5692
; TotalNumSgprs: 54
; NumVgprs: 154
; ScratchSize: 0
; MemoryBound: 0
; FloatMode: 240
; IeeeMode: 1
; LDSByteSize: 8192 bytes/workgroup (compile time only)
; SGPRBlocks: 0
; VGPRBlocks: 9
; NumSGPRsForWavesPerEU: 54
; NumVGPRsForWavesPerEU: 154
; NamedBarCnt: 0
; Occupancy: 6
; WaveLimiterHint : 1
; COMPUTE_PGM_RSRC2:SCRATCH_EN: 0
; COMPUTE_PGM_RSRC2:USER_SGPR: 2
; COMPUTE_PGM_RSRC2:TRAP_HANDLER: 0
; COMPUTE_PGM_RSRC2:TGID_X_EN: 1
; COMPUTE_PGM_RSRC2:TGID_Y_EN: 1
; COMPUTE_PGM_RSRC2:TGID_Z_EN: 1
; COMPUTE_PGM_RSRC2:TIDIG_COMP_CNT: 1
	.section	.text._ZN12_GLOBAL__N_127rocblas_gemm_batched_kernelI19rocblas_complex_numIdELi16ELi16ELi64ELi64ELi4ELi64ELi4ELi4ELi64ELc67ELc67EKPKS2_S5_KPS2_EEvlllT_PT11_llSA_llS8_PT12_llPT13_lli,"axG",@progbits,_ZN12_GLOBAL__N_127rocblas_gemm_batched_kernelI19rocblas_complex_numIdELi16ELi16ELi64ELi64ELi4ELi64ELi4ELi4ELi64ELc67ELc67EKPKS2_S5_KPS2_EEvlllT_PT11_llSA_llS8_PT12_llPT13_lli,comdat
	.globl	_ZN12_GLOBAL__N_127rocblas_gemm_batched_kernelI19rocblas_complex_numIdELi16ELi16ELi64ELi64ELi4ELi64ELi4ELi4ELi64ELc67ELc67EKPKS2_S5_KPS2_EEvlllT_PT11_llSA_llS8_PT12_llPT13_lli ; -- Begin function _ZN12_GLOBAL__N_127rocblas_gemm_batched_kernelI19rocblas_complex_numIdELi16ELi16ELi64ELi64ELi4ELi64ELi4ELi4ELi64ELc67ELc67EKPKS2_S5_KPS2_EEvlllT_PT11_llSA_llS8_PT12_llPT13_lli
	.p2align	8
	.type	_ZN12_GLOBAL__N_127rocblas_gemm_batched_kernelI19rocblas_complex_numIdELi16ELi16ELi64ELi64ELi4ELi64ELi4ELi4ELi64ELc67ELc67EKPKS2_S5_KPS2_EEvlllT_PT11_llSA_llS8_PT12_llPT13_lli,@function
_ZN12_GLOBAL__N_127rocblas_gemm_batched_kernelI19rocblas_complex_numIdELi16ELi16ELi64ELi64ELi4ELi64ELi4ELi4ELi64ELc67ELc67EKPKS2_S5_KPS2_EEvlllT_PT11_llSA_llS8_PT12_llPT13_lli: ; @_ZN12_GLOBAL__N_127rocblas_gemm_batched_kernelI19rocblas_complex_numIdELi16ELi16ELi64ELi64ELi4ELi64ELi4ELi4ELi64ELc67ELc67EKPKS2_S5_KPS2_EEvlllT_PT11_llSA_llS8_PT12_llPT13_lli
; %bb.0:
	s_load_b32 s26, s[0:1], 0x98
	s_bfe_u32 s2, ttmp6, 0x40014
	s_lshr_b32 s3, ttmp7, 16
	s_add_co_i32 s2, s2, 1
	s_bfe_u32 s4, ttmp6, 0x40008
	s_mul_i32 s2, s3, s2
	s_getreg_b32 s20, hwreg(HW_REG_IB_STS2, 6, 4)
	s_add_co_i32 s4, s4, s2
	s_cmp_eq_u32 s20, 0
	s_cselect_b32 s2, s3, s4
	s_mov_b32 s3, 0
	s_wait_kmcnt 0x0
	s_cmp_ge_i32 s2, s26
	s_cbranch_scc1 .LBB255_11
; %bb.1:
	v_bfe_u32 v24, v0, 10, 10
	v_and_b32_e32 v2, 0x3ff, v0
	s_bfe_u32 s21, ttmp6, 0x4000c
	s_bfe_u32 s23, ttmp6, 0x40010
	s_clause 0x1
	s_load_b512 s[4:19], s[0:1], 0x10
	s_load_b512 s[36:51], s[0:1], 0x50
	s_add_co_i32 s21, s21, 1
	s_and_b32 s24, ttmp7, 0xffff
	s_add_co_i32 s23, s23, 1
	s_and_b32 s22, ttmp6, 15
	s_mul_i32 s21, ttmp9, s21
	s_mul_i32 s23, s24, s23
	s_bfe_u32 s25, ttmp6, 0x40004
	v_lshl_add_u32 v10, v24, 4, v2
	v_mov_b32_e32 v25, 0
	s_add_co_i32 s22, s22, s21
	s_add_co_i32 s25, s25, s23
	s_cmp_eq_u32 s20, 0
	v_and_b32_e32 v11, 63, v10
	s_cselect_b32 s20, ttmp9, s22
	s_cselect_b32 s22, s24, s25
	s_ashr_i32 s21, s20, 31
	v_dual_mov_b32 v5, v25 :: v_dual_lshrrev_b32 v4, 2, v10
	s_lshl_b64 s[20:21], s[20:21], 6
	s_lshl_b32 s22, s22, 6
	s_mov_b32 s23, s3
	v_dual_mov_b32 v7, s21 :: v_dual_bitop2_b32 v6, s20, v11 bitop3:0x54
	v_add_nc_u64_e32 v[8:9], s[22:23], v[4:5]
	v_dual_mov_b32 v3, v25 :: v_dual_bitop2_b32 v5, 3, v0 bitop3:0x40
	s_wait_kmcnt 0x0
	v_cmp_eq_f64_e64 s24, s[38:39], 0
	v_mul_u64_e32 v[6:7], s[12:13], v[6:7]
	v_cmp_eq_f64_e64 s25, s[40:41], 0
	s_load_b64 s[0:1], s[0:1], 0x90
	v_mad_nc_u64_u32 v[0:1], s18, v5, v[8:9]
	v_add_nc_u64_e32 v[8:9], s[22:23], v[24:25]
	s_lshl_b64 s[12:13], s[14:15], 4
	v_lshlrev_b32_e32 v104, 4, v2
	v_lshl_add_u32 v105, v24, 6, 0x1000
	v_add_nc_u64_e32 v[30:31], s[20:21], v[2:3]
	v_cmp_gt_i64_e64 s14, s[4:5], 0
	s_lshl_b64 s[22:23], s[50:51], 4
	v_mul_u64_e32 v[26:27], s[50:51], v[8:9]
	v_mul_u64_e32 v[28:29], s[44:45], v[8:9]
	v_dual_lshrrev_b32 v8, 6, v10 :: v_dual_lshlrev_b32 v9, 4, v11
	v_mad_u32 v1, s19, v5, v1
	v_lshlrev_b32_e32 v5, 4, v5
	s_lshl_b64 s[20:21], s[44:45], 4
	s_lshl_b64 s[22:23], s[22:23], 4
	v_lshl_or_b32 v106, v8, 10, v9
	s_lshl_b64 s[20:21], s[20:21], 4
	v_lshl_or_b32 v4, v4, 6, v5
	s_delay_alu instid0(VALU_DEP_4) | instskip(NEXT) | instid1(VALU_DEP_2)
	v_lshlrev_b64_e32 v[0:1], 4, v[0:1]
	v_add_nc_u32_e32 v107, 0x1000, v4
	v_lshl_add_u64 v[2:3], v[6:7], 4, s[12:13]
	s_delay_alu instid0(VALU_DEP_3)
	v_lshl_add_u64 v[34:35], s[36:37], 4, v[0:1]
	v_lshlrev_b32_e32 v24, 4, v8
	v_cndmask_b32_e64 v0, 0, 1, s14
	s_wait_kmcnt 0x0
	s_lshl_b64 s[14:15], s[0:1], 4
	s_lshl_b64 s[12:13], s[18:19], 6
	v_or_b32_e32 v34, 8, v34
	v_add_nc_u64_e32 v[32:33], v[2:3], v[24:25]
	v_cmp_ne_u32_e64 s0, 1, v0
	s_and_b32 s1, s24, s25
	s_lshl_b64 s[18:19], s[46:47], 4
	v_or_b32_e32 v32, 8, v32
	s_branch .LBB255_3
.LBB255_2:                              ;   in Loop: Header=BB255_3 Depth=1
	s_add_co_i32 s2, s2, 0x10000
	flat_store_b64 v[4:5], v[2:3] offset:8
	s_cmp_lt_i32 s2, s26
	s_cbranch_scc0 .LBB255_11
.LBB255_3:                              ; =>This Loop Header: Depth=1
                                        ;     Child Loop BB255_5 Depth 2
	s_wait_xcnt 0x1
	v_mov_b32_e32 v0, s2
	s_and_b32 vcc_lo, exec_lo, s0
	s_clause 0x1
	global_load_b64 v[36:37], v0, s[42:43] scale_offset
	global_load_b64 v[38:39], v0, s[48:49] scale_offset
	s_cbranch_vccnz .LBB255_8
; %bb.4:                                ;   in Loop: Header=BB255_3 Depth=1
	s_lshl_b64 s[24:25], s[2:3], 3
	v_mov_b64_e32 v[90:91], 0
	s_add_nc_u64 s[28:29], s[10:11], s[24:25]
	s_add_nc_u64 s[24:25], s[16:17], s[24:25]
	s_clause 0x1
	global_load_b64 v[0:1], v25, s[28:29]
	global_load_b64 v[2:3], v25, s[24:25]
	v_mov_b64_e32 v[88:89], 0
	v_mov_b64_e32 v[10:11], 0
	;; [unrolled: 1-line block ×31, first 2 shown]
	s_wait_xcnt 0x0
	s_mov_b64 s[24:25], 0
	s_wait_loadcnt 0x1
	v_add_nc_u64_e32 v[40:41], v[0:1], v[32:33]
	s_wait_loadcnt 0x0
	v_add_nc_u64_e32 v[42:43], v[2:3], v[34:35]
.LBB255_5:                              ;   Parent Loop BB255_3 Depth=1
                                        ; =>  This Inner Loop Header: Depth=2
	flat_load_b128 v[0:3], v[40:41] offset:-8
	s_add_nc_u64 s[24:25], s[24:25], 4
	s_wait_xcnt 0x0
	v_add_nc_u64_e32 v[40:41], 64, v[40:41]
	v_cmp_lt_i64_e64 s27, s[24:25], s[4:5]
	s_and_b32 vcc_lo, exec_lo, s27
	s_wait_loadcnt_dscnt 0x0
	v_xor_b32_e32 v3, 0x80000000, v3
	ds_store_b128 v106, v[0:3]
	flat_load_b128 v[0:3], v[42:43] offset:-8
	s_wait_xcnt 0x0
	v_add_nc_u64_e32 v[42:43], s[12:13], v[42:43]
	s_wait_loadcnt_dscnt 0x0
	v_xor_b32_e32 v3, 0x80000000, v3
	ds_store_b128 v107, v[0:3]
	s_wait_dscnt 0x0
	s_barrier_signal -1
	s_barrier_wait -1
	ds_load_b128 v[92:95], v105
	ds_load_b128 v[96:99], v105 offset:16
	ds_load_b128 v[4:7], v105 offset:32
	;; [unrolled: 1-line block ×3, first 2 shown]
	ds_load_b128 v[100:103], v104
	s_wait_dscnt 0x0
	v_mul_f64_e32 v[108:109], v[94:95], v[102:103]
	v_mul_f64_e32 v[110:111], v[92:93], v[102:103]
	s_delay_alu instid0(VALU_DEP_2) | instskip(NEXT) | instid1(VALU_DEP_2)
	v_fma_f64 v[108:109], v[92:93], v[100:101], -v[108:109]
	v_fmac_f64_e32 v[110:111], v[94:95], v[100:101]
	s_delay_alu instid0(VALU_DEP_2) | instskip(NEXT) | instid1(VALU_DEP_2)
	v_add_f64_e32 v[112:113], v[64:65], v[108:109]
	v_add_f64_e32 v[114:115], v[110:111], v[66:67]
	ds_load_b128 v[64:67], v104 offset:256
	s_wait_dscnt 0x0
	v_mul_f64_e32 v[108:109], v[94:95], v[66:67]
	v_mul_f64_e32 v[110:111], v[92:93], v[66:67]
	s_delay_alu instid0(VALU_DEP_2) | instskip(NEXT) | instid1(VALU_DEP_2)
	v_fma_f64 v[108:109], v[92:93], v[64:65], -v[108:109]
	v_fmac_f64_e32 v[110:111], v[94:95], v[64:65]
	s_delay_alu instid0(VALU_DEP_2) | instskip(NEXT) | instid1(VALU_DEP_2)
	v_add_f64_e32 v[48:49], v[48:49], v[108:109]
	v_add_f64_e32 v[116:117], v[110:111], v[52:53]
	ds_load_b128 v[108:111], v104 offset:512
	;; [unrolled: 10-line block ×3, first 2 shown]
	s_wait_dscnt 0x0
	v_mul_f64_e32 v[52:53], v[94:95], v[46:47]
	s_delay_alu instid0(VALU_DEP_1) | instskip(SKIP_1) | instid1(VALU_DEP_1)
	v_fma_f64 v[52:53], v[92:93], v[44:45], -v[52:53]
	v_mul_f64_e32 v[92:93], v[92:93], v[46:47]
	v_fmac_f64_e32 v[92:93], v[94:95], v[44:45]
	s_delay_alu instid0(VALU_DEP_3) | instskip(NEXT) | instid1(VALU_DEP_2)
	v_add_f64_e32 v[94:95], v[20:21], v[52:53]
	v_add_f64_e32 v[92:93], v[92:93], v[22:23]
	ds_load_b128 v[20:23], v105 offset:1024
	s_wait_dscnt 0x0
	v_mul_f64_e32 v[52:53], v[22:23], v[102:103]
	v_mul_f64_e32 v[122:123], v[20:21], v[102:103]
	s_delay_alu instid0(VALU_DEP_2) | instskip(NEXT) | instid1(VALU_DEP_2)
	v_fma_f64 v[52:53], v[20:21], v[100:101], -v[52:53]
	v_fmac_f64_e32 v[122:123], v[22:23], v[100:101]
	s_delay_alu instid0(VALU_DEP_2) | instskip(SKIP_1) | instid1(VALU_DEP_3)
	v_add_f64_e32 v[84:85], v[84:85], v[52:53]
	v_mul_f64_e32 v[52:53], v[22:23], v[66:67]
	v_add_f64_e32 v[86:87], v[122:123], v[86:87]
	v_mul_f64_e32 v[122:123], v[20:21], v[66:67]
	s_delay_alu instid0(VALU_DEP_3) | instskip(NEXT) | instid1(VALU_DEP_2)
	v_fma_f64 v[52:53], v[20:21], v[64:65], -v[52:53]
	v_fmac_f64_e32 v[122:123], v[22:23], v[64:65]
	s_delay_alu instid0(VALU_DEP_2) | instskip(SKIP_2) | instid1(VALU_DEP_4)
	v_add_f64_e32 v[124:125], v[76:77], v[52:53]
	v_mul_f64_e32 v[52:53], v[22:23], v[110:111]
	v_mul_f64_e32 v[76:77], v[20:21], v[110:111]
	v_add_f64_e32 v[122:123], v[122:123], v[80:81]
	s_delay_alu instid0(VALU_DEP_3) | instskip(NEXT) | instid1(VALU_DEP_3)
	v_fma_f64 v[52:53], v[20:21], v[108:109], -v[52:53]
	v_fmac_f64_e32 v[76:77], v[22:23], v[108:109]
	s_delay_alu instid0(VALU_DEP_2) | instskip(SKIP_1) | instid1(VALU_DEP_3)
	v_add_f64_e32 v[126:127], v[68:69], v[52:53]
	v_mul_f64_e32 v[52:53], v[22:23], v[46:47]
	v_add_f64_e32 v[128:129], v[76:77], v[72:73]
	s_delay_alu instid0(VALU_DEP_2) | instskip(SKIP_1) | instid1(VALU_DEP_2)
	v_fma_f64 v[52:53], v[20:21], v[44:45], -v[52:53]
	v_mul_f64_e32 v[20:21], v[20:21], v[46:47]
	v_add_f64_e32 v[130:131], v[56:57], v[52:53]
	s_delay_alu instid0(VALU_DEP_2) | instskip(NEXT) | instid1(VALU_DEP_1)
	v_fmac_f64_e32 v[20:21], v[22:23], v[44:45]
	v_add_f64_e32 v[132:133], v[20:21], v[60:61]
	ds_load_b128 v[20:23], v105 offset:2048
	s_wait_dscnt 0x0
	v_mul_f64_e32 v[52:53], v[22:23], v[102:103]
	v_mul_f64_e32 v[56:57], v[20:21], v[102:103]
	s_delay_alu instid0(VALU_DEP_2) | instskip(NEXT) | instid1(VALU_DEP_2)
	v_fma_f64 v[52:53], v[20:21], v[100:101], -v[52:53]
	v_fmac_f64_e32 v[56:57], v[22:23], v[100:101]
	s_delay_alu instid0(VALU_DEP_2) | instskip(SKIP_1) | instid1(VALU_DEP_3)
	v_add_f64_e32 v[134:135], v[78:79], v[52:53]
	v_mul_f64_e32 v[52:53], v[22:23], v[66:67]
	v_add_f64_e32 v[136:137], v[56:57], v[82:83]
	v_mul_f64_e32 v[56:57], v[20:21], v[66:67]
	s_delay_alu instid0(VALU_DEP_3) | instskip(NEXT) | instid1(VALU_DEP_2)
	v_fma_f64 v[52:53], v[20:21], v[64:65], -v[52:53]
	v_fmac_f64_e32 v[56:57], v[22:23], v[64:65]
	s_delay_alu instid0(VALU_DEP_2) | instskip(SKIP_1) | instid1(VALU_DEP_3)
	v_add_f64_e32 v[138:139], v[70:71], v[52:53]
	v_mul_f64_e32 v[52:53], v[22:23], v[110:111]
	v_add_f64_e32 v[140:141], v[56:57], v[74:75]
	v_mul_f64_e32 v[56:57], v[20:21], v[110:111]
	s_delay_alu instid0(VALU_DEP_3) | instskip(NEXT) | instid1(VALU_DEP_2)
	v_fma_f64 v[52:53], v[20:21], v[108:109], -v[52:53]
	v_fmac_f64_e32 v[56:57], v[22:23], v[108:109]
	s_delay_alu instid0(VALU_DEP_2) | instskip(SKIP_1) | instid1(VALU_DEP_3)
	v_add_f64_e32 v[142:143], v[58:59], v[52:53]
	v_mul_f64_e32 v[52:53], v[22:23], v[46:47]
	v_add_f64_e32 v[144:145], v[56:57], v[62:63]
	s_delay_alu instid0(VALU_DEP_2) | instskip(SKIP_1) | instid1(VALU_DEP_2)
	v_fma_f64 v[52:53], v[20:21], v[44:45], -v[52:53]
	v_mul_f64_e32 v[20:21], v[20:21], v[46:47]
	v_add_f64_e32 v[146:147], v[50:51], v[52:53]
	s_delay_alu instid0(VALU_DEP_2) | instskip(NEXT) | instid1(VALU_DEP_1)
	v_fmac_f64_e32 v[20:21], v[22:23], v[44:45]
	v_add_f64_e32 v[148:149], v[20:21], v[54:55]
	ds_load_b128 v[20:23], v105 offset:3072
	s_wait_dscnt 0x0
	v_mul_f64_e32 v[50:51], v[22:23], v[102:103]
	v_mul_f64_e32 v[52:53], v[20:21], v[102:103]
	s_delay_alu instid0(VALU_DEP_2) | instskip(NEXT) | instid1(VALU_DEP_2)
	v_fma_f64 v[50:51], v[20:21], v[100:101], -v[50:51]
	v_fmac_f64_e32 v[52:53], v[22:23], v[100:101]
	s_delay_alu instid0(VALU_DEP_2) | instskip(NEXT) | instid1(VALU_DEP_2)
	v_add_f64_e32 v[72:73], v[16:17], v[50:51]
	v_add_f64_e32 v[74:75], v[52:53], v[18:19]
	v_mul_f64_e32 v[16:17], v[22:23], v[66:67]
	v_mul_f64_e32 v[18:19], v[20:21], v[66:67]
	s_delay_alu instid0(VALU_DEP_2) | instskip(NEXT) | instid1(VALU_DEP_2)
	v_fma_f64 v[16:17], v[20:21], v[64:65], -v[16:17]
	v_fmac_f64_e32 v[18:19], v[22:23], v[64:65]
	s_delay_alu instid0(VALU_DEP_2) | instskip(NEXT) | instid1(VALU_DEP_2)
	v_add_f64_e32 v[68:69], v[12:13], v[16:17]
	v_add_f64_e32 v[70:71], v[18:19], v[14:15]
	v_mul_f64_e32 v[12:13], v[22:23], v[110:111]
	v_mul_f64_e32 v[14:15], v[20:21], v[110:111]
	ds_load_b128 v[16:19], v104 offset:1280
	v_fma_f64 v[12:13], v[20:21], v[108:109], -v[12:13]
	v_fmac_f64_e32 v[14:15], v[22:23], v[108:109]
	s_delay_alu instid0(VALU_DEP_2) | instskip(NEXT) | instid1(VALU_DEP_2)
	v_add_f64_e32 v[64:65], v[8:9], v[12:13]
	v_add_f64_e32 v[66:67], v[14:15], v[10:11]
	v_mul_f64_e32 v[8:9], v[22:23], v[46:47]
	v_mul_f64_e32 v[10:11], v[20:21], v[46:47]
	ds_load_b128 v[12:15], v104 offset:1536
	v_fma_f64 v[8:9], v[20:21], v[44:45], -v[8:9]
	v_fmac_f64_e32 v[10:11], v[22:23], v[44:45]
	ds_load_b128 v[20:23], v104 offset:1024
	v_add_f64_e32 v[60:61], v[88:89], v[8:9]
	v_add_f64_e32 v[62:63], v[10:11], v[90:91]
	s_wait_dscnt 0x0
	v_mul_f64_e32 v[8:9], v[98:99], v[22:23]
	v_mul_f64_e32 v[10:11], v[96:97], v[22:23]
	ds_load_b128 v[88:91], v105 offset:1040
	s_wait_dscnt 0x0
	v_mul_f64_e32 v[76:77], v[90:91], v[22:23]
	v_mul_f64_e32 v[78:79], v[88:89], v[22:23]
	;; [unrolled: 1-line block ×4, first 2 shown]
	v_fma_f64 v[8:9], v[96:97], v[20:21], -v[8:9]
	v_fmac_f64_e32 v[10:11], v[98:99], v[20:21]
	v_fma_f64 v[76:77], v[88:89], v[20:21], -v[76:77]
	v_fmac_f64_e32 v[78:79], v[90:91], v[20:21]
	;; [unrolled: 2-line block ×3, first 2 shown]
	v_add_f64_e32 v[56:57], v[112:113], v[8:9]
	v_add_f64_e32 v[58:59], v[10:11], v[114:115]
	v_mul_f64_e32 v[8:9], v[98:99], v[18:19]
	v_mul_f64_e32 v[10:11], v[96:97], v[18:19]
	v_add_f64_e32 v[76:77], v[84:85], v[76:77]
	v_add_f64_e32 v[78:79], v[78:79], v[86:87]
	v_mul_f64_e32 v[84:85], v[90:91], v[14:15]
	v_mul_f64_e32 v[86:87], v[88:89], v[14:15]
	v_add_f64_e32 v[80:81], v[124:125], v[80:81]
	v_add_f64_e32 v[82:83], v[82:83], v[122:123]
	v_fma_f64 v[8:9], v[96:97], v[16:17], -v[8:9]
	v_fmac_f64_e32 v[10:11], v[98:99], v[16:17]
	v_fma_f64 v[84:85], v[88:89], v[12:13], -v[84:85]
	v_fmac_f64_e32 v[86:87], v[90:91], v[12:13]
	s_delay_alu instid0(VALU_DEP_4) | instskip(NEXT) | instid1(VALU_DEP_4)
	v_add_f64_e32 v[52:53], v[48:49], v[8:9]
	v_add_f64_e32 v[54:55], v[10:11], v[116:117]
	v_mul_f64_e32 v[8:9], v[98:99], v[14:15]
	v_mul_f64_e32 v[10:11], v[96:97], v[14:15]
	v_add_f64_e32 v[84:85], v[126:127], v[84:85]
	v_add_f64_e32 v[86:87], v[86:87], v[128:129]
	s_delay_alu instid0(VALU_DEP_4) | instskip(NEXT) | instid1(VALU_DEP_4)
	v_fma_f64 v[8:9], v[96:97], v[12:13], -v[8:9]
	v_fmac_f64_e32 v[10:11], v[98:99], v[12:13]
	s_delay_alu instid0(VALU_DEP_2) | instskip(NEXT) | instid1(VALU_DEP_2)
	v_add_f64_e32 v[48:49], v[120:121], v[8:9]
	v_add_f64_e32 v[50:51], v[10:11], v[118:119]
	ds_load_b128 v[8:11], v104 offset:1792
	s_wait_dscnt 0x0
	v_mul_f64_e32 v[44:45], v[98:99], v[10:11]
	v_mul_f64_e32 v[46:47], v[96:97], v[10:11]
	s_delay_alu instid0(VALU_DEP_2) | instskip(NEXT) | instid1(VALU_DEP_2)
	v_fma_f64 v[44:45], v[96:97], v[8:9], -v[44:45]
	v_fmac_f64_e32 v[46:47], v[98:99], v[8:9]
	s_delay_alu instid0(VALU_DEP_2) | instskip(NEXT) | instid1(VALU_DEP_2)
	v_add_f64_e32 v[44:45], v[94:95], v[44:45]
	v_add_f64_e32 v[46:47], v[46:47], v[92:93]
	v_mul_f64_e32 v[92:93], v[90:91], v[10:11]
	v_mul_f64_e32 v[94:95], v[88:89], v[10:11]
	s_delay_alu instid0(VALU_DEP_2) | instskip(NEXT) | instid1(VALU_DEP_2)
	v_fma_f64 v[92:93], v[88:89], v[8:9], -v[92:93]
	v_fmac_f64_e32 v[94:95], v[90:91], v[8:9]
	s_delay_alu instid0(VALU_DEP_2) | instskip(NEXT) | instid1(VALU_DEP_2)
	v_add_f64_e32 v[88:89], v[130:131], v[92:93]
	v_add_f64_e32 v[90:91], v[94:95], v[132:133]
	ds_load_b128 v[92:95], v105 offset:2064
	s_wait_dscnt 0x0
	v_mul_f64_e32 v[96:97], v[94:95], v[22:23]
	v_mul_f64_e32 v[100:101], v[94:95], v[18:19]
	;; [unrolled: 1-line block ×7, first 2 shown]
	v_fma_f64 v[96:97], v[92:93], v[20:21], -v[96:97]
	v_fma_f64 v[100:101], v[92:93], v[16:17], -v[100:101]
	;; [unrolled: 1-line block ×4, first 2 shown]
	v_mul_f64_e32 v[92:93], v[92:93], v[10:11]
	v_fmac_f64_e32 v[98:99], v[94:95], v[20:21]
	v_fmac_f64_e32 v[102:103], v[94:95], v[16:17]
	;; [unrolled: 1-line block ×3, first 2 shown]
	v_add_f64_e32 v[96:97], v[134:135], v[96:97]
	v_add_f64_e32 v[100:101], v[138:139], v[100:101]
	;; [unrolled: 1-line block ×4, first 2 shown]
	v_fmac_f64_e32 v[92:93], v[94:95], v[8:9]
	v_add_f64_e32 v[98:99], v[98:99], v[136:137]
	v_add_f64_e32 v[102:103], v[102:103], v[140:141]
	v_add_f64_e32 v[110:111], v[110:111], v[144:145]
	s_delay_alu instid0(VALU_DEP_4) | instskip(SKIP_4) | instid1(VALU_DEP_2)
	v_add_f64_e32 v[114:115], v[92:93], v[148:149]
	ds_load_b128 v[92:95], v105 offset:3088
	s_wait_dscnt 0x0
	v_mul_f64_e32 v[116:117], v[94:95], v[22:23]
	v_mul_f64_e32 v[22:23], v[92:93], v[22:23]
	v_fma_f64 v[116:117], v[92:93], v[20:21], -v[116:117]
	s_delay_alu instid0(VALU_DEP_2) | instskip(SKIP_2) | instid1(VALU_DEP_4)
	v_fmac_f64_e32 v[22:23], v[94:95], v[20:21]
	v_mul_f64_e32 v[20:21], v[94:95], v[18:19]
	v_mul_f64_e32 v[18:19], v[92:93], v[18:19]
	v_add_f64_e32 v[72:73], v[72:73], v[116:117]
	s_delay_alu instid0(VALU_DEP_4) | instskip(NEXT) | instid1(VALU_DEP_4)
	v_add_f64_e32 v[74:75], v[22:23], v[74:75]
	v_fma_f64 v[20:21], v[92:93], v[16:17], -v[20:21]
	s_delay_alu instid0(VALU_DEP_4) | instskip(SKIP_2) | instid1(VALU_DEP_4)
	v_fmac_f64_e32 v[18:19], v[94:95], v[16:17]
	v_mul_f64_e32 v[16:17], v[94:95], v[14:15]
	v_mul_f64_e32 v[14:15], v[92:93], v[14:15]
	v_add_f64_e32 v[68:69], v[68:69], v[20:21]
	s_delay_alu instid0(VALU_DEP_4) | instskip(NEXT) | instid1(VALU_DEP_4)
	v_add_f64_e32 v[70:71], v[18:19], v[70:71]
	v_fma_f64 v[16:17], v[92:93], v[12:13], -v[16:17]
	s_delay_alu instid0(VALU_DEP_4) | instskip(SKIP_2) | instid1(VALU_DEP_4)
	v_fmac_f64_e32 v[14:15], v[94:95], v[12:13]
	v_mul_f64_e32 v[12:13], v[94:95], v[10:11]
	v_mul_f64_e32 v[10:11], v[92:93], v[10:11]
	v_add_f64_e32 v[64:65], v[64:65], v[16:17]
	s_delay_alu instid0(VALU_DEP_4) | instskip(NEXT) | instid1(VALU_DEP_4)
	v_add_f64_e32 v[66:67], v[14:15], v[66:67]
	v_fma_f64 v[12:13], v[92:93], v[8:9], -v[12:13]
	s_delay_alu instid0(VALU_DEP_4) | instskip(NEXT) | instid1(VALU_DEP_2)
	v_fmac_f64_e32 v[10:11], v[94:95], v[8:9]
	v_add_f64_e32 v[60:61], v[60:61], v[12:13]
	s_delay_alu instid0(VALU_DEP_2) | instskip(SKIP_4) | instid1(VALU_DEP_2)
	v_add_f64_e32 v[62:63], v[10:11], v[62:63]
	ds_load_b128 v[8:11], v104 offset:2048
	s_wait_dscnt 0x0
	v_mul_f64_e32 v[12:13], v[6:7], v[10:11]
	v_mul_f64_e32 v[14:15], v[4:5], v[10:11]
	v_fma_f64 v[12:13], v[4:5], v[8:9], -v[12:13]
	s_delay_alu instid0(VALU_DEP_2) | instskip(NEXT) | instid1(VALU_DEP_2)
	v_fmac_f64_e32 v[14:15], v[6:7], v[8:9]
	v_add_f64_e32 v[56:57], v[56:57], v[12:13]
	s_delay_alu instid0(VALU_DEP_2) | instskip(SKIP_4) | instid1(VALU_DEP_2)
	v_add_f64_e32 v[58:59], v[14:15], v[58:59]
	ds_load_b128 v[12:15], v104 offset:2304
	s_wait_dscnt 0x0
	v_mul_f64_e32 v[16:17], v[6:7], v[14:15]
	v_mul_f64_e32 v[18:19], v[4:5], v[14:15]
	v_fma_f64 v[16:17], v[4:5], v[12:13], -v[16:17]
	s_delay_alu instid0(VALU_DEP_2) | instskip(NEXT) | instid1(VALU_DEP_2)
	;; [unrolled: 10-line block ×3, first 2 shown]
	v_fmac_f64_e32 v[22:23], v[6:7], v[16:17]
	v_add_f64_e32 v[116:117], v[48:49], v[20:21]
	s_delay_alu instid0(VALU_DEP_2) | instskip(SKIP_3) | instid1(VALU_DEP_1)
	v_add_f64_e32 v[50:51], v[22:23], v[50:51]
	ds_load_b128 v[20:23], v104 offset:2816
	s_wait_dscnt 0x0
	v_mul_f64_e32 v[48:49], v[6:7], v[22:23]
	v_fma_f64 v[48:49], v[4:5], v[20:21], -v[48:49]
	v_mul_f64_e32 v[4:5], v[4:5], v[22:23]
	s_delay_alu instid0(VALU_DEP_2) | instskip(NEXT) | instid1(VALU_DEP_2)
	v_add_f64_e32 v[118:119], v[44:45], v[48:49]
	v_fmac_f64_e32 v[4:5], v[6:7], v[20:21]
	s_delay_alu instid0(VALU_DEP_1) | instskip(SKIP_4) | instid1(VALU_DEP_2)
	v_add_f64_e32 v[120:121], v[4:5], v[46:47]
	ds_load_b128 v[4:7], v105 offset:1056
	s_wait_dscnt 0x0
	v_mul_f64_e32 v[44:45], v[6:7], v[10:11]
	v_mul_f64_e32 v[46:47], v[4:5], v[10:11]
	v_fma_f64 v[44:45], v[4:5], v[8:9], -v[44:45]
	s_delay_alu instid0(VALU_DEP_2) | instskip(NEXT) | instid1(VALU_DEP_2)
	v_fmac_f64_e32 v[46:47], v[6:7], v[8:9]
	v_add_f64_e32 v[76:77], v[76:77], v[44:45]
	v_mul_f64_e32 v[44:45], v[6:7], v[14:15]
	s_delay_alu instid0(VALU_DEP_3) | instskip(SKIP_1) | instid1(VALU_DEP_3)
	v_add_f64_e32 v[78:79], v[46:47], v[78:79]
	v_mul_f64_e32 v[46:47], v[4:5], v[14:15]
	v_fma_f64 v[44:45], v[4:5], v[12:13], -v[44:45]
	s_delay_alu instid0(VALU_DEP_2) | instskip(NEXT) | instid1(VALU_DEP_2)
	v_fmac_f64_e32 v[46:47], v[6:7], v[12:13]
	v_add_f64_e32 v[80:81], v[80:81], v[44:45]
	v_mul_f64_e32 v[44:45], v[6:7], v[18:19]
	s_delay_alu instid0(VALU_DEP_3) | instskip(SKIP_1) | instid1(VALU_DEP_3)
	v_add_f64_e32 v[82:83], v[46:47], v[82:83]
	v_mul_f64_e32 v[46:47], v[4:5], v[18:19]
	v_fma_f64 v[44:45], v[4:5], v[16:17], -v[44:45]
	s_delay_alu instid0(VALU_DEP_2) | instskip(NEXT) | instid1(VALU_DEP_2)
	v_fmac_f64_e32 v[46:47], v[6:7], v[16:17]
	v_add_f64_e32 v[122:123], v[84:85], v[44:45]
	v_mul_f64_e32 v[44:45], v[6:7], v[22:23]
	s_delay_alu instid0(VALU_DEP_3) | instskip(NEXT) | instid1(VALU_DEP_2)
	v_add_f64_e32 v[124:125], v[46:47], v[86:87]
	v_fma_f64 v[44:45], v[4:5], v[20:21], -v[44:45]
	v_mul_f64_e32 v[4:5], v[4:5], v[22:23]
	s_delay_alu instid0(VALU_DEP_2) | instskip(NEXT) | instid1(VALU_DEP_2)
	v_add_f64_e32 v[126:127], v[88:89], v[44:45]
	v_fmac_f64_e32 v[4:5], v[6:7], v[20:21]
	s_delay_alu instid0(VALU_DEP_1) | instskip(SKIP_4) | instid1(VALU_DEP_2)
	v_add_f64_e32 v[128:129], v[4:5], v[90:91]
	ds_load_b128 v[4:7], v105 offset:2080
	s_wait_dscnt 0x0
	v_mul_f64_e32 v[44:45], v[6:7], v[10:11]
	v_mul_f64_e32 v[46:47], v[4:5], v[10:11]
	v_fma_f64 v[44:45], v[4:5], v[8:9], -v[44:45]
	s_delay_alu instid0(VALU_DEP_2) | instskip(NEXT) | instid1(VALU_DEP_2)
	v_fmac_f64_e32 v[46:47], v[6:7], v[8:9]
	v_add_f64_e32 v[130:131], v[96:97], v[44:45]
	v_mul_f64_e32 v[44:45], v[6:7], v[14:15]
	s_delay_alu instid0(VALU_DEP_3) | instskip(SKIP_1) | instid1(VALU_DEP_3)
	v_add_f64_e32 v[132:133], v[46:47], v[98:99]
	v_mul_f64_e32 v[46:47], v[4:5], v[14:15]
	v_fma_f64 v[44:45], v[4:5], v[12:13], -v[44:45]
	s_delay_alu instid0(VALU_DEP_2) | instskip(NEXT) | instid1(VALU_DEP_2)
	v_fmac_f64_e32 v[46:47], v[6:7], v[12:13]
	v_add_f64_e32 v[134:135], v[100:101], v[44:45]
	v_mul_f64_e32 v[44:45], v[6:7], v[18:19]
	s_delay_alu instid0(VALU_DEP_3) | instskip(SKIP_1) | instid1(VALU_DEP_3)
	v_add_f64_e32 v[136:137], v[46:47], v[102:103]
	v_mul_f64_e32 v[46:47], v[4:5], v[18:19]
	v_fma_f64 v[44:45], v[4:5], v[16:17], -v[44:45]
	s_delay_alu instid0(VALU_DEP_2) | instskip(NEXT) | instid1(VALU_DEP_2)
	v_fmac_f64_e32 v[46:47], v[6:7], v[16:17]
	v_add_f64_e32 v[108:109], v[108:109], v[44:45]
	v_mul_f64_e32 v[44:45], v[6:7], v[22:23]
	s_delay_alu instid0(VALU_DEP_3) | instskip(NEXT) | instid1(VALU_DEP_2)
	v_add_f64_e32 v[110:111], v[46:47], v[110:111]
	v_fma_f64 v[44:45], v[4:5], v[20:21], -v[44:45]
	v_mul_f64_e32 v[4:5], v[4:5], v[22:23]
	s_delay_alu instid0(VALU_DEP_2) | instskip(NEXT) | instid1(VALU_DEP_2)
	v_add_f64_e32 v[112:113], v[112:113], v[44:45]
	v_fmac_f64_e32 v[4:5], v[6:7], v[20:21]
	s_delay_alu instid0(VALU_DEP_1) | instskip(SKIP_4) | instid1(VALU_DEP_2)
	v_add_f64_e32 v[114:115], v[4:5], v[114:115]
	ds_load_b128 v[4:7], v105 offset:3104
	s_wait_dscnt 0x0
	v_mul_f64_e32 v[44:45], v[6:7], v[10:11]
	v_mul_f64_e32 v[10:11], v[4:5], v[10:11]
	v_fma_f64 v[44:45], v[4:5], v[8:9], -v[44:45]
	s_delay_alu instid0(VALU_DEP_2) | instskip(SKIP_1) | instid1(VALU_DEP_3)
	v_fmac_f64_e32 v[10:11], v[6:7], v[8:9]
	v_mul_f64_e32 v[8:9], v[6:7], v[14:15]
	v_add_f64_e32 v[100:101], v[72:73], v[44:45]
	s_delay_alu instid0(VALU_DEP_3) | instskip(NEXT) | instid1(VALU_DEP_3)
	v_add_f64_e32 v[102:103], v[10:11], v[74:75]
	v_fma_f64 v[8:9], v[4:5], v[12:13], -v[8:9]
	v_mul_f64_e32 v[10:11], v[4:5], v[14:15]
	s_delay_alu instid0(VALU_DEP_2) | instskip(SKIP_1) | instid1(VALU_DEP_3)
	v_add_f64_e32 v[96:97], v[68:69], v[8:9]
	v_mul_f64_e32 v[8:9], v[6:7], v[18:19]
	v_fmac_f64_e32 v[10:11], v[6:7], v[12:13]
	ds_load_b128 v[12:15], v104 offset:3328
	v_fma_f64 v[8:9], v[4:5], v[16:17], -v[8:9]
	v_add_f64_e32 v[98:99], v[10:11], v[70:71]
	v_mul_f64_e32 v[10:11], v[4:5], v[18:19]
	s_delay_alu instid0(VALU_DEP_3) | instskip(SKIP_1) | instid1(VALU_DEP_3)
	v_add_f64_e32 v[92:93], v[64:65], v[8:9]
	v_mul_f64_e32 v[8:9], v[6:7], v[22:23]
	v_fmac_f64_e32 v[10:11], v[6:7], v[16:17]
	ds_load_b128 v[16:19], v104 offset:3072
	v_fma_f64 v[8:9], v[4:5], v[20:21], -v[8:9]
	v_mul_f64_e32 v[4:5], v[4:5], v[22:23]
	v_add_f64_e32 v[94:95], v[10:11], v[66:67]
	s_delay_alu instid0(VALU_DEP_3) | instskip(NEXT) | instid1(VALU_DEP_3)
	v_add_f64_e32 v[88:89], v[60:61], v[8:9]
	v_fmac_f64_e32 v[4:5], v[6:7], v[20:21]
	s_wait_dscnt 0x0
	v_mul_f64_e32 v[6:7], v[0:1], v[18:19]
	ds_load_b128 v[8:11], v104 offset:3584
	v_add_f64_e32 v[90:91], v[4:5], v[62:63]
	v_mul_f64_e32 v[4:5], v[2:3], v[18:19]
	v_fmac_f64_e32 v[6:7], v[2:3], v[16:17]
	s_delay_alu instid0(VALU_DEP_2) | instskip(NEXT) | instid1(VALU_DEP_2)
	v_fma_f64 v[4:5], v[0:1], v[16:17], -v[4:5]
	v_add_f64_e32 v[66:67], v[6:7], v[58:59]
	v_mul_f64_e32 v[6:7], v[0:1], v[14:15]
	s_delay_alu instid0(VALU_DEP_3) | instskip(SKIP_1) | instid1(VALU_DEP_3)
	v_add_f64_e32 v[64:65], v[56:57], v[4:5]
	v_mul_f64_e32 v[4:5], v[2:3], v[14:15]
	v_fmac_f64_e32 v[6:7], v[2:3], v[12:13]
	s_delay_alu instid0(VALU_DEP_2) | instskip(NEXT) | instid1(VALU_DEP_1)
	v_fma_f64 v[4:5], v[0:1], v[12:13], -v[4:5]
	v_add_f64_e32 v[48:49], v[52:53], v[4:5]
	s_delay_alu instid0(VALU_DEP_3) | instskip(SKIP_3) | instid1(VALU_DEP_2)
	v_add_f64_e32 v[52:53], v[6:7], v[54:55]
	s_wait_dscnt 0x0
	v_mul_f64_e32 v[4:5], v[2:3], v[10:11]
	v_mul_f64_e32 v[6:7], v[0:1], v[10:11]
	v_fma_f64 v[4:5], v[0:1], v[8:9], -v[4:5]
	s_delay_alu instid0(VALU_DEP_2) | instskip(NEXT) | instid1(VALU_DEP_2)
	v_fmac_f64_e32 v[6:7], v[2:3], v[8:9]
	v_add_f64_e32 v[44:45], v[116:117], v[4:5]
	s_delay_alu instid0(VALU_DEP_2) | instskip(SKIP_3) | instid1(VALU_DEP_1)
	v_add_f64_e32 v[46:47], v[6:7], v[50:51]
	ds_load_b128 v[4:7], v104 offset:3840
	s_wait_dscnt 0x0
	v_mul_f64_e32 v[20:21], v[2:3], v[6:7]
	v_fma_f64 v[20:21], v[0:1], v[4:5], -v[20:21]
	v_mul_f64_e32 v[0:1], v[0:1], v[6:7]
	s_delay_alu instid0(VALU_DEP_2) | instskip(NEXT) | instid1(VALU_DEP_2)
	v_add_f64_e32 v[20:21], v[118:119], v[20:21]
	v_fmac_f64_e32 v[0:1], v[2:3], v[4:5]
	s_delay_alu instid0(VALU_DEP_1) | instskip(SKIP_4) | instid1(VALU_DEP_2)
	v_add_f64_e32 v[22:23], v[0:1], v[120:121]
	ds_load_b128 v[0:3], v105 offset:1072
	s_wait_dscnt 0x0
	v_mul_f64_e32 v[50:51], v[2:3], v[18:19]
	v_mul_f64_e32 v[54:55], v[0:1], v[18:19]
	v_fma_f64 v[50:51], v[0:1], v[16:17], -v[50:51]
	s_delay_alu instid0(VALU_DEP_2) | instskip(NEXT) | instid1(VALU_DEP_2)
	v_fmac_f64_e32 v[54:55], v[2:3], v[16:17]
	v_add_f64_e32 v[84:85], v[76:77], v[50:51]
	v_mul_f64_e32 v[50:51], v[2:3], v[14:15]
	s_delay_alu instid0(VALU_DEP_3) | instskip(SKIP_1) | instid1(VALU_DEP_3)
	v_add_f64_e32 v[86:87], v[54:55], v[78:79]
	v_mul_f64_e32 v[54:55], v[0:1], v[14:15]
	v_fma_f64 v[50:51], v[0:1], v[12:13], -v[50:51]
	s_delay_alu instid0(VALU_DEP_2) | instskip(NEXT) | instid1(VALU_DEP_2)
	v_fmac_f64_e32 v[54:55], v[2:3], v[12:13]
	v_add_f64_e32 v[76:77], v[80:81], v[50:51]
	v_mul_f64_e32 v[50:51], v[2:3], v[10:11]
	s_delay_alu instid0(VALU_DEP_3) | instskip(SKIP_1) | instid1(VALU_DEP_3)
	v_add_f64_e32 v[80:81], v[54:55], v[82:83]
	v_mul_f64_e32 v[54:55], v[0:1], v[10:11]
	v_fma_f64 v[50:51], v[0:1], v[8:9], -v[50:51]
	s_delay_alu instid0(VALU_DEP_2) | instskip(NEXT) | instid1(VALU_DEP_2)
	v_fmac_f64_e32 v[54:55], v[2:3], v[8:9]
	v_add_f64_e32 v[68:69], v[122:123], v[50:51]
	v_mul_f64_e32 v[50:51], v[2:3], v[6:7]
	s_delay_alu instid0(VALU_DEP_3) | instskip(NEXT) | instid1(VALU_DEP_2)
	v_add_f64_e32 v[72:73], v[54:55], v[124:125]
	v_fma_f64 v[50:51], v[0:1], v[4:5], -v[50:51]
	v_mul_f64_e32 v[0:1], v[0:1], v[6:7]
	s_delay_alu instid0(VALU_DEP_2) | instskip(NEXT) | instid1(VALU_DEP_2)
	v_add_f64_e32 v[56:57], v[126:127], v[50:51]
	v_fmac_f64_e32 v[0:1], v[2:3], v[4:5]
	s_delay_alu instid0(VALU_DEP_1) | instskip(SKIP_4) | instid1(VALU_DEP_2)
	v_add_f64_e32 v[60:61], v[0:1], v[128:129]
	ds_load_b128 v[0:3], v105 offset:2096
	s_wait_dscnt 0x0
	v_mul_f64_e32 v[50:51], v[2:3], v[18:19]
	v_mul_f64_e32 v[54:55], v[0:1], v[18:19]
	v_fma_f64 v[50:51], v[0:1], v[16:17], -v[50:51]
	s_delay_alu instid0(VALU_DEP_2) | instskip(NEXT) | instid1(VALU_DEP_2)
	v_fmac_f64_e32 v[54:55], v[2:3], v[16:17]
	v_add_f64_e32 v[78:79], v[130:131], v[50:51]
	v_mul_f64_e32 v[50:51], v[2:3], v[14:15]
	s_delay_alu instid0(VALU_DEP_3) | instskip(SKIP_1) | instid1(VALU_DEP_3)
	v_add_f64_e32 v[82:83], v[54:55], v[132:133]
	v_mul_f64_e32 v[54:55], v[0:1], v[14:15]
	v_fma_f64 v[50:51], v[0:1], v[12:13], -v[50:51]
	s_delay_alu instid0(VALU_DEP_2) | instskip(NEXT) | instid1(VALU_DEP_2)
	v_fmac_f64_e32 v[54:55], v[2:3], v[12:13]
	v_add_f64_e32 v[70:71], v[134:135], v[50:51]
	v_mul_f64_e32 v[50:51], v[2:3], v[10:11]
	s_delay_alu instid0(VALU_DEP_3) | instskip(SKIP_1) | instid1(VALU_DEP_3)
	v_add_f64_e32 v[74:75], v[54:55], v[136:137]
	v_mul_f64_e32 v[54:55], v[0:1], v[10:11]
	v_fma_f64 v[50:51], v[0:1], v[8:9], -v[50:51]
	s_delay_alu instid0(VALU_DEP_2) | instskip(NEXT) | instid1(VALU_DEP_2)
	v_fmac_f64_e32 v[54:55], v[2:3], v[8:9]
	v_add_f64_e32 v[58:59], v[108:109], v[50:51]
	v_mul_f64_e32 v[50:51], v[2:3], v[6:7]
	s_delay_alu instid0(VALU_DEP_3) | instskip(NEXT) | instid1(VALU_DEP_2)
	v_add_f64_e32 v[62:63], v[54:55], v[110:111]
	v_fma_f64 v[50:51], v[0:1], v[4:5], -v[50:51]
	v_mul_f64_e32 v[0:1], v[0:1], v[6:7]
	s_delay_alu instid0(VALU_DEP_2) | instskip(NEXT) | instid1(VALU_DEP_2)
	v_add_f64_e32 v[50:51], v[112:113], v[50:51]
	v_fmac_f64_e32 v[0:1], v[2:3], v[4:5]
	s_delay_alu instid0(VALU_DEP_1)
	v_add_f64_e32 v[54:55], v[0:1], v[114:115]
	ds_load_b128 v[0:3], v105 offset:3120
	s_wait_dscnt 0x0
	s_barrier_signal -1
	s_barrier_wait -1
	v_mul_f64_e32 v[108:109], v[2:3], v[18:19]
	v_mul_f64_e32 v[18:19], v[0:1], v[18:19]
	s_delay_alu instid0(VALU_DEP_2) | instskip(NEXT) | instid1(VALU_DEP_2)
	v_fma_f64 v[108:109], v[0:1], v[16:17], -v[108:109]
	v_fmac_f64_e32 v[18:19], v[2:3], v[16:17]
	s_delay_alu instid0(VALU_DEP_2) | instskip(SKIP_2) | instid1(VALU_DEP_4)
	v_add_f64_e32 v[16:17], v[100:101], v[108:109]
	v_mul_f64_e32 v[100:101], v[2:3], v[14:15]
	v_mul_f64_e32 v[14:15], v[0:1], v[14:15]
	v_add_f64_e32 v[18:19], v[18:19], v[102:103]
	s_delay_alu instid0(VALU_DEP_3) | instskip(NEXT) | instid1(VALU_DEP_3)
	v_fma_f64 v[100:101], v[0:1], v[12:13], -v[100:101]
	v_fmac_f64_e32 v[14:15], v[2:3], v[12:13]
	s_delay_alu instid0(VALU_DEP_2) | instskip(SKIP_2) | instid1(VALU_DEP_4)
	v_add_f64_e32 v[12:13], v[96:97], v[100:101]
	v_mul_f64_e32 v[96:97], v[2:3], v[10:11]
	v_mul_f64_e32 v[10:11], v[0:1], v[10:11]
	v_add_f64_e32 v[14:15], v[14:15], v[98:99]
	s_delay_alu instid0(VALU_DEP_3) | instskip(NEXT) | instid1(VALU_DEP_3)
	v_fma_f64 v[96:97], v[0:1], v[8:9], -v[96:97]
	v_fmac_f64_e32 v[10:11], v[2:3], v[8:9]
	s_delay_alu instid0(VALU_DEP_2) | instskip(SKIP_1) | instid1(VALU_DEP_3)
	v_add_f64_e32 v[8:9], v[92:93], v[96:97]
	v_mul_f64_e32 v[92:93], v[2:3], v[6:7]
	v_add_f64_e32 v[10:11], v[10:11], v[94:95]
	s_delay_alu instid0(VALU_DEP_2) | instskip(SKIP_1) | instid1(VALU_DEP_2)
	v_fma_f64 v[92:93], v[0:1], v[4:5], -v[92:93]
	v_mul_f64_e32 v[0:1], v[0:1], v[6:7]
	v_add_f64_e32 v[88:89], v[88:89], v[92:93]
	s_delay_alu instid0(VALU_DEP_2) | instskip(NEXT) | instid1(VALU_DEP_1)
	v_fmac_f64_e32 v[0:1], v[2:3], v[4:5]
	v_add_f64_e32 v[90:91], v[0:1], v[90:91]
	s_cbranch_vccnz .LBB255_5
; %bb.6:                                ;   in Loop: Header=BB255_3 Depth=1
	v_add_nc_u64_e32 v[0:1], s[14:15], v[38:39]
	s_and_not1_b32 vcc_lo, exec_lo, s1
	s_mov_b32 s24, -1
                                        ; implicit-def: $vgpr2_vgpr3
                                        ; implicit-def: $vgpr4_vgpr5
	s_cbranch_vccnz .LBB255_9
.LBB255_7:                              ;   in Loop: Header=BB255_3 Depth=1
	v_mul_f64_e32 v[2:3], s[8:9], v[66:67]
	v_mul_f64_e32 v[42:43], s[8:9], v[46:47]
	;; [unrolled: 1-line block ×30, first 2 shown]
	v_lshlrev_b64_e32 v[148:149], 4, v[30:31]
	v_lshl_add_u64 v[150:151], v[26:27], 4, v[0:1]
	v_fma_f64 v[4:5], s[6:7], v[64:65], -v[2:3]
	v_mul_f64_e32 v[2:3], s[6:7], v[90:91]
	v_fma_f64 v[92:93], s[6:7], v[44:45], -v[42:43]
	v_mul_f64_e32 v[42:43], s[8:9], v[90:91]
	v_fmac_f64_e32 v[6:7], s[8:9], v[64:65]
	v_fma_f64 v[38:39], s[6:7], v[48:49], -v[38:39]
	v_fmac_f64_e32 v[40:41], s[8:9], v[48:49]
	v_add_nc_u64_e32 v[152:153], v[150:151], v[148:149]
	v_add_nc_u64_e32 v[150:151], s[22:23], v[150:151]
	v_fma_f64 v[100:101], s[6:7], v[84:85], -v[100:101]
	v_fma_f64 v[128:129], s[6:7], v[58:59], -v[128:129]
	v_fmac_f64_e32 v[94:95], s[8:9], v[44:45]
	v_fma_f64 v[144:145], s[6:7], v[8:9], -v[144:145]
	v_fmac_f64_e32 v[102:103], s[8:9], v[84:85]
	v_fmac_f64_e32 v[130:131], s[8:9], v[58:59]
	;; [unrolled: 1-line block ×3, first 2 shown]
	v_fma_f64 v[96:97], s[6:7], v[20:21], -v[96:97]
	v_fma_f64 v[108:109], s[6:7], v[76:77], -v[108:109]
	;; [unrolled: 1-line block ×3, first 2 shown]
	v_fmac_f64_e32 v[98:99], s[8:9], v[20:21]
	v_fmac_f64_e32 v[110:111], s[8:9], v[76:77]
	;; [unrolled: 1-line block ×3, first 2 shown]
	v_fma_f64 v[112:113], s[6:7], v[68:69], -v[112:113]
	v_fma_f64 v[136:137], s[6:7], v[16:17], -v[136:137]
	v_fmac_f64_e32 v[114:115], s[8:9], v[68:69]
	v_fmac_f64_e32 v[138:139], s[8:9], v[16:17]
	v_fma_f64 v[116:117], s[6:7], v[56:57], -v[116:117]
	v_fma_f64 v[140:141], s[6:7], v[12:13], -v[140:141]
	v_fmac_f64_e32 v[118:119], s[8:9], v[56:57]
	v_fmac_f64_e32 v[142:143], s[8:9], v[12:13]
	v_fma_f64 v[120:121], s[6:7], v[78:79], -v[120:121]
	v_fmac_f64_e32 v[122:123], s[8:9], v[78:79]
	v_fma_f64 v[124:125], s[6:7], v[70:71], -v[124:125]
	v_fmac_f64_e32 v[2:3], s[8:9], v[88:89]
	v_fmac_f64_e32 v[126:127], s[8:9], v[70:71]
	v_fma_f64 v[42:43], s[6:7], v[88:89], -v[42:43]
	flat_store_b128 v[152:153], v[4:7]
	s_wait_xcnt 0x0
	v_add_nc_u64_e32 v[4:5], s[22:23], v[150:151]
	v_add_nc_u64_e32 v[150:151], v[150:151], v[148:149]
	flat_store_b128 v[152:153], v[38:41] offset:256
	s_clause 0x1
	flat_store_b128 v[152:153], v[92:95] offset:512
	flat_store_b128 v[152:153], v[96:99] offset:768
	v_add_nc_u64_e32 v[6:7], s[22:23], v[4:5]
	s_wait_xcnt 0x2
	v_add_nc_u64_e32 v[38:39], v[4:5], v[148:149]
	s_clause 0x5
	flat_store_b128 v[150:151], v[100:103]
	flat_store_b128 v[150:151], v[108:111] offset:256
	flat_store_b128 v[150:151], v[112:115] offset:512
	;; [unrolled: 1-line block ×3, first 2 shown]
	flat_store_b128 v[38:39], v[120:123]
	flat_store_b128 v[38:39], v[124:127] offset:256
	v_add_nc_u64_e32 v[6:7], v[6:7], v[148:149]
	s_clause 0x5
	flat_store_b128 v[38:39], v[128:131] offset:512
	flat_store_b128 v[38:39], v[132:135] offset:768
	flat_store_b128 v[6:7], v[136:139]
	flat_store_b128 v[6:7], v[140:143] offset:256
	flat_store_b128 v[6:7], v[144:147] offset:512
	flat_store_b64 v[6:7], v[42:43] offset:768
	v_add_nc_u64_e32 v[4:5], 0x300, v[6:7]
	s_cbranch_execnz .LBB255_2
	s_branch .LBB255_10
.LBB255_8:                              ;   in Loop: Header=BB255_3 Depth=1
	v_mov_b64_e32 v[64:65], 0
	v_mov_b64_e32 v[66:67], 0
	;; [unrolled: 1-line block ×32, first 2 shown]
	s_wait_loadcnt 0x0
	s_wait_xcnt 0x0
	v_add_nc_u64_e32 v[0:1], s[14:15], v[38:39]
	s_and_not1_b32 vcc_lo, exec_lo, s1
	s_mov_b32 s24, -1
                                        ; implicit-def: $vgpr2_vgpr3
                                        ; implicit-def: $vgpr4_vgpr5
	s_cbranch_vccz .LBB255_7
.LBB255_9:                              ;   in Loop: Header=BB255_3 Depth=1
	s_and_not1_b32 vcc_lo, exec_lo, s24
	s_cbranch_vccnz .LBB255_2
.LBB255_10:                             ;   in Loop: Header=BB255_3 Depth=1
	v_add_nc_u64_e32 v[2:3], s[18:19], v[36:37]
	s_wait_xcnt 0x0
	v_lshlrev_b64_e32 v[6:7], 4, v[30:31]
	v_mul_f64_e32 v[40:41], s[8:9], v[66:67]
	v_mul_f64_e32 v[42:43], s[6:7], v[66:67]
	s_delay_alu instid0(VALU_DEP_4) | instskip(NEXT) | instid1(VALU_DEP_1)
	v_lshl_add_u64 v[36:37], v[28:29], 4, v[2:3]
	v_add_nc_u64_e32 v[38:39], v[36:37], v[6:7]
	flat_load_b128 v[2:5], v[38:39]
	v_fma_f64 v[40:41], s[6:7], v[64:65], -v[40:41]
	v_fmac_f64_e32 v[42:43], s[8:9], v[64:65]
	s_wait_loadcnt_dscnt 0x0
	v_mul_f64_e32 v[66:67], s[40:41], v[4:5]
	v_mul_f64_e32 v[4:5], s[38:39], v[4:5]
	s_delay_alu instid0(VALU_DEP_2) | instskip(NEXT) | instid1(VALU_DEP_2)
	v_fma_f64 v[64:65], s[38:39], v[2:3], -v[66:67]
	v_fmac_f64_e32 v[4:5], s[40:41], v[2:3]
	s_delay_alu instid0(VALU_DEP_2) | instskip(NEXT) | instid1(VALU_DEP_2)
	v_add_f64_e32 v[2:3], v[40:41], v[64:65]
	v_add_f64_e32 v[4:5], v[42:43], v[4:5]
	v_lshl_add_u64 v[40:41], v[26:27], 4, v[0:1]
	s_delay_alu instid0(VALU_DEP_1) | instskip(SKIP_4) | instid1(VALU_DEP_2)
	v_add_nc_u64_e32 v[42:43], v[40:41], v[6:7]
	flat_store_b128 v[42:43], v[2:5]
	flat_load_b128 v[0:3], v[38:39] offset:256
	v_mul_f64_e32 v[4:5], s[8:9], v[52:53]
	v_mul_f64_e32 v[52:53], s[6:7], v[52:53]
	v_fma_f64 v[4:5], s[6:7], v[48:49], -v[4:5]
	s_delay_alu instid0(VALU_DEP_2) | instskip(SKIP_3) | instid1(VALU_DEP_2)
	v_fmac_f64_e32 v[52:53], s[8:9], v[48:49]
	s_wait_loadcnt_dscnt 0x0
	v_mul_f64_e32 v[64:65], s[40:41], v[2:3]
	v_mul_f64_e32 v[2:3], s[38:39], v[2:3]
	v_fma_f64 v[48:49], s[38:39], v[0:1], -v[64:65]
	s_delay_alu instid0(VALU_DEP_2) | instskip(NEXT) | instid1(VALU_DEP_2)
	v_fmac_f64_e32 v[2:3], s[40:41], v[0:1]
	v_add_f64_e32 v[0:1], v[4:5], v[48:49]
	s_delay_alu instid0(VALU_DEP_2)
	v_add_f64_e32 v[2:3], v[52:53], v[2:3]
	v_mul_f64_e32 v[4:5], s[8:9], v[46:47]
	v_mul_f64_e32 v[46:47], s[6:7], v[46:47]
	flat_store_b128 v[42:43], v[0:3] offset:256
	flat_load_b128 v[0:3], v[38:39] offset:512
	v_fma_f64 v[4:5], s[6:7], v[44:45], -v[4:5]
	v_fmac_f64_e32 v[46:47], s[8:9], v[44:45]
	s_wait_loadcnt_dscnt 0x0
	v_mul_f64_e32 v[48:49], s[40:41], v[2:3]
	v_mul_f64_e32 v[2:3], s[38:39], v[2:3]
	s_delay_alu instid0(VALU_DEP_2) | instskip(NEXT) | instid1(VALU_DEP_2)
	v_fma_f64 v[44:45], s[38:39], v[0:1], -v[48:49]
	v_fmac_f64_e32 v[2:3], s[40:41], v[0:1]
	s_delay_alu instid0(VALU_DEP_2) | instskip(NEXT) | instid1(VALU_DEP_2)
	v_add_f64_e32 v[0:1], v[4:5], v[44:45]
	v_add_f64_e32 v[2:3], v[46:47], v[2:3]
	v_mul_f64_e32 v[4:5], s[8:9], v[22:23]
	v_mul_f64_e32 v[22:23], s[6:7], v[22:23]
	flat_store_b128 v[42:43], v[0:3] offset:512
	flat_load_b128 v[0:3], v[38:39] offset:768
	v_fma_f64 v[4:5], s[6:7], v[20:21], -v[4:5]
	v_fmac_f64_e32 v[22:23], s[8:9], v[20:21]
	s_wait_loadcnt_dscnt 0x0
	s_wait_xcnt 0x0
	v_mul_f64_e32 v[38:39], s[40:41], v[2:3]
	v_mul_f64_e32 v[2:3], s[38:39], v[2:3]
	s_delay_alu instid0(VALU_DEP_2) | instskip(NEXT) | instid1(VALU_DEP_2)
	v_fma_f64 v[20:21], s[38:39], v[0:1], -v[38:39]
	v_fmac_f64_e32 v[2:3], s[40:41], v[0:1]
	s_delay_alu instid0(VALU_DEP_2) | instskip(NEXT) | instid1(VALU_DEP_2)
	v_add_f64_e32 v[0:1], v[4:5], v[20:21]
	v_add_f64_e32 v[2:3], v[22:23], v[2:3]
	v_add_nc_u64_e32 v[4:5], s[20:21], v[36:37]
	v_mul_f64_e32 v[22:23], s[8:9], v[86:87]
	v_mul_f64_e32 v[36:37], s[6:7], v[86:87]
	s_delay_alu instid0(VALU_DEP_3)
	v_add_nc_u64_e32 v[20:21], v[4:5], v[6:7]
	v_add_nc_u64_e32 v[4:5], s[20:21], v[4:5]
	flat_store_b128 v[42:43], v[0:3] offset:768
	flat_load_b128 v[0:3], v[20:21]
	v_fma_f64 v[22:23], s[6:7], v[84:85], -v[22:23]
	v_fmac_f64_e32 v[36:37], s[8:9], v[84:85]
	s_wait_loadcnt_dscnt 0x0
	v_mul_f64_e32 v[38:39], s[40:41], v[2:3]
	v_mul_f64_e32 v[2:3], s[38:39], v[2:3]
	s_delay_alu instid0(VALU_DEP_2) | instskip(NEXT) | instid1(VALU_DEP_2)
	v_fma_f64 v[38:39], s[38:39], v[0:1], -v[38:39]
	v_fmac_f64_e32 v[2:3], s[40:41], v[0:1]
	s_delay_alu instid0(VALU_DEP_2) | instskip(NEXT) | instid1(VALU_DEP_2)
	v_add_f64_e32 v[0:1], v[22:23], v[38:39]
	v_add_f64_e32 v[2:3], v[36:37], v[2:3]
	v_add_nc_u64_e32 v[22:23], s[22:23], v[40:41]
	v_mul_f64_e32 v[38:39], s[8:9], v[80:81]
	v_mul_f64_e32 v[40:41], s[6:7], v[80:81]
	s_delay_alu instid0(VALU_DEP_3)
	v_add_nc_u64_e32 v[36:37], v[22:23], v[6:7]
	v_add_nc_u64_e32 v[22:23], s[22:23], v[22:23]
	flat_store_b128 v[36:37], v[0:3]
	flat_load_b128 v[0:3], v[20:21] offset:256
	v_fma_f64 v[38:39], s[6:7], v[76:77], -v[38:39]
	v_fmac_f64_e32 v[40:41], s[8:9], v[76:77]
	s_wait_loadcnt_dscnt 0x0
	v_mul_f64_e32 v[42:43], s[40:41], v[2:3]
	v_mul_f64_e32 v[2:3], s[38:39], v[2:3]
	s_delay_alu instid0(VALU_DEP_2) | instskip(NEXT) | instid1(VALU_DEP_2)
	v_fma_f64 v[42:43], s[38:39], v[0:1], -v[42:43]
	v_fmac_f64_e32 v[2:3], s[40:41], v[0:1]
	s_delay_alu instid0(VALU_DEP_2) | instskip(NEXT) | instid1(VALU_DEP_2)
	v_add_f64_e32 v[0:1], v[38:39], v[42:43]
	v_add_f64_e32 v[2:3], v[40:41], v[2:3]
	v_mul_f64_e32 v[38:39], s[8:9], v[72:73]
	v_mul_f64_e32 v[40:41], s[6:7], v[72:73]
	flat_store_b128 v[36:37], v[0:3] offset:256
	flat_load_b128 v[0:3], v[20:21] offset:512
	v_fma_f64 v[38:39], s[6:7], v[68:69], -v[38:39]
	v_fmac_f64_e32 v[40:41], s[8:9], v[68:69]
	s_wait_loadcnt_dscnt 0x0
	v_mul_f64_e32 v[42:43], s[40:41], v[2:3]
	v_mul_f64_e32 v[2:3], s[38:39], v[2:3]
	s_delay_alu instid0(VALU_DEP_2) | instskip(NEXT) | instid1(VALU_DEP_2)
	v_fma_f64 v[42:43], s[38:39], v[0:1], -v[42:43]
	v_fmac_f64_e32 v[2:3], s[40:41], v[0:1]
	s_delay_alu instid0(VALU_DEP_2) | instskip(NEXT) | instid1(VALU_DEP_2)
	v_add_f64_e32 v[0:1], v[38:39], v[42:43]
	v_add_f64_e32 v[2:3], v[40:41], v[2:3]
	v_mul_f64_e32 v[38:39], s[6:7], v[60:61]
	flat_store_b128 v[36:37], v[0:3] offset:512
	flat_load_b128 v[0:3], v[20:21] offset:768
	s_wait_xcnt 0x0
	v_mul_f64_e32 v[20:21], s[8:9], v[60:61]
	v_fmac_f64_e32 v[38:39], s[8:9], v[56:57]
	s_delay_alu instid0(VALU_DEP_2) | instskip(SKIP_3) | instid1(VALU_DEP_2)
	v_fma_f64 v[20:21], s[6:7], v[56:57], -v[20:21]
	s_wait_loadcnt_dscnt 0x0
	v_mul_f64_e32 v[40:41], s[40:41], v[2:3]
	v_mul_f64_e32 v[2:3], s[38:39], v[2:3]
	v_fma_f64 v[40:41], s[38:39], v[0:1], -v[40:41]
	s_delay_alu instid0(VALU_DEP_2) | instskip(NEXT) | instid1(VALU_DEP_2)
	v_fmac_f64_e32 v[2:3], s[40:41], v[0:1]
	v_add_f64_e32 v[0:1], v[20:21], v[40:41]
	s_delay_alu instid0(VALU_DEP_2) | instskip(SKIP_3) | instid1(VALU_DEP_1)
	v_add_f64_e32 v[2:3], v[38:39], v[2:3]
	v_add_nc_u64_e32 v[20:21], v[4:5], v[6:7]
	v_mul_f64_e32 v[38:39], s[6:7], v[82:83]
	v_add_nc_u64_e32 v[4:5], s[20:21], v[4:5]
	v_add_nc_u64_e32 v[4:5], v[4:5], v[6:7]
	flat_store_b128 v[36:37], v[0:3] offset:768
	flat_load_b128 v[0:3], v[20:21]
	v_mul_f64_e32 v[36:37], s[8:9], v[82:83]
	v_fmac_f64_e32 v[38:39], s[8:9], v[78:79]
	s_delay_alu instid0(VALU_DEP_2) | instskip(SKIP_3) | instid1(VALU_DEP_2)
	v_fma_f64 v[36:37], s[6:7], v[78:79], -v[36:37]
	s_wait_loadcnt_dscnt 0x0
	v_mul_f64_e32 v[40:41], s[40:41], v[2:3]
	v_mul_f64_e32 v[2:3], s[38:39], v[2:3]
	v_fma_f64 v[40:41], s[38:39], v[0:1], -v[40:41]
	s_delay_alu instid0(VALU_DEP_2) | instskip(NEXT) | instid1(VALU_DEP_2)
	v_fmac_f64_e32 v[2:3], s[40:41], v[0:1]
	v_add_f64_e32 v[0:1], v[36:37], v[40:41]
	s_delay_alu instid0(VALU_DEP_2)
	v_add_f64_e32 v[2:3], v[38:39], v[2:3]
	v_add_nc_u64_e32 v[36:37], v[22:23], v[6:7]
	v_mul_f64_e32 v[38:39], s[8:9], v[74:75]
	v_mul_f64_e32 v[40:41], s[6:7], v[74:75]
	flat_store_b128 v[36:37], v[0:3]
	flat_load_b128 v[0:3], v[20:21] offset:256
	v_fma_f64 v[38:39], s[6:7], v[70:71], -v[38:39]
	v_fmac_f64_e32 v[40:41], s[8:9], v[70:71]
	s_wait_loadcnt_dscnt 0x0
	v_mul_f64_e32 v[42:43], s[40:41], v[2:3]
	v_mul_f64_e32 v[2:3], s[38:39], v[2:3]
	s_delay_alu instid0(VALU_DEP_2) | instskip(NEXT) | instid1(VALU_DEP_2)
	v_fma_f64 v[42:43], s[38:39], v[0:1], -v[42:43]
	v_fmac_f64_e32 v[2:3], s[40:41], v[0:1]
	s_delay_alu instid0(VALU_DEP_2) | instskip(NEXT) | instid1(VALU_DEP_2)
	v_add_f64_e32 v[0:1], v[38:39], v[42:43]
	v_add_f64_e32 v[2:3], v[40:41], v[2:3]
	v_mul_f64_e32 v[38:39], s[8:9], v[62:63]
	v_mul_f64_e32 v[40:41], s[6:7], v[62:63]
	flat_store_b128 v[36:37], v[0:3] offset:256
	flat_load_b128 v[0:3], v[20:21] offset:512
	v_fma_f64 v[38:39], s[6:7], v[58:59], -v[38:39]
	v_fmac_f64_e32 v[40:41], s[8:9], v[58:59]
	s_wait_loadcnt_dscnt 0x0
	v_mul_f64_e32 v[42:43], s[40:41], v[2:3]
	v_mul_f64_e32 v[2:3], s[38:39], v[2:3]
	s_delay_alu instid0(VALU_DEP_2) | instskip(NEXT) | instid1(VALU_DEP_2)
	v_fma_f64 v[42:43], s[38:39], v[0:1], -v[42:43]
	v_fmac_f64_e32 v[2:3], s[40:41], v[0:1]
	s_delay_alu instid0(VALU_DEP_2) | instskip(NEXT) | instid1(VALU_DEP_2)
	v_add_f64_e32 v[0:1], v[38:39], v[42:43]
	v_add_f64_e32 v[2:3], v[40:41], v[2:3]
	v_mul_f64_e32 v[38:39], s[6:7], v[54:55]
	flat_store_b128 v[36:37], v[0:3] offset:512
	flat_load_b128 v[0:3], v[20:21] offset:768
	s_wait_xcnt 0x0
	v_mul_f64_e32 v[20:21], s[8:9], v[54:55]
	v_fmac_f64_e32 v[38:39], s[8:9], v[50:51]
	s_delay_alu instid0(VALU_DEP_2) | instskip(SKIP_3) | instid1(VALU_DEP_2)
	v_fma_f64 v[20:21], s[6:7], v[50:51], -v[20:21]
	s_wait_loadcnt_dscnt 0x0
	v_mul_f64_e32 v[40:41], s[40:41], v[2:3]
	v_mul_f64_e32 v[2:3], s[38:39], v[2:3]
	v_fma_f64 v[40:41], s[38:39], v[0:1], -v[40:41]
	s_delay_alu instid0(VALU_DEP_2) | instskip(NEXT) | instid1(VALU_DEP_2)
	v_fmac_f64_e32 v[2:3], s[40:41], v[0:1]
	v_add_f64_e32 v[0:1], v[20:21], v[40:41]
	s_delay_alu instid0(VALU_DEP_2)
	v_add_f64_e32 v[2:3], v[38:39], v[2:3]
	v_mul_f64_e32 v[20:21], s[8:9], v[18:19]
	v_mul_f64_e32 v[18:19], s[6:7], v[18:19]
	flat_store_b128 v[36:37], v[0:3] offset:768
	flat_load_b128 v[0:3], v[4:5]
	v_fma_f64 v[20:21], s[6:7], v[16:17], -v[20:21]
	v_fmac_f64_e32 v[18:19], s[8:9], v[16:17]
	s_wait_loadcnt_dscnt 0x0
	v_mul_f64_e32 v[36:37], s[40:41], v[2:3]
	v_mul_f64_e32 v[2:3], s[38:39], v[2:3]
	s_delay_alu instid0(VALU_DEP_2) | instskip(NEXT) | instid1(VALU_DEP_2)
	v_fma_f64 v[16:17], s[38:39], v[0:1], -v[36:37]
	v_fmac_f64_e32 v[2:3], s[40:41], v[0:1]
	s_delay_alu instid0(VALU_DEP_2) | instskip(NEXT) | instid1(VALU_DEP_2)
	v_add_f64_e32 v[0:1], v[20:21], v[16:17]
	v_add_f64_e32 v[2:3], v[18:19], v[2:3]
	v_add_nc_u64_e32 v[16:17], s[22:23], v[22:23]
	s_delay_alu instid0(VALU_DEP_1)
	v_add_nc_u64_e32 v[6:7], v[16:17], v[6:7]
	v_mul_f64_e32 v[16:17], s[8:9], v[14:15]
	v_mul_f64_e32 v[14:15], s[6:7], v[14:15]
	flat_store_b128 v[6:7], v[0:3]
	flat_load_b128 v[0:3], v[4:5] offset:256
	v_fma_f64 v[16:17], s[6:7], v[12:13], -v[16:17]
	v_fmac_f64_e32 v[14:15], s[8:9], v[12:13]
	s_wait_loadcnt_dscnt 0x0
	v_mul_f64_e32 v[18:19], s[40:41], v[2:3]
	v_mul_f64_e32 v[2:3], s[38:39], v[2:3]
	s_delay_alu instid0(VALU_DEP_2) | instskip(NEXT) | instid1(VALU_DEP_2)
	v_fma_f64 v[12:13], s[38:39], v[0:1], -v[18:19]
	v_fmac_f64_e32 v[2:3], s[40:41], v[0:1]
	s_delay_alu instid0(VALU_DEP_2) | instskip(NEXT) | instid1(VALU_DEP_2)
	v_add_f64_e32 v[0:1], v[16:17], v[12:13]
	v_add_f64_e32 v[2:3], v[14:15], v[2:3]
	v_mul_f64_e32 v[12:13], s[8:9], v[10:11]
	v_mul_f64_e32 v[10:11], s[6:7], v[10:11]
	flat_store_b128 v[6:7], v[0:3] offset:256
	flat_load_b128 v[0:3], v[4:5] offset:512
	v_fma_f64 v[12:13], s[6:7], v[8:9], -v[12:13]
	v_fmac_f64_e32 v[10:11], s[8:9], v[8:9]
	s_wait_loadcnt_dscnt 0x0
	v_mul_f64_e32 v[14:15], s[40:41], v[2:3]
	v_mul_f64_e32 v[2:3], s[38:39], v[2:3]
	s_delay_alu instid0(VALU_DEP_2) | instskip(NEXT) | instid1(VALU_DEP_2)
	v_fma_f64 v[8:9], s[38:39], v[0:1], -v[14:15]
	v_fmac_f64_e32 v[2:3], s[40:41], v[0:1]
	s_delay_alu instid0(VALU_DEP_2) | instskip(NEXT) | instid1(VALU_DEP_2)
	v_add_f64_e32 v[0:1], v[12:13], v[8:9]
	v_add_f64_e32 v[2:3], v[10:11], v[2:3]
	v_mul_f64_e32 v[8:9], s[6:7], v[90:91]
	flat_store_b128 v[6:7], v[0:3] offset:512
	flat_load_b128 v[0:3], v[4:5] offset:768
	s_wait_xcnt 0x0
	v_mul_f64_e32 v[4:5], s[8:9], v[90:91]
	v_fmac_f64_e32 v[8:9], s[8:9], v[88:89]
	s_delay_alu instid0(VALU_DEP_2) | instskip(SKIP_3) | instid1(VALU_DEP_2)
	v_fma_f64 v[4:5], s[6:7], v[88:89], -v[4:5]
	s_wait_loadcnt_dscnt 0x0
	v_mul_f64_e32 v[10:11], s[40:41], v[2:3]
	v_mul_f64_e32 v[2:3], s[38:39], v[2:3]
	v_fma_f64 v[10:11], s[38:39], v[0:1], -v[10:11]
	s_delay_alu instid0(VALU_DEP_2) | instskip(NEXT) | instid1(VALU_DEP_2)
	v_fmac_f64_e32 v[2:3], s[40:41], v[0:1]
	v_add_f64_e32 v[0:1], v[4:5], v[10:11]
	s_delay_alu instid0(VALU_DEP_2)
	v_add_f64_e32 v[2:3], v[8:9], v[2:3]
	v_add_nc_u64_e32 v[4:5], 0x300, v[6:7]
	flat_store_b64 v[6:7], v[0:1] offset:768
	s_branch .LBB255_2
.LBB255_11:
	s_sendmsg sendmsg(MSG_DEALLOC_VGPRS)
	s_endpgm
	.section	.rodata,"a",@progbits
	.p2align	6, 0x0
	.amdhsa_kernel _ZN12_GLOBAL__N_127rocblas_gemm_batched_kernelI19rocblas_complex_numIdELi16ELi16ELi64ELi64ELi4ELi64ELi4ELi4ELi64ELc67ELc67EKPKS2_S5_KPS2_EEvlllT_PT11_llSA_llS8_PT12_llPT13_lli
		.amdhsa_group_segment_fixed_size 8192
		.amdhsa_private_segment_fixed_size 0
		.amdhsa_kernarg_size 156
		.amdhsa_user_sgpr_count 2
		.amdhsa_user_sgpr_dispatch_ptr 0
		.amdhsa_user_sgpr_queue_ptr 0
		.amdhsa_user_sgpr_kernarg_segment_ptr 1
		.amdhsa_user_sgpr_dispatch_id 0
		.amdhsa_user_sgpr_kernarg_preload_length 0
		.amdhsa_user_sgpr_kernarg_preload_offset 0
		.amdhsa_user_sgpr_private_segment_size 0
		.amdhsa_wavefront_size32 1
		.amdhsa_uses_dynamic_stack 0
		.amdhsa_enable_private_segment 0
		.amdhsa_system_sgpr_workgroup_id_x 1
		.amdhsa_system_sgpr_workgroup_id_y 1
		.amdhsa_system_sgpr_workgroup_id_z 1
		.amdhsa_system_sgpr_workgroup_info 0
		.amdhsa_system_vgpr_workitem_id 1
		.amdhsa_next_free_vgpr 154
		.amdhsa_next_free_sgpr 52
		.amdhsa_named_barrier_count 0
		.amdhsa_reserve_vcc 1
		.amdhsa_float_round_mode_32 0
		.amdhsa_float_round_mode_16_64 0
		.amdhsa_float_denorm_mode_32 3
		.amdhsa_float_denorm_mode_16_64 3
		.amdhsa_fp16_overflow 0
		.amdhsa_memory_ordered 1
		.amdhsa_forward_progress 1
		.amdhsa_inst_pref_size 45
		.amdhsa_round_robin_scheduling 0
		.amdhsa_exception_fp_ieee_invalid_op 0
		.amdhsa_exception_fp_denorm_src 0
		.amdhsa_exception_fp_ieee_div_zero 0
		.amdhsa_exception_fp_ieee_overflow 0
		.amdhsa_exception_fp_ieee_underflow 0
		.amdhsa_exception_fp_ieee_inexact 0
		.amdhsa_exception_int_div_zero 0
	.end_amdhsa_kernel
	.section	.text._ZN12_GLOBAL__N_127rocblas_gemm_batched_kernelI19rocblas_complex_numIdELi16ELi16ELi64ELi64ELi4ELi64ELi4ELi4ELi64ELc67ELc67EKPKS2_S5_KPS2_EEvlllT_PT11_llSA_llS8_PT12_llPT13_lli,"axG",@progbits,_ZN12_GLOBAL__N_127rocblas_gemm_batched_kernelI19rocblas_complex_numIdELi16ELi16ELi64ELi64ELi4ELi64ELi4ELi4ELi64ELc67ELc67EKPKS2_S5_KPS2_EEvlllT_PT11_llSA_llS8_PT12_llPT13_lli,comdat
.Lfunc_end255:
	.size	_ZN12_GLOBAL__N_127rocblas_gemm_batched_kernelI19rocblas_complex_numIdELi16ELi16ELi64ELi64ELi4ELi64ELi4ELi4ELi64ELc67ELc67EKPKS2_S5_KPS2_EEvlllT_PT11_llSA_llS8_PT12_llPT13_lli, .Lfunc_end255-_ZN12_GLOBAL__N_127rocblas_gemm_batched_kernelI19rocblas_complex_numIdELi16ELi16ELi64ELi64ELi4ELi64ELi4ELi4ELi64ELc67ELc67EKPKS2_S5_KPS2_EEvlllT_PT11_llSA_llS8_PT12_llPT13_lli
                                        ; -- End function
	.set _ZN12_GLOBAL__N_127rocblas_gemm_batched_kernelI19rocblas_complex_numIdELi16ELi16ELi64ELi64ELi4ELi64ELi4ELi4ELi64ELc67ELc67EKPKS2_S5_KPS2_EEvlllT_PT11_llSA_llS8_PT12_llPT13_lli.num_vgpr, 154
	.set _ZN12_GLOBAL__N_127rocblas_gemm_batched_kernelI19rocblas_complex_numIdELi16ELi16ELi64ELi64ELi4ELi64ELi4ELi4ELi64ELc67ELc67EKPKS2_S5_KPS2_EEvlllT_PT11_llSA_llS8_PT12_llPT13_lli.num_agpr, 0
	.set _ZN12_GLOBAL__N_127rocblas_gemm_batched_kernelI19rocblas_complex_numIdELi16ELi16ELi64ELi64ELi4ELi64ELi4ELi4ELi64ELc67ELc67EKPKS2_S5_KPS2_EEvlllT_PT11_llSA_llS8_PT12_llPT13_lli.numbered_sgpr, 52
	.set _ZN12_GLOBAL__N_127rocblas_gemm_batched_kernelI19rocblas_complex_numIdELi16ELi16ELi64ELi64ELi4ELi64ELi4ELi4ELi64ELc67ELc67EKPKS2_S5_KPS2_EEvlllT_PT11_llSA_llS8_PT12_llPT13_lli.num_named_barrier, 0
	.set _ZN12_GLOBAL__N_127rocblas_gemm_batched_kernelI19rocblas_complex_numIdELi16ELi16ELi64ELi64ELi4ELi64ELi4ELi4ELi64ELc67ELc67EKPKS2_S5_KPS2_EEvlllT_PT11_llSA_llS8_PT12_llPT13_lli.private_seg_size, 0
	.set _ZN12_GLOBAL__N_127rocblas_gemm_batched_kernelI19rocblas_complex_numIdELi16ELi16ELi64ELi64ELi4ELi64ELi4ELi4ELi64ELc67ELc67EKPKS2_S5_KPS2_EEvlllT_PT11_llSA_llS8_PT12_llPT13_lli.uses_vcc, 1
	.set _ZN12_GLOBAL__N_127rocblas_gemm_batched_kernelI19rocblas_complex_numIdELi16ELi16ELi64ELi64ELi4ELi64ELi4ELi4ELi64ELc67ELc67EKPKS2_S5_KPS2_EEvlllT_PT11_llSA_llS8_PT12_llPT13_lli.uses_flat_scratch, 1
	.set _ZN12_GLOBAL__N_127rocblas_gemm_batched_kernelI19rocblas_complex_numIdELi16ELi16ELi64ELi64ELi4ELi64ELi4ELi4ELi64ELc67ELc67EKPKS2_S5_KPS2_EEvlllT_PT11_llSA_llS8_PT12_llPT13_lli.has_dyn_sized_stack, 0
	.set _ZN12_GLOBAL__N_127rocblas_gemm_batched_kernelI19rocblas_complex_numIdELi16ELi16ELi64ELi64ELi4ELi64ELi4ELi4ELi64ELc67ELc67EKPKS2_S5_KPS2_EEvlllT_PT11_llSA_llS8_PT12_llPT13_lli.has_recursion, 0
	.set _ZN12_GLOBAL__N_127rocblas_gemm_batched_kernelI19rocblas_complex_numIdELi16ELi16ELi64ELi64ELi4ELi64ELi4ELi4ELi64ELc67ELc67EKPKS2_S5_KPS2_EEvlllT_PT11_llSA_llS8_PT12_llPT13_lli.has_indirect_call, 0
	.section	.AMDGPU.csdata,"",@progbits
; Kernel info:
; codeLenInByte = 5700
; TotalNumSgprs: 54
; NumVgprs: 154
; ScratchSize: 0
; MemoryBound: 0
; FloatMode: 240
; IeeeMode: 1
; LDSByteSize: 8192 bytes/workgroup (compile time only)
; SGPRBlocks: 0
; VGPRBlocks: 9
; NumSGPRsForWavesPerEU: 54
; NumVGPRsForWavesPerEU: 154
; NamedBarCnt: 0
; Occupancy: 6
; WaveLimiterHint : 1
; COMPUTE_PGM_RSRC2:SCRATCH_EN: 0
; COMPUTE_PGM_RSRC2:USER_SGPR: 2
; COMPUTE_PGM_RSRC2:TRAP_HANDLER: 0
; COMPUTE_PGM_RSRC2:TGID_X_EN: 1
; COMPUTE_PGM_RSRC2:TGID_Y_EN: 1
; COMPUTE_PGM_RSRC2:TGID_Z_EN: 1
; COMPUTE_PGM_RSRC2:TIDIG_COMP_CNT: 1
	.section	.text._ZN12_GLOBAL__N_127rocblas_gemm_batched_kernelI19rocblas_complex_numIdELi16ELi16ELi64ELi64ELi4ELi64ELi4ELi4ELi64ELc67ELc78EKPKS2_S5_KPS2_EEvlllT_PT11_llSA_llS8_PT12_llPT13_lli,"axG",@progbits,_ZN12_GLOBAL__N_127rocblas_gemm_batched_kernelI19rocblas_complex_numIdELi16ELi16ELi64ELi64ELi4ELi64ELi4ELi4ELi64ELc67ELc78EKPKS2_S5_KPS2_EEvlllT_PT11_llSA_llS8_PT12_llPT13_lli,comdat
	.globl	_ZN12_GLOBAL__N_127rocblas_gemm_batched_kernelI19rocblas_complex_numIdELi16ELi16ELi64ELi64ELi4ELi64ELi4ELi4ELi64ELc67ELc78EKPKS2_S5_KPS2_EEvlllT_PT11_llSA_llS8_PT12_llPT13_lli ; -- Begin function _ZN12_GLOBAL__N_127rocblas_gemm_batched_kernelI19rocblas_complex_numIdELi16ELi16ELi64ELi64ELi4ELi64ELi4ELi4ELi64ELc67ELc78EKPKS2_S5_KPS2_EEvlllT_PT11_llSA_llS8_PT12_llPT13_lli
	.p2align	8
	.type	_ZN12_GLOBAL__N_127rocblas_gemm_batched_kernelI19rocblas_complex_numIdELi16ELi16ELi64ELi64ELi4ELi64ELi4ELi4ELi64ELc67ELc78EKPKS2_S5_KPS2_EEvlllT_PT11_llSA_llS8_PT12_llPT13_lli,@function
_ZN12_GLOBAL__N_127rocblas_gemm_batched_kernelI19rocblas_complex_numIdELi16ELi16ELi64ELi64ELi4ELi64ELi4ELi4ELi64ELc67ELc78EKPKS2_S5_KPS2_EEvlllT_PT11_llSA_llS8_PT12_llPT13_lli: ; @_ZN12_GLOBAL__N_127rocblas_gemm_batched_kernelI19rocblas_complex_numIdELi16ELi16ELi64ELi64ELi4ELi64ELi4ELi4ELi64ELc67ELc78EKPKS2_S5_KPS2_EEvlllT_PT11_llSA_llS8_PT12_llPT13_lli
; %bb.0:
	s_load_b32 s24, s[0:1], 0x98
	s_bfe_u32 s2, ttmp6, 0x40014
	s_lshr_b32 s3, ttmp7, 16
	s_add_co_i32 s2, s2, 1
	s_bfe_u32 s4, ttmp6, 0x40008
	s_mul_i32 s2, s3, s2
	s_getreg_b32 s20, hwreg(HW_REG_IB_STS2, 6, 4)
	s_add_co_i32 s4, s4, s2
	s_cmp_eq_u32 s20, 0
	s_cselect_b32 s2, s3, s4
	s_mov_b32 s3, 0
	s_wait_kmcnt 0x0
	s_cmp_ge_i32 s2, s24
	s_cbranch_scc1 .LBB256_11
; %bb.1:
	v_bfe_u32 v24, v0, 10, 10
	v_and_b32_e32 v2, 0x3ff, v0
	s_bfe_u32 s21, ttmp6, 0x4000c
	s_bfe_u32 s23, ttmp6, 0x40010
	s_clause 0x1
	s_load_b512 s[4:19], s[0:1], 0x10
	s_load_b512 s[36:51], s[0:1], 0x50
	s_add_co_i32 s21, s21, 1
	s_and_b32 s25, ttmp7, 0xffff
	s_add_co_i32 s23, s23, 1
	s_and_b32 s22, ttmp6, 15
	s_mul_i32 s21, ttmp9, s21
	s_mul_i32 s23, s25, s23
	s_bfe_u32 s26, ttmp6, 0x40004
	v_lshl_add_u32 v1, v24, 4, v2
	s_add_co_i32 s22, s22, s21
	s_add_co_i32 s26, s26, s23
	s_cmp_eq_u32 s20, 0
	s_delay_alu instid0(VALU_DEP_1) | instskip(SKIP_3) | instid1(VALU_DEP_1)
	v_dual_mov_b32 v25, 0 :: v_dual_bitop2_b32 v12, 63, v1 bitop3:0x40
	s_cselect_b32 s20, ttmp9, s22
	s_cselect_b32 s22, s25, s26
	s_ashr_i32 s21, s20, 31
	v_dual_mov_b32 v5, v25 :: v_dual_lshrrev_b32 v4, 2, v1
	s_lshl_b64 s[20:21], s[20:21], 6
	s_lshl_b32 s22, s22, 6
	v_dual_mov_b32 v7, s21 :: v_dual_bitop2_b32 v6, s20, v12 bitop3:0x54
	s_mov_b32 s23, s3
	v_dual_mov_b32 v3, v25 :: v_dual_lshlrev_b32 v0, 4, v0
	v_add_nc_u64_e32 v[8:9], s[22:23], v[4:5]
	s_wait_kmcnt 0x0
	v_mul_u64_e32 v[6:7], s[12:13], v[6:7]
	v_add_nc_u64_e32 v[10:11], s[22:23], v[24:25]
	v_cmp_eq_f64_e64 s22, s[38:39], 0
	v_cmp_eq_f64_e64 s23, s[40:41], 0
	v_dual_lshrrev_b32 v5, 6, v1 :: v_dual_mov_b32 v1, v25
	v_mul_u64_e32 v[8:9], s[18:19], v[8:9]
	s_load_b64 s[0:1], s[0:1], 0x90
	v_mul_u64_e32 v[26:27], s[50:51], v[10:11]
	v_mul_u64_e32 v[28:29], s[44:45], v[10:11]
	s_lshl_b64 s[12:13], s[14:15], 4
	v_dual_lshlrev_b32 v104, 4, v2 :: v_dual_bitop2_b32 v0, 48, v0 bitop3:0x40
	v_lshl_add_u32 v105, v24, 6, 0x1000
	v_dual_lshlrev_b32 v10, 4, v12 :: v_dual_lshlrev_b32 v24, 4, v5
	v_add_nc_u64_e32 v[30:31], s[20:21], v[2:3]
	s_delay_alu instid0(VALU_DEP_4) | instskip(SKIP_1) | instid1(VALU_DEP_3)
	v_lshl_or_b32 v4, v4, 6, v0
	s_lshl_b64 s[20:21], s[50:51], 4
	v_lshl_or_b32 v106, v5, 10, v10
	s_lshl_b64 s[18:19], s[44:45], 4
	s_lshl_b64 s[14:15], s[46:47], 4
	v_add_nc_u32_e32 v107, 0x1000, v4
	s_lshl_b64 s[18:19], s[18:19], 4
	s_lshl_b64 s[20:21], s[20:21], 4
	v_lshl_add_u64 v[2:3], v[6:7], 4, s[12:13]
	s_lshl_b64 s[12:13], s[36:37], 4
	s_delay_alu instid0(VALU_DEP_1) | instskip(SKIP_2) | instid1(VALU_DEP_2)
	v_add_nc_u64_e32 v[32:33], v[2:3], v[24:25]
	v_lshl_add_u64 v[2:3], v[8:9], 4, s[12:13]
	v_cmp_gt_i64_e64 s12, s[4:5], 0
	v_add_nc_u64_e32 v[34:35], v[2:3], v[0:1]
	s_delay_alu instid0(VALU_DEP_4) | instskip(NEXT) | instid1(VALU_DEP_3)
	v_or_b32_e32 v32, 8, v32
	v_cndmask_b32_e64 v4, 0, 1, s12
	s_wait_kmcnt 0x0
	s_lshl_b64 s[12:13], s[0:1], 4
	s_and_b32 s1, s22, s23
	s_delay_alu instid0(VALU_DEP_1)
	v_cmp_ne_u32_e64 s0, 1, v4
	s_branch .LBB256_3
.LBB256_2:                              ;   in Loop: Header=BB256_3 Depth=1
	s_add_co_i32 s2, s2, 0x10000
	flat_store_b64 v[4:5], v[2:3] offset:8
	s_cmp_lt_i32 s2, s24
	s_cbranch_scc0 .LBB256_11
.LBB256_3:                              ; =>This Loop Header: Depth=1
                                        ;     Child Loop BB256_5 Depth 2
	s_wait_xcnt 0x1
	v_mov_b32_e32 v0, s2
	s_delay_alu instid0(VALU_DEP_2)
	s_and_b32 vcc_lo, exec_lo, s0
	s_clause 0x1
	global_load_b64 v[36:37], v0, s[42:43] scale_offset
	global_load_b64 v[38:39], v0, s[48:49] scale_offset
	s_cbranch_vccnz .LBB256_8
; %bb.4:                                ;   in Loop: Header=BB256_3 Depth=1
	s_lshl_b64 s[22:23], s[2:3], 3
	v_mov_b64_e32 v[90:91], 0
	s_add_nc_u64 s[26:27], s[10:11], s[22:23]
	s_add_nc_u64 s[22:23], s[16:17], s[22:23]
	s_clause 0x1
	global_load_b64 v[0:1], v25, s[26:27]
	global_load_b64 v[2:3], v25, s[22:23]
	v_mov_b64_e32 v[88:89], 0
	v_mov_b64_e32 v[10:11], 0
	;; [unrolled: 1-line block ×31, first 2 shown]
	s_wait_xcnt 0x0
	s_mov_b64 s[22:23], 0
	s_wait_loadcnt 0x1
	v_add_nc_u64_e32 v[40:41], v[0:1], v[32:33]
	s_wait_loadcnt 0x0
	v_add_nc_u64_e32 v[42:43], v[2:3], v[34:35]
.LBB256_5:                              ;   Parent Loop BB256_3 Depth=1
                                        ; =>  This Inner Loop Header: Depth=2
	flat_load_b128 v[0:3], v[40:41] offset:-8
	s_add_nc_u64 s[22:23], s[22:23], 4
	s_wait_xcnt 0x0
	v_add_nc_u64_e32 v[40:41], 64, v[40:41]
	v_cmp_lt_i64_e64 s25, s[22:23], s[4:5]
	s_and_b32 vcc_lo, exec_lo, s25
	s_wait_loadcnt_dscnt 0x0
	v_xor_b32_e32 v3, 0x80000000, v3
	ds_store_b128 v106, v[0:3]
	flat_load_b128 v[0:3], v[42:43]
	s_wait_xcnt 0x0
	v_add_nc_u64_e32 v[42:43], 64, v[42:43]
	s_wait_loadcnt_dscnt 0x0
	ds_store_2addr_b64 v107, v[0:1], v[2:3] offset1:1
	s_wait_dscnt 0x0
	s_barrier_signal -1
	s_barrier_wait -1
	ds_load_b128 v[92:95], v105
	ds_load_b128 v[96:99], v105 offset:16
	ds_load_b128 v[4:7], v105 offset:32
	;; [unrolled: 1-line block ×3, first 2 shown]
	ds_load_b128 v[100:103], v104
	s_wait_dscnt 0x0
	v_mul_f64_e32 v[108:109], v[94:95], v[102:103]
	v_mul_f64_e32 v[110:111], v[92:93], v[102:103]
	s_delay_alu instid0(VALU_DEP_2) | instskip(NEXT) | instid1(VALU_DEP_2)
	v_fma_f64 v[108:109], v[92:93], v[100:101], -v[108:109]
	v_fmac_f64_e32 v[110:111], v[94:95], v[100:101]
	s_delay_alu instid0(VALU_DEP_2) | instskip(NEXT) | instid1(VALU_DEP_2)
	v_add_f64_e32 v[112:113], v[64:65], v[108:109]
	v_add_f64_e32 v[114:115], v[110:111], v[66:67]
	ds_load_b128 v[64:67], v104 offset:256
	s_wait_dscnt 0x0
	v_mul_f64_e32 v[108:109], v[94:95], v[66:67]
	v_mul_f64_e32 v[110:111], v[92:93], v[66:67]
	s_delay_alu instid0(VALU_DEP_2) | instskip(NEXT) | instid1(VALU_DEP_2)
	v_fma_f64 v[108:109], v[92:93], v[64:65], -v[108:109]
	v_fmac_f64_e32 v[110:111], v[94:95], v[64:65]
	s_delay_alu instid0(VALU_DEP_2) | instskip(NEXT) | instid1(VALU_DEP_2)
	v_add_f64_e32 v[48:49], v[48:49], v[108:109]
	v_add_f64_e32 v[116:117], v[110:111], v[52:53]
	ds_load_b128 v[108:111], v104 offset:512
	;; [unrolled: 10-line block ×3, first 2 shown]
	s_wait_dscnt 0x0
	v_mul_f64_e32 v[52:53], v[94:95], v[46:47]
	s_delay_alu instid0(VALU_DEP_1) | instskip(SKIP_1) | instid1(VALU_DEP_1)
	v_fma_f64 v[52:53], v[92:93], v[44:45], -v[52:53]
	v_mul_f64_e32 v[92:93], v[92:93], v[46:47]
	v_fmac_f64_e32 v[92:93], v[94:95], v[44:45]
	s_delay_alu instid0(VALU_DEP_3) | instskip(NEXT) | instid1(VALU_DEP_2)
	v_add_f64_e32 v[94:95], v[20:21], v[52:53]
	v_add_f64_e32 v[92:93], v[92:93], v[22:23]
	ds_load_b128 v[20:23], v105 offset:1024
	s_wait_dscnt 0x0
	v_mul_f64_e32 v[52:53], v[22:23], v[102:103]
	v_mul_f64_e32 v[122:123], v[20:21], v[102:103]
	s_delay_alu instid0(VALU_DEP_2) | instskip(NEXT) | instid1(VALU_DEP_2)
	v_fma_f64 v[52:53], v[20:21], v[100:101], -v[52:53]
	v_fmac_f64_e32 v[122:123], v[22:23], v[100:101]
	s_delay_alu instid0(VALU_DEP_2) | instskip(SKIP_1) | instid1(VALU_DEP_3)
	v_add_f64_e32 v[84:85], v[84:85], v[52:53]
	v_mul_f64_e32 v[52:53], v[22:23], v[66:67]
	v_add_f64_e32 v[86:87], v[122:123], v[86:87]
	v_mul_f64_e32 v[122:123], v[20:21], v[66:67]
	s_delay_alu instid0(VALU_DEP_3) | instskip(NEXT) | instid1(VALU_DEP_2)
	v_fma_f64 v[52:53], v[20:21], v[64:65], -v[52:53]
	v_fmac_f64_e32 v[122:123], v[22:23], v[64:65]
	s_delay_alu instid0(VALU_DEP_2) | instskip(SKIP_2) | instid1(VALU_DEP_4)
	v_add_f64_e32 v[124:125], v[76:77], v[52:53]
	v_mul_f64_e32 v[52:53], v[22:23], v[110:111]
	v_mul_f64_e32 v[76:77], v[20:21], v[110:111]
	v_add_f64_e32 v[122:123], v[122:123], v[80:81]
	s_delay_alu instid0(VALU_DEP_3) | instskip(NEXT) | instid1(VALU_DEP_3)
	v_fma_f64 v[52:53], v[20:21], v[108:109], -v[52:53]
	v_fmac_f64_e32 v[76:77], v[22:23], v[108:109]
	s_delay_alu instid0(VALU_DEP_2) | instskip(SKIP_1) | instid1(VALU_DEP_3)
	v_add_f64_e32 v[126:127], v[68:69], v[52:53]
	v_mul_f64_e32 v[52:53], v[22:23], v[46:47]
	v_add_f64_e32 v[128:129], v[76:77], v[72:73]
	s_delay_alu instid0(VALU_DEP_2) | instskip(SKIP_1) | instid1(VALU_DEP_2)
	v_fma_f64 v[52:53], v[20:21], v[44:45], -v[52:53]
	v_mul_f64_e32 v[20:21], v[20:21], v[46:47]
	v_add_f64_e32 v[130:131], v[56:57], v[52:53]
	s_delay_alu instid0(VALU_DEP_2) | instskip(NEXT) | instid1(VALU_DEP_1)
	v_fmac_f64_e32 v[20:21], v[22:23], v[44:45]
	v_add_f64_e32 v[132:133], v[20:21], v[60:61]
	ds_load_b128 v[20:23], v105 offset:2048
	s_wait_dscnt 0x0
	v_mul_f64_e32 v[52:53], v[22:23], v[102:103]
	v_mul_f64_e32 v[56:57], v[20:21], v[102:103]
	s_delay_alu instid0(VALU_DEP_2) | instskip(NEXT) | instid1(VALU_DEP_2)
	v_fma_f64 v[52:53], v[20:21], v[100:101], -v[52:53]
	v_fmac_f64_e32 v[56:57], v[22:23], v[100:101]
	s_delay_alu instid0(VALU_DEP_2) | instskip(SKIP_1) | instid1(VALU_DEP_3)
	v_add_f64_e32 v[134:135], v[78:79], v[52:53]
	v_mul_f64_e32 v[52:53], v[22:23], v[66:67]
	v_add_f64_e32 v[136:137], v[56:57], v[82:83]
	v_mul_f64_e32 v[56:57], v[20:21], v[66:67]
	s_delay_alu instid0(VALU_DEP_3) | instskip(NEXT) | instid1(VALU_DEP_2)
	v_fma_f64 v[52:53], v[20:21], v[64:65], -v[52:53]
	v_fmac_f64_e32 v[56:57], v[22:23], v[64:65]
	s_delay_alu instid0(VALU_DEP_2) | instskip(SKIP_1) | instid1(VALU_DEP_3)
	v_add_f64_e32 v[138:139], v[70:71], v[52:53]
	v_mul_f64_e32 v[52:53], v[22:23], v[110:111]
	v_add_f64_e32 v[140:141], v[56:57], v[74:75]
	v_mul_f64_e32 v[56:57], v[20:21], v[110:111]
	s_delay_alu instid0(VALU_DEP_3) | instskip(NEXT) | instid1(VALU_DEP_2)
	v_fma_f64 v[52:53], v[20:21], v[108:109], -v[52:53]
	v_fmac_f64_e32 v[56:57], v[22:23], v[108:109]
	s_delay_alu instid0(VALU_DEP_2) | instskip(SKIP_1) | instid1(VALU_DEP_3)
	v_add_f64_e32 v[142:143], v[58:59], v[52:53]
	v_mul_f64_e32 v[52:53], v[22:23], v[46:47]
	v_add_f64_e32 v[144:145], v[56:57], v[62:63]
	s_delay_alu instid0(VALU_DEP_2) | instskip(SKIP_1) | instid1(VALU_DEP_2)
	v_fma_f64 v[52:53], v[20:21], v[44:45], -v[52:53]
	v_mul_f64_e32 v[20:21], v[20:21], v[46:47]
	v_add_f64_e32 v[146:147], v[50:51], v[52:53]
	s_delay_alu instid0(VALU_DEP_2) | instskip(NEXT) | instid1(VALU_DEP_1)
	v_fmac_f64_e32 v[20:21], v[22:23], v[44:45]
	v_add_f64_e32 v[148:149], v[20:21], v[54:55]
	ds_load_b128 v[20:23], v105 offset:3072
	s_wait_dscnt 0x0
	v_mul_f64_e32 v[50:51], v[22:23], v[102:103]
	v_mul_f64_e32 v[52:53], v[20:21], v[102:103]
	s_delay_alu instid0(VALU_DEP_2) | instskip(NEXT) | instid1(VALU_DEP_2)
	v_fma_f64 v[50:51], v[20:21], v[100:101], -v[50:51]
	v_fmac_f64_e32 v[52:53], v[22:23], v[100:101]
	s_delay_alu instid0(VALU_DEP_2) | instskip(NEXT) | instid1(VALU_DEP_2)
	v_add_f64_e32 v[72:73], v[16:17], v[50:51]
	v_add_f64_e32 v[74:75], v[52:53], v[18:19]
	v_mul_f64_e32 v[16:17], v[22:23], v[66:67]
	v_mul_f64_e32 v[18:19], v[20:21], v[66:67]
	s_delay_alu instid0(VALU_DEP_2) | instskip(NEXT) | instid1(VALU_DEP_2)
	v_fma_f64 v[16:17], v[20:21], v[64:65], -v[16:17]
	v_fmac_f64_e32 v[18:19], v[22:23], v[64:65]
	s_delay_alu instid0(VALU_DEP_2) | instskip(NEXT) | instid1(VALU_DEP_2)
	v_add_f64_e32 v[68:69], v[12:13], v[16:17]
	v_add_f64_e32 v[70:71], v[18:19], v[14:15]
	v_mul_f64_e32 v[12:13], v[22:23], v[110:111]
	v_mul_f64_e32 v[14:15], v[20:21], v[110:111]
	ds_load_b128 v[16:19], v104 offset:1280
	v_fma_f64 v[12:13], v[20:21], v[108:109], -v[12:13]
	v_fmac_f64_e32 v[14:15], v[22:23], v[108:109]
	s_delay_alu instid0(VALU_DEP_2) | instskip(NEXT) | instid1(VALU_DEP_2)
	v_add_f64_e32 v[64:65], v[8:9], v[12:13]
	v_add_f64_e32 v[66:67], v[14:15], v[10:11]
	v_mul_f64_e32 v[8:9], v[22:23], v[46:47]
	v_mul_f64_e32 v[10:11], v[20:21], v[46:47]
	ds_load_b128 v[12:15], v104 offset:1536
	v_fma_f64 v[8:9], v[20:21], v[44:45], -v[8:9]
	v_fmac_f64_e32 v[10:11], v[22:23], v[44:45]
	ds_load_b128 v[20:23], v104 offset:1024
	v_add_f64_e32 v[60:61], v[88:89], v[8:9]
	v_add_f64_e32 v[62:63], v[10:11], v[90:91]
	s_wait_dscnt 0x0
	v_mul_f64_e32 v[8:9], v[98:99], v[22:23]
	v_mul_f64_e32 v[10:11], v[96:97], v[22:23]
	ds_load_b128 v[88:91], v105 offset:1040
	s_wait_dscnt 0x0
	v_mul_f64_e32 v[76:77], v[90:91], v[22:23]
	v_mul_f64_e32 v[78:79], v[88:89], v[22:23]
	;; [unrolled: 1-line block ×4, first 2 shown]
	v_fma_f64 v[8:9], v[96:97], v[20:21], -v[8:9]
	v_fmac_f64_e32 v[10:11], v[98:99], v[20:21]
	v_fma_f64 v[76:77], v[88:89], v[20:21], -v[76:77]
	v_fmac_f64_e32 v[78:79], v[90:91], v[20:21]
	v_fma_f64 v[80:81], v[88:89], v[16:17], -v[80:81]
	v_fmac_f64_e32 v[82:83], v[90:91], v[16:17]
	v_add_f64_e32 v[56:57], v[112:113], v[8:9]
	v_add_f64_e32 v[58:59], v[10:11], v[114:115]
	v_mul_f64_e32 v[8:9], v[98:99], v[18:19]
	v_mul_f64_e32 v[10:11], v[96:97], v[18:19]
	v_add_f64_e32 v[76:77], v[84:85], v[76:77]
	v_add_f64_e32 v[78:79], v[78:79], v[86:87]
	v_mul_f64_e32 v[84:85], v[90:91], v[14:15]
	v_mul_f64_e32 v[86:87], v[88:89], v[14:15]
	v_add_f64_e32 v[80:81], v[124:125], v[80:81]
	v_add_f64_e32 v[82:83], v[82:83], v[122:123]
	v_fma_f64 v[8:9], v[96:97], v[16:17], -v[8:9]
	v_fmac_f64_e32 v[10:11], v[98:99], v[16:17]
	v_fma_f64 v[84:85], v[88:89], v[12:13], -v[84:85]
	v_fmac_f64_e32 v[86:87], v[90:91], v[12:13]
	s_delay_alu instid0(VALU_DEP_4) | instskip(NEXT) | instid1(VALU_DEP_4)
	v_add_f64_e32 v[52:53], v[48:49], v[8:9]
	v_add_f64_e32 v[54:55], v[10:11], v[116:117]
	v_mul_f64_e32 v[8:9], v[98:99], v[14:15]
	v_mul_f64_e32 v[10:11], v[96:97], v[14:15]
	v_add_f64_e32 v[84:85], v[126:127], v[84:85]
	v_add_f64_e32 v[86:87], v[86:87], v[128:129]
	s_delay_alu instid0(VALU_DEP_4) | instskip(NEXT) | instid1(VALU_DEP_4)
	v_fma_f64 v[8:9], v[96:97], v[12:13], -v[8:9]
	v_fmac_f64_e32 v[10:11], v[98:99], v[12:13]
	s_delay_alu instid0(VALU_DEP_2) | instskip(NEXT) | instid1(VALU_DEP_2)
	v_add_f64_e32 v[48:49], v[120:121], v[8:9]
	v_add_f64_e32 v[50:51], v[10:11], v[118:119]
	ds_load_b128 v[8:11], v104 offset:1792
	s_wait_dscnt 0x0
	v_mul_f64_e32 v[44:45], v[98:99], v[10:11]
	v_mul_f64_e32 v[46:47], v[96:97], v[10:11]
	s_delay_alu instid0(VALU_DEP_2) | instskip(NEXT) | instid1(VALU_DEP_2)
	v_fma_f64 v[44:45], v[96:97], v[8:9], -v[44:45]
	v_fmac_f64_e32 v[46:47], v[98:99], v[8:9]
	s_delay_alu instid0(VALU_DEP_2) | instskip(NEXT) | instid1(VALU_DEP_2)
	v_add_f64_e32 v[44:45], v[94:95], v[44:45]
	v_add_f64_e32 v[46:47], v[46:47], v[92:93]
	v_mul_f64_e32 v[92:93], v[90:91], v[10:11]
	v_mul_f64_e32 v[94:95], v[88:89], v[10:11]
	s_delay_alu instid0(VALU_DEP_2) | instskip(NEXT) | instid1(VALU_DEP_2)
	v_fma_f64 v[92:93], v[88:89], v[8:9], -v[92:93]
	v_fmac_f64_e32 v[94:95], v[90:91], v[8:9]
	s_delay_alu instid0(VALU_DEP_2) | instskip(NEXT) | instid1(VALU_DEP_2)
	v_add_f64_e32 v[88:89], v[130:131], v[92:93]
	v_add_f64_e32 v[90:91], v[94:95], v[132:133]
	ds_load_b128 v[92:95], v105 offset:2064
	s_wait_dscnt 0x0
	v_mul_f64_e32 v[96:97], v[94:95], v[22:23]
	v_mul_f64_e32 v[100:101], v[94:95], v[18:19]
	;; [unrolled: 1-line block ×7, first 2 shown]
	v_fma_f64 v[96:97], v[92:93], v[20:21], -v[96:97]
	v_fma_f64 v[100:101], v[92:93], v[16:17], -v[100:101]
	;; [unrolled: 1-line block ×4, first 2 shown]
	v_mul_f64_e32 v[92:93], v[92:93], v[10:11]
	v_fmac_f64_e32 v[98:99], v[94:95], v[20:21]
	v_fmac_f64_e32 v[102:103], v[94:95], v[16:17]
	;; [unrolled: 1-line block ×3, first 2 shown]
	v_add_f64_e32 v[96:97], v[134:135], v[96:97]
	v_add_f64_e32 v[100:101], v[138:139], v[100:101]
	;; [unrolled: 1-line block ×4, first 2 shown]
	v_fmac_f64_e32 v[92:93], v[94:95], v[8:9]
	v_add_f64_e32 v[98:99], v[98:99], v[136:137]
	v_add_f64_e32 v[102:103], v[102:103], v[140:141]
	;; [unrolled: 1-line block ×3, first 2 shown]
	s_delay_alu instid0(VALU_DEP_4) | instskip(SKIP_4) | instid1(VALU_DEP_2)
	v_add_f64_e32 v[114:115], v[92:93], v[148:149]
	ds_load_b128 v[92:95], v105 offset:3088
	s_wait_dscnt 0x0
	v_mul_f64_e32 v[116:117], v[94:95], v[22:23]
	v_mul_f64_e32 v[22:23], v[92:93], v[22:23]
	v_fma_f64 v[116:117], v[92:93], v[20:21], -v[116:117]
	s_delay_alu instid0(VALU_DEP_2) | instskip(SKIP_2) | instid1(VALU_DEP_4)
	v_fmac_f64_e32 v[22:23], v[94:95], v[20:21]
	v_mul_f64_e32 v[20:21], v[94:95], v[18:19]
	v_mul_f64_e32 v[18:19], v[92:93], v[18:19]
	v_add_f64_e32 v[72:73], v[72:73], v[116:117]
	s_delay_alu instid0(VALU_DEP_4) | instskip(NEXT) | instid1(VALU_DEP_4)
	v_add_f64_e32 v[74:75], v[22:23], v[74:75]
	v_fma_f64 v[20:21], v[92:93], v[16:17], -v[20:21]
	s_delay_alu instid0(VALU_DEP_4) | instskip(SKIP_2) | instid1(VALU_DEP_4)
	v_fmac_f64_e32 v[18:19], v[94:95], v[16:17]
	v_mul_f64_e32 v[16:17], v[94:95], v[14:15]
	v_mul_f64_e32 v[14:15], v[92:93], v[14:15]
	v_add_f64_e32 v[68:69], v[68:69], v[20:21]
	s_delay_alu instid0(VALU_DEP_4) | instskip(NEXT) | instid1(VALU_DEP_4)
	v_add_f64_e32 v[70:71], v[18:19], v[70:71]
	v_fma_f64 v[16:17], v[92:93], v[12:13], -v[16:17]
	s_delay_alu instid0(VALU_DEP_4) | instskip(SKIP_2) | instid1(VALU_DEP_4)
	v_fmac_f64_e32 v[14:15], v[94:95], v[12:13]
	v_mul_f64_e32 v[12:13], v[94:95], v[10:11]
	v_mul_f64_e32 v[10:11], v[92:93], v[10:11]
	v_add_f64_e32 v[64:65], v[64:65], v[16:17]
	s_delay_alu instid0(VALU_DEP_4) | instskip(NEXT) | instid1(VALU_DEP_4)
	v_add_f64_e32 v[66:67], v[14:15], v[66:67]
	v_fma_f64 v[12:13], v[92:93], v[8:9], -v[12:13]
	s_delay_alu instid0(VALU_DEP_4) | instskip(NEXT) | instid1(VALU_DEP_2)
	v_fmac_f64_e32 v[10:11], v[94:95], v[8:9]
	v_add_f64_e32 v[60:61], v[60:61], v[12:13]
	s_delay_alu instid0(VALU_DEP_2) | instskip(SKIP_4) | instid1(VALU_DEP_2)
	v_add_f64_e32 v[62:63], v[10:11], v[62:63]
	ds_load_b128 v[8:11], v104 offset:2048
	s_wait_dscnt 0x0
	v_mul_f64_e32 v[12:13], v[6:7], v[10:11]
	v_mul_f64_e32 v[14:15], v[4:5], v[10:11]
	v_fma_f64 v[12:13], v[4:5], v[8:9], -v[12:13]
	s_delay_alu instid0(VALU_DEP_2) | instskip(NEXT) | instid1(VALU_DEP_2)
	v_fmac_f64_e32 v[14:15], v[6:7], v[8:9]
	v_add_f64_e32 v[56:57], v[56:57], v[12:13]
	s_delay_alu instid0(VALU_DEP_2) | instskip(SKIP_4) | instid1(VALU_DEP_2)
	v_add_f64_e32 v[58:59], v[14:15], v[58:59]
	ds_load_b128 v[12:15], v104 offset:2304
	s_wait_dscnt 0x0
	v_mul_f64_e32 v[16:17], v[6:7], v[14:15]
	v_mul_f64_e32 v[18:19], v[4:5], v[14:15]
	v_fma_f64 v[16:17], v[4:5], v[12:13], -v[16:17]
	s_delay_alu instid0(VALU_DEP_2) | instskip(NEXT) | instid1(VALU_DEP_2)
	;; [unrolled: 10-line block ×3, first 2 shown]
	v_fmac_f64_e32 v[22:23], v[6:7], v[16:17]
	v_add_f64_e32 v[116:117], v[48:49], v[20:21]
	s_delay_alu instid0(VALU_DEP_2) | instskip(SKIP_3) | instid1(VALU_DEP_1)
	v_add_f64_e32 v[50:51], v[22:23], v[50:51]
	ds_load_b128 v[20:23], v104 offset:2816
	s_wait_dscnt 0x0
	v_mul_f64_e32 v[48:49], v[6:7], v[22:23]
	v_fma_f64 v[48:49], v[4:5], v[20:21], -v[48:49]
	v_mul_f64_e32 v[4:5], v[4:5], v[22:23]
	s_delay_alu instid0(VALU_DEP_2) | instskip(NEXT) | instid1(VALU_DEP_2)
	v_add_f64_e32 v[118:119], v[44:45], v[48:49]
	v_fmac_f64_e32 v[4:5], v[6:7], v[20:21]
	s_delay_alu instid0(VALU_DEP_1) | instskip(SKIP_4) | instid1(VALU_DEP_2)
	v_add_f64_e32 v[120:121], v[4:5], v[46:47]
	ds_load_b128 v[4:7], v105 offset:1056
	s_wait_dscnt 0x0
	v_mul_f64_e32 v[44:45], v[6:7], v[10:11]
	v_mul_f64_e32 v[46:47], v[4:5], v[10:11]
	v_fma_f64 v[44:45], v[4:5], v[8:9], -v[44:45]
	s_delay_alu instid0(VALU_DEP_2) | instskip(NEXT) | instid1(VALU_DEP_2)
	v_fmac_f64_e32 v[46:47], v[6:7], v[8:9]
	v_add_f64_e32 v[76:77], v[76:77], v[44:45]
	v_mul_f64_e32 v[44:45], v[6:7], v[14:15]
	s_delay_alu instid0(VALU_DEP_3) | instskip(SKIP_1) | instid1(VALU_DEP_3)
	v_add_f64_e32 v[78:79], v[46:47], v[78:79]
	v_mul_f64_e32 v[46:47], v[4:5], v[14:15]
	v_fma_f64 v[44:45], v[4:5], v[12:13], -v[44:45]
	s_delay_alu instid0(VALU_DEP_2) | instskip(NEXT) | instid1(VALU_DEP_2)
	v_fmac_f64_e32 v[46:47], v[6:7], v[12:13]
	v_add_f64_e32 v[80:81], v[80:81], v[44:45]
	v_mul_f64_e32 v[44:45], v[6:7], v[18:19]
	s_delay_alu instid0(VALU_DEP_3) | instskip(SKIP_1) | instid1(VALU_DEP_3)
	v_add_f64_e32 v[82:83], v[46:47], v[82:83]
	v_mul_f64_e32 v[46:47], v[4:5], v[18:19]
	v_fma_f64 v[44:45], v[4:5], v[16:17], -v[44:45]
	s_delay_alu instid0(VALU_DEP_2) | instskip(NEXT) | instid1(VALU_DEP_2)
	v_fmac_f64_e32 v[46:47], v[6:7], v[16:17]
	v_add_f64_e32 v[122:123], v[84:85], v[44:45]
	v_mul_f64_e32 v[44:45], v[6:7], v[22:23]
	s_delay_alu instid0(VALU_DEP_3) | instskip(NEXT) | instid1(VALU_DEP_2)
	v_add_f64_e32 v[124:125], v[46:47], v[86:87]
	v_fma_f64 v[44:45], v[4:5], v[20:21], -v[44:45]
	v_mul_f64_e32 v[4:5], v[4:5], v[22:23]
	s_delay_alu instid0(VALU_DEP_2) | instskip(NEXT) | instid1(VALU_DEP_2)
	v_add_f64_e32 v[126:127], v[88:89], v[44:45]
	v_fmac_f64_e32 v[4:5], v[6:7], v[20:21]
	s_delay_alu instid0(VALU_DEP_1) | instskip(SKIP_4) | instid1(VALU_DEP_2)
	v_add_f64_e32 v[128:129], v[4:5], v[90:91]
	ds_load_b128 v[4:7], v105 offset:2080
	s_wait_dscnt 0x0
	v_mul_f64_e32 v[44:45], v[6:7], v[10:11]
	v_mul_f64_e32 v[46:47], v[4:5], v[10:11]
	v_fma_f64 v[44:45], v[4:5], v[8:9], -v[44:45]
	s_delay_alu instid0(VALU_DEP_2) | instskip(NEXT) | instid1(VALU_DEP_2)
	v_fmac_f64_e32 v[46:47], v[6:7], v[8:9]
	v_add_f64_e32 v[130:131], v[96:97], v[44:45]
	v_mul_f64_e32 v[44:45], v[6:7], v[14:15]
	s_delay_alu instid0(VALU_DEP_3) | instskip(SKIP_1) | instid1(VALU_DEP_3)
	v_add_f64_e32 v[132:133], v[46:47], v[98:99]
	v_mul_f64_e32 v[46:47], v[4:5], v[14:15]
	v_fma_f64 v[44:45], v[4:5], v[12:13], -v[44:45]
	s_delay_alu instid0(VALU_DEP_2) | instskip(NEXT) | instid1(VALU_DEP_2)
	v_fmac_f64_e32 v[46:47], v[6:7], v[12:13]
	v_add_f64_e32 v[134:135], v[100:101], v[44:45]
	v_mul_f64_e32 v[44:45], v[6:7], v[18:19]
	s_delay_alu instid0(VALU_DEP_3) | instskip(SKIP_1) | instid1(VALU_DEP_3)
	v_add_f64_e32 v[136:137], v[46:47], v[102:103]
	v_mul_f64_e32 v[46:47], v[4:5], v[18:19]
	v_fma_f64 v[44:45], v[4:5], v[16:17], -v[44:45]
	s_delay_alu instid0(VALU_DEP_2) | instskip(NEXT) | instid1(VALU_DEP_2)
	v_fmac_f64_e32 v[46:47], v[6:7], v[16:17]
	v_add_f64_e32 v[108:109], v[108:109], v[44:45]
	v_mul_f64_e32 v[44:45], v[6:7], v[22:23]
	s_delay_alu instid0(VALU_DEP_3) | instskip(NEXT) | instid1(VALU_DEP_2)
	v_add_f64_e32 v[110:111], v[46:47], v[110:111]
	v_fma_f64 v[44:45], v[4:5], v[20:21], -v[44:45]
	v_mul_f64_e32 v[4:5], v[4:5], v[22:23]
	s_delay_alu instid0(VALU_DEP_2) | instskip(NEXT) | instid1(VALU_DEP_2)
	v_add_f64_e32 v[112:113], v[112:113], v[44:45]
	v_fmac_f64_e32 v[4:5], v[6:7], v[20:21]
	s_delay_alu instid0(VALU_DEP_1) | instskip(SKIP_4) | instid1(VALU_DEP_2)
	v_add_f64_e32 v[114:115], v[4:5], v[114:115]
	ds_load_b128 v[4:7], v105 offset:3104
	s_wait_dscnt 0x0
	v_mul_f64_e32 v[44:45], v[6:7], v[10:11]
	v_mul_f64_e32 v[10:11], v[4:5], v[10:11]
	v_fma_f64 v[44:45], v[4:5], v[8:9], -v[44:45]
	s_delay_alu instid0(VALU_DEP_2) | instskip(SKIP_1) | instid1(VALU_DEP_3)
	v_fmac_f64_e32 v[10:11], v[6:7], v[8:9]
	v_mul_f64_e32 v[8:9], v[6:7], v[14:15]
	v_add_f64_e32 v[100:101], v[72:73], v[44:45]
	s_delay_alu instid0(VALU_DEP_3) | instskip(NEXT) | instid1(VALU_DEP_3)
	v_add_f64_e32 v[102:103], v[10:11], v[74:75]
	v_fma_f64 v[8:9], v[4:5], v[12:13], -v[8:9]
	v_mul_f64_e32 v[10:11], v[4:5], v[14:15]
	s_delay_alu instid0(VALU_DEP_2) | instskip(SKIP_1) | instid1(VALU_DEP_3)
	v_add_f64_e32 v[96:97], v[68:69], v[8:9]
	v_mul_f64_e32 v[8:9], v[6:7], v[18:19]
	v_fmac_f64_e32 v[10:11], v[6:7], v[12:13]
	ds_load_b128 v[12:15], v104 offset:3328
	v_fma_f64 v[8:9], v[4:5], v[16:17], -v[8:9]
	v_add_f64_e32 v[98:99], v[10:11], v[70:71]
	v_mul_f64_e32 v[10:11], v[4:5], v[18:19]
	s_delay_alu instid0(VALU_DEP_3) | instskip(SKIP_1) | instid1(VALU_DEP_3)
	v_add_f64_e32 v[92:93], v[64:65], v[8:9]
	v_mul_f64_e32 v[8:9], v[6:7], v[22:23]
	v_fmac_f64_e32 v[10:11], v[6:7], v[16:17]
	ds_load_b128 v[16:19], v104 offset:3072
	v_fma_f64 v[8:9], v[4:5], v[20:21], -v[8:9]
	v_mul_f64_e32 v[4:5], v[4:5], v[22:23]
	v_add_f64_e32 v[94:95], v[10:11], v[66:67]
	s_delay_alu instid0(VALU_DEP_3) | instskip(NEXT) | instid1(VALU_DEP_3)
	v_add_f64_e32 v[88:89], v[60:61], v[8:9]
	v_fmac_f64_e32 v[4:5], v[6:7], v[20:21]
	s_wait_dscnt 0x0
	v_mul_f64_e32 v[6:7], v[0:1], v[18:19]
	ds_load_b128 v[8:11], v104 offset:3584
	v_add_f64_e32 v[90:91], v[4:5], v[62:63]
	v_mul_f64_e32 v[4:5], v[2:3], v[18:19]
	v_fmac_f64_e32 v[6:7], v[2:3], v[16:17]
	s_delay_alu instid0(VALU_DEP_2) | instskip(NEXT) | instid1(VALU_DEP_2)
	v_fma_f64 v[4:5], v[0:1], v[16:17], -v[4:5]
	v_add_f64_e32 v[66:67], v[6:7], v[58:59]
	v_mul_f64_e32 v[6:7], v[0:1], v[14:15]
	s_delay_alu instid0(VALU_DEP_3) | instskip(SKIP_1) | instid1(VALU_DEP_3)
	v_add_f64_e32 v[64:65], v[56:57], v[4:5]
	v_mul_f64_e32 v[4:5], v[2:3], v[14:15]
	v_fmac_f64_e32 v[6:7], v[2:3], v[12:13]
	s_delay_alu instid0(VALU_DEP_2) | instskip(NEXT) | instid1(VALU_DEP_1)
	v_fma_f64 v[4:5], v[0:1], v[12:13], -v[4:5]
	v_add_f64_e32 v[48:49], v[52:53], v[4:5]
	s_delay_alu instid0(VALU_DEP_3) | instskip(SKIP_3) | instid1(VALU_DEP_2)
	v_add_f64_e32 v[52:53], v[6:7], v[54:55]
	s_wait_dscnt 0x0
	v_mul_f64_e32 v[4:5], v[2:3], v[10:11]
	v_mul_f64_e32 v[6:7], v[0:1], v[10:11]
	v_fma_f64 v[4:5], v[0:1], v[8:9], -v[4:5]
	s_delay_alu instid0(VALU_DEP_2) | instskip(NEXT) | instid1(VALU_DEP_2)
	v_fmac_f64_e32 v[6:7], v[2:3], v[8:9]
	v_add_f64_e32 v[44:45], v[116:117], v[4:5]
	s_delay_alu instid0(VALU_DEP_2) | instskip(SKIP_3) | instid1(VALU_DEP_1)
	v_add_f64_e32 v[46:47], v[6:7], v[50:51]
	ds_load_b128 v[4:7], v104 offset:3840
	s_wait_dscnt 0x0
	v_mul_f64_e32 v[20:21], v[2:3], v[6:7]
	v_fma_f64 v[20:21], v[0:1], v[4:5], -v[20:21]
	v_mul_f64_e32 v[0:1], v[0:1], v[6:7]
	s_delay_alu instid0(VALU_DEP_2) | instskip(NEXT) | instid1(VALU_DEP_2)
	v_add_f64_e32 v[20:21], v[118:119], v[20:21]
	v_fmac_f64_e32 v[0:1], v[2:3], v[4:5]
	s_delay_alu instid0(VALU_DEP_1) | instskip(SKIP_4) | instid1(VALU_DEP_2)
	v_add_f64_e32 v[22:23], v[0:1], v[120:121]
	ds_load_b128 v[0:3], v105 offset:1072
	s_wait_dscnt 0x0
	v_mul_f64_e32 v[50:51], v[2:3], v[18:19]
	v_mul_f64_e32 v[54:55], v[0:1], v[18:19]
	v_fma_f64 v[50:51], v[0:1], v[16:17], -v[50:51]
	s_delay_alu instid0(VALU_DEP_2) | instskip(NEXT) | instid1(VALU_DEP_2)
	v_fmac_f64_e32 v[54:55], v[2:3], v[16:17]
	v_add_f64_e32 v[84:85], v[76:77], v[50:51]
	v_mul_f64_e32 v[50:51], v[2:3], v[14:15]
	s_delay_alu instid0(VALU_DEP_3) | instskip(SKIP_1) | instid1(VALU_DEP_3)
	v_add_f64_e32 v[86:87], v[54:55], v[78:79]
	v_mul_f64_e32 v[54:55], v[0:1], v[14:15]
	v_fma_f64 v[50:51], v[0:1], v[12:13], -v[50:51]
	s_delay_alu instid0(VALU_DEP_2) | instskip(NEXT) | instid1(VALU_DEP_2)
	v_fmac_f64_e32 v[54:55], v[2:3], v[12:13]
	v_add_f64_e32 v[76:77], v[80:81], v[50:51]
	v_mul_f64_e32 v[50:51], v[2:3], v[10:11]
	s_delay_alu instid0(VALU_DEP_3) | instskip(SKIP_1) | instid1(VALU_DEP_3)
	v_add_f64_e32 v[80:81], v[54:55], v[82:83]
	v_mul_f64_e32 v[54:55], v[0:1], v[10:11]
	v_fma_f64 v[50:51], v[0:1], v[8:9], -v[50:51]
	s_delay_alu instid0(VALU_DEP_2) | instskip(NEXT) | instid1(VALU_DEP_2)
	v_fmac_f64_e32 v[54:55], v[2:3], v[8:9]
	v_add_f64_e32 v[68:69], v[122:123], v[50:51]
	v_mul_f64_e32 v[50:51], v[2:3], v[6:7]
	s_delay_alu instid0(VALU_DEP_3) | instskip(NEXT) | instid1(VALU_DEP_2)
	v_add_f64_e32 v[72:73], v[54:55], v[124:125]
	v_fma_f64 v[50:51], v[0:1], v[4:5], -v[50:51]
	v_mul_f64_e32 v[0:1], v[0:1], v[6:7]
	s_delay_alu instid0(VALU_DEP_2) | instskip(NEXT) | instid1(VALU_DEP_2)
	v_add_f64_e32 v[56:57], v[126:127], v[50:51]
	v_fmac_f64_e32 v[0:1], v[2:3], v[4:5]
	s_delay_alu instid0(VALU_DEP_1) | instskip(SKIP_4) | instid1(VALU_DEP_2)
	v_add_f64_e32 v[60:61], v[0:1], v[128:129]
	ds_load_b128 v[0:3], v105 offset:2096
	s_wait_dscnt 0x0
	v_mul_f64_e32 v[50:51], v[2:3], v[18:19]
	v_mul_f64_e32 v[54:55], v[0:1], v[18:19]
	v_fma_f64 v[50:51], v[0:1], v[16:17], -v[50:51]
	s_delay_alu instid0(VALU_DEP_2) | instskip(NEXT) | instid1(VALU_DEP_2)
	v_fmac_f64_e32 v[54:55], v[2:3], v[16:17]
	v_add_f64_e32 v[78:79], v[130:131], v[50:51]
	v_mul_f64_e32 v[50:51], v[2:3], v[14:15]
	s_delay_alu instid0(VALU_DEP_3) | instskip(SKIP_1) | instid1(VALU_DEP_3)
	v_add_f64_e32 v[82:83], v[54:55], v[132:133]
	v_mul_f64_e32 v[54:55], v[0:1], v[14:15]
	v_fma_f64 v[50:51], v[0:1], v[12:13], -v[50:51]
	s_delay_alu instid0(VALU_DEP_2) | instskip(NEXT) | instid1(VALU_DEP_2)
	v_fmac_f64_e32 v[54:55], v[2:3], v[12:13]
	v_add_f64_e32 v[70:71], v[134:135], v[50:51]
	v_mul_f64_e32 v[50:51], v[2:3], v[10:11]
	s_delay_alu instid0(VALU_DEP_3) | instskip(SKIP_1) | instid1(VALU_DEP_3)
	v_add_f64_e32 v[74:75], v[54:55], v[136:137]
	v_mul_f64_e32 v[54:55], v[0:1], v[10:11]
	v_fma_f64 v[50:51], v[0:1], v[8:9], -v[50:51]
	s_delay_alu instid0(VALU_DEP_2) | instskip(NEXT) | instid1(VALU_DEP_2)
	v_fmac_f64_e32 v[54:55], v[2:3], v[8:9]
	v_add_f64_e32 v[58:59], v[108:109], v[50:51]
	v_mul_f64_e32 v[50:51], v[2:3], v[6:7]
	s_delay_alu instid0(VALU_DEP_3) | instskip(NEXT) | instid1(VALU_DEP_2)
	v_add_f64_e32 v[62:63], v[54:55], v[110:111]
	v_fma_f64 v[50:51], v[0:1], v[4:5], -v[50:51]
	v_mul_f64_e32 v[0:1], v[0:1], v[6:7]
	s_delay_alu instid0(VALU_DEP_2) | instskip(NEXT) | instid1(VALU_DEP_2)
	v_add_f64_e32 v[50:51], v[112:113], v[50:51]
	v_fmac_f64_e32 v[0:1], v[2:3], v[4:5]
	s_delay_alu instid0(VALU_DEP_1)
	v_add_f64_e32 v[54:55], v[0:1], v[114:115]
	ds_load_b128 v[0:3], v105 offset:3120
	s_wait_dscnt 0x0
	s_barrier_signal -1
	s_barrier_wait -1
	v_mul_f64_e32 v[108:109], v[2:3], v[18:19]
	v_mul_f64_e32 v[18:19], v[0:1], v[18:19]
	s_delay_alu instid0(VALU_DEP_2) | instskip(NEXT) | instid1(VALU_DEP_2)
	v_fma_f64 v[108:109], v[0:1], v[16:17], -v[108:109]
	v_fmac_f64_e32 v[18:19], v[2:3], v[16:17]
	s_delay_alu instid0(VALU_DEP_2) | instskip(SKIP_2) | instid1(VALU_DEP_4)
	v_add_f64_e32 v[16:17], v[100:101], v[108:109]
	v_mul_f64_e32 v[100:101], v[2:3], v[14:15]
	v_mul_f64_e32 v[14:15], v[0:1], v[14:15]
	v_add_f64_e32 v[18:19], v[18:19], v[102:103]
	s_delay_alu instid0(VALU_DEP_3) | instskip(NEXT) | instid1(VALU_DEP_3)
	v_fma_f64 v[100:101], v[0:1], v[12:13], -v[100:101]
	v_fmac_f64_e32 v[14:15], v[2:3], v[12:13]
	s_delay_alu instid0(VALU_DEP_2) | instskip(SKIP_2) | instid1(VALU_DEP_4)
	v_add_f64_e32 v[12:13], v[96:97], v[100:101]
	v_mul_f64_e32 v[96:97], v[2:3], v[10:11]
	v_mul_f64_e32 v[10:11], v[0:1], v[10:11]
	v_add_f64_e32 v[14:15], v[14:15], v[98:99]
	s_delay_alu instid0(VALU_DEP_3) | instskip(NEXT) | instid1(VALU_DEP_3)
	v_fma_f64 v[96:97], v[0:1], v[8:9], -v[96:97]
	v_fmac_f64_e32 v[10:11], v[2:3], v[8:9]
	s_delay_alu instid0(VALU_DEP_2) | instskip(SKIP_1) | instid1(VALU_DEP_3)
	v_add_f64_e32 v[8:9], v[92:93], v[96:97]
	v_mul_f64_e32 v[92:93], v[2:3], v[6:7]
	v_add_f64_e32 v[10:11], v[10:11], v[94:95]
	s_delay_alu instid0(VALU_DEP_2) | instskip(SKIP_1) | instid1(VALU_DEP_2)
	v_fma_f64 v[92:93], v[0:1], v[4:5], -v[92:93]
	v_mul_f64_e32 v[0:1], v[0:1], v[6:7]
	v_add_f64_e32 v[88:89], v[88:89], v[92:93]
	s_delay_alu instid0(VALU_DEP_2) | instskip(NEXT) | instid1(VALU_DEP_1)
	v_fmac_f64_e32 v[0:1], v[2:3], v[4:5]
	v_add_f64_e32 v[90:91], v[0:1], v[90:91]
	s_cbranch_vccnz .LBB256_5
; %bb.6:                                ;   in Loop: Header=BB256_3 Depth=1
	v_add_nc_u64_e32 v[0:1], s[12:13], v[38:39]
	s_and_not1_b32 vcc_lo, exec_lo, s1
	s_mov_b32 s22, -1
                                        ; implicit-def: $vgpr2_vgpr3
                                        ; implicit-def: $vgpr4_vgpr5
	s_cbranch_vccnz .LBB256_9
.LBB256_7:                              ;   in Loop: Header=BB256_3 Depth=1
	v_mul_f64_e32 v[2:3], s[8:9], v[66:67]
	v_mul_f64_e32 v[42:43], s[8:9], v[46:47]
	;; [unrolled: 1-line block ×30, first 2 shown]
	v_lshlrev_b64_e32 v[148:149], 4, v[30:31]
	v_lshl_add_u64 v[150:151], v[26:27], 4, v[0:1]
	v_fma_f64 v[4:5], s[6:7], v[64:65], -v[2:3]
	v_mul_f64_e32 v[2:3], s[6:7], v[90:91]
	v_fma_f64 v[92:93], s[6:7], v[44:45], -v[42:43]
	v_mul_f64_e32 v[42:43], s[8:9], v[90:91]
	v_fmac_f64_e32 v[6:7], s[8:9], v[64:65]
	v_fma_f64 v[38:39], s[6:7], v[48:49], -v[38:39]
	v_fmac_f64_e32 v[40:41], s[8:9], v[48:49]
	v_add_nc_u64_e32 v[152:153], v[150:151], v[148:149]
	v_add_nc_u64_e32 v[150:151], s[20:21], v[150:151]
	v_fma_f64 v[100:101], s[6:7], v[84:85], -v[100:101]
	v_fma_f64 v[128:129], s[6:7], v[58:59], -v[128:129]
	v_fmac_f64_e32 v[94:95], s[8:9], v[44:45]
	v_fma_f64 v[144:145], s[6:7], v[8:9], -v[144:145]
	v_fmac_f64_e32 v[102:103], s[8:9], v[84:85]
	v_fmac_f64_e32 v[130:131], s[8:9], v[58:59]
	;; [unrolled: 1-line block ×3, first 2 shown]
	v_fma_f64 v[96:97], s[6:7], v[20:21], -v[96:97]
	v_fma_f64 v[108:109], s[6:7], v[76:77], -v[108:109]
	;; [unrolled: 1-line block ×3, first 2 shown]
	v_fmac_f64_e32 v[98:99], s[8:9], v[20:21]
	v_fmac_f64_e32 v[110:111], s[8:9], v[76:77]
	;; [unrolled: 1-line block ×3, first 2 shown]
	v_fma_f64 v[112:113], s[6:7], v[68:69], -v[112:113]
	v_fma_f64 v[136:137], s[6:7], v[16:17], -v[136:137]
	v_fmac_f64_e32 v[114:115], s[8:9], v[68:69]
	v_fmac_f64_e32 v[138:139], s[8:9], v[16:17]
	v_fma_f64 v[116:117], s[6:7], v[56:57], -v[116:117]
	v_fma_f64 v[140:141], s[6:7], v[12:13], -v[140:141]
	v_fmac_f64_e32 v[118:119], s[8:9], v[56:57]
	v_fmac_f64_e32 v[142:143], s[8:9], v[12:13]
	v_fma_f64 v[120:121], s[6:7], v[78:79], -v[120:121]
	v_fmac_f64_e32 v[122:123], s[8:9], v[78:79]
	v_fma_f64 v[124:125], s[6:7], v[70:71], -v[124:125]
	v_fmac_f64_e32 v[2:3], s[8:9], v[88:89]
	v_fmac_f64_e32 v[126:127], s[8:9], v[70:71]
	v_fma_f64 v[42:43], s[6:7], v[88:89], -v[42:43]
	flat_store_b128 v[152:153], v[4:7]
	s_wait_xcnt 0x0
	v_add_nc_u64_e32 v[4:5], s[20:21], v[150:151]
	v_add_nc_u64_e32 v[150:151], v[150:151], v[148:149]
	flat_store_b128 v[152:153], v[38:41] offset:256
	s_clause 0x1
	flat_store_b128 v[152:153], v[92:95] offset:512
	flat_store_b128 v[152:153], v[96:99] offset:768
	v_add_nc_u64_e32 v[6:7], s[20:21], v[4:5]
	s_wait_xcnt 0x2
	v_add_nc_u64_e32 v[38:39], v[4:5], v[148:149]
	s_clause 0x5
	flat_store_b128 v[150:151], v[100:103]
	flat_store_b128 v[150:151], v[108:111] offset:256
	flat_store_b128 v[150:151], v[112:115] offset:512
	;; [unrolled: 1-line block ×3, first 2 shown]
	flat_store_b128 v[38:39], v[120:123]
	flat_store_b128 v[38:39], v[124:127] offset:256
	v_add_nc_u64_e32 v[6:7], v[6:7], v[148:149]
	s_clause 0x5
	flat_store_b128 v[38:39], v[128:131] offset:512
	flat_store_b128 v[38:39], v[132:135] offset:768
	flat_store_b128 v[6:7], v[136:139]
	flat_store_b128 v[6:7], v[140:143] offset:256
	flat_store_b128 v[6:7], v[144:147] offset:512
	flat_store_b64 v[6:7], v[42:43] offset:768
	v_add_nc_u64_e32 v[4:5], 0x300, v[6:7]
	s_cbranch_execnz .LBB256_2
	s_branch .LBB256_10
.LBB256_8:                              ;   in Loop: Header=BB256_3 Depth=1
	v_mov_b64_e32 v[64:65], 0
	v_mov_b64_e32 v[66:67], 0
	;; [unrolled: 1-line block ×32, first 2 shown]
	s_wait_loadcnt 0x0
	s_wait_xcnt 0x0
	v_add_nc_u64_e32 v[0:1], s[12:13], v[38:39]
	s_and_not1_b32 vcc_lo, exec_lo, s1
	s_mov_b32 s22, -1
                                        ; implicit-def: $vgpr2_vgpr3
                                        ; implicit-def: $vgpr4_vgpr5
	s_cbranch_vccz .LBB256_7
.LBB256_9:                              ;   in Loop: Header=BB256_3 Depth=1
	s_and_not1_b32 vcc_lo, exec_lo, s22
	s_cbranch_vccnz .LBB256_2
.LBB256_10:                             ;   in Loop: Header=BB256_3 Depth=1
	v_add_nc_u64_e32 v[2:3], s[14:15], v[36:37]
	s_wait_xcnt 0x0
	v_lshlrev_b64_e32 v[6:7], 4, v[30:31]
	v_mul_f64_e32 v[40:41], s[8:9], v[66:67]
	v_mul_f64_e32 v[42:43], s[6:7], v[66:67]
	s_delay_alu instid0(VALU_DEP_4) | instskip(NEXT) | instid1(VALU_DEP_1)
	v_lshl_add_u64 v[36:37], v[28:29], 4, v[2:3]
	v_add_nc_u64_e32 v[38:39], v[36:37], v[6:7]
	flat_load_b128 v[2:5], v[38:39]
	v_fma_f64 v[40:41], s[6:7], v[64:65], -v[40:41]
	v_fmac_f64_e32 v[42:43], s[8:9], v[64:65]
	s_wait_loadcnt_dscnt 0x0
	v_mul_f64_e32 v[66:67], s[40:41], v[4:5]
	v_mul_f64_e32 v[4:5], s[38:39], v[4:5]
	s_delay_alu instid0(VALU_DEP_2) | instskip(NEXT) | instid1(VALU_DEP_2)
	v_fma_f64 v[64:65], s[38:39], v[2:3], -v[66:67]
	v_fmac_f64_e32 v[4:5], s[40:41], v[2:3]
	s_delay_alu instid0(VALU_DEP_2) | instskip(NEXT) | instid1(VALU_DEP_2)
	v_add_f64_e32 v[2:3], v[40:41], v[64:65]
	v_add_f64_e32 v[4:5], v[42:43], v[4:5]
	v_lshl_add_u64 v[40:41], v[26:27], 4, v[0:1]
	s_delay_alu instid0(VALU_DEP_1) | instskip(SKIP_4) | instid1(VALU_DEP_2)
	v_add_nc_u64_e32 v[42:43], v[40:41], v[6:7]
	flat_store_b128 v[42:43], v[2:5]
	flat_load_b128 v[0:3], v[38:39] offset:256
	v_mul_f64_e32 v[4:5], s[8:9], v[52:53]
	v_mul_f64_e32 v[52:53], s[6:7], v[52:53]
	v_fma_f64 v[4:5], s[6:7], v[48:49], -v[4:5]
	s_delay_alu instid0(VALU_DEP_2) | instskip(SKIP_3) | instid1(VALU_DEP_2)
	v_fmac_f64_e32 v[52:53], s[8:9], v[48:49]
	s_wait_loadcnt_dscnt 0x0
	v_mul_f64_e32 v[64:65], s[40:41], v[2:3]
	v_mul_f64_e32 v[2:3], s[38:39], v[2:3]
	v_fma_f64 v[48:49], s[38:39], v[0:1], -v[64:65]
	s_delay_alu instid0(VALU_DEP_2) | instskip(NEXT) | instid1(VALU_DEP_2)
	v_fmac_f64_e32 v[2:3], s[40:41], v[0:1]
	v_add_f64_e32 v[0:1], v[4:5], v[48:49]
	s_delay_alu instid0(VALU_DEP_2)
	v_add_f64_e32 v[2:3], v[52:53], v[2:3]
	v_mul_f64_e32 v[4:5], s[8:9], v[46:47]
	v_mul_f64_e32 v[46:47], s[6:7], v[46:47]
	flat_store_b128 v[42:43], v[0:3] offset:256
	flat_load_b128 v[0:3], v[38:39] offset:512
	v_fma_f64 v[4:5], s[6:7], v[44:45], -v[4:5]
	v_fmac_f64_e32 v[46:47], s[8:9], v[44:45]
	s_wait_loadcnt_dscnt 0x0
	v_mul_f64_e32 v[48:49], s[40:41], v[2:3]
	v_mul_f64_e32 v[2:3], s[38:39], v[2:3]
	s_delay_alu instid0(VALU_DEP_2) | instskip(NEXT) | instid1(VALU_DEP_2)
	v_fma_f64 v[44:45], s[38:39], v[0:1], -v[48:49]
	v_fmac_f64_e32 v[2:3], s[40:41], v[0:1]
	s_delay_alu instid0(VALU_DEP_2) | instskip(NEXT) | instid1(VALU_DEP_2)
	v_add_f64_e32 v[0:1], v[4:5], v[44:45]
	v_add_f64_e32 v[2:3], v[46:47], v[2:3]
	v_mul_f64_e32 v[4:5], s[8:9], v[22:23]
	v_mul_f64_e32 v[22:23], s[6:7], v[22:23]
	flat_store_b128 v[42:43], v[0:3] offset:512
	flat_load_b128 v[0:3], v[38:39] offset:768
	v_fma_f64 v[4:5], s[6:7], v[20:21], -v[4:5]
	v_fmac_f64_e32 v[22:23], s[8:9], v[20:21]
	s_wait_loadcnt_dscnt 0x0
	s_wait_xcnt 0x0
	v_mul_f64_e32 v[38:39], s[40:41], v[2:3]
	v_mul_f64_e32 v[2:3], s[38:39], v[2:3]
	s_delay_alu instid0(VALU_DEP_2) | instskip(NEXT) | instid1(VALU_DEP_2)
	v_fma_f64 v[20:21], s[38:39], v[0:1], -v[38:39]
	v_fmac_f64_e32 v[2:3], s[40:41], v[0:1]
	s_delay_alu instid0(VALU_DEP_2) | instskip(NEXT) | instid1(VALU_DEP_2)
	v_add_f64_e32 v[0:1], v[4:5], v[20:21]
	v_add_f64_e32 v[2:3], v[22:23], v[2:3]
	v_add_nc_u64_e32 v[4:5], s[18:19], v[36:37]
	v_mul_f64_e32 v[22:23], s[8:9], v[86:87]
	v_mul_f64_e32 v[36:37], s[6:7], v[86:87]
	s_delay_alu instid0(VALU_DEP_3)
	v_add_nc_u64_e32 v[20:21], v[4:5], v[6:7]
	v_add_nc_u64_e32 v[4:5], s[18:19], v[4:5]
	flat_store_b128 v[42:43], v[0:3] offset:768
	flat_load_b128 v[0:3], v[20:21]
	v_fma_f64 v[22:23], s[6:7], v[84:85], -v[22:23]
	v_fmac_f64_e32 v[36:37], s[8:9], v[84:85]
	s_wait_loadcnt_dscnt 0x0
	v_mul_f64_e32 v[38:39], s[40:41], v[2:3]
	v_mul_f64_e32 v[2:3], s[38:39], v[2:3]
	s_delay_alu instid0(VALU_DEP_2) | instskip(NEXT) | instid1(VALU_DEP_2)
	v_fma_f64 v[38:39], s[38:39], v[0:1], -v[38:39]
	v_fmac_f64_e32 v[2:3], s[40:41], v[0:1]
	s_delay_alu instid0(VALU_DEP_2) | instskip(NEXT) | instid1(VALU_DEP_2)
	v_add_f64_e32 v[0:1], v[22:23], v[38:39]
	v_add_f64_e32 v[2:3], v[36:37], v[2:3]
	v_add_nc_u64_e32 v[22:23], s[20:21], v[40:41]
	v_mul_f64_e32 v[38:39], s[8:9], v[80:81]
	v_mul_f64_e32 v[40:41], s[6:7], v[80:81]
	s_delay_alu instid0(VALU_DEP_3)
	v_add_nc_u64_e32 v[36:37], v[22:23], v[6:7]
	v_add_nc_u64_e32 v[22:23], s[20:21], v[22:23]
	flat_store_b128 v[36:37], v[0:3]
	flat_load_b128 v[0:3], v[20:21] offset:256
	v_fma_f64 v[38:39], s[6:7], v[76:77], -v[38:39]
	v_fmac_f64_e32 v[40:41], s[8:9], v[76:77]
	s_wait_loadcnt_dscnt 0x0
	v_mul_f64_e32 v[42:43], s[40:41], v[2:3]
	v_mul_f64_e32 v[2:3], s[38:39], v[2:3]
	s_delay_alu instid0(VALU_DEP_2) | instskip(NEXT) | instid1(VALU_DEP_2)
	v_fma_f64 v[42:43], s[38:39], v[0:1], -v[42:43]
	v_fmac_f64_e32 v[2:3], s[40:41], v[0:1]
	s_delay_alu instid0(VALU_DEP_2) | instskip(NEXT) | instid1(VALU_DEP_2)
	v_add_f64_e32 v[0:1], v[38:39], v[42:43]
	v_add_f64_e32 v[2:3], v[40:41], v[2:3]
	v_mul_f64_e32 v[38:39], s[8:9], v[72:73]
	v_mul_f64_e32 v[40:41], s[6:7], v[72:73]
	flat_store_b128 v[36:37], v[0:3] offset:256
	flat_load_b128 v[0:3], v[20:21] offset:512
	v_fma_f64 v[38:39], s[6:7], v[68:69], -v[38:39]
	v_fmac_f64_e32 v[40:41], s[8:9], v[68:69]
	s_wait_loadcnt_dscnt 0x0
	v_mul_f64_e32 v[42:43], s[40:41], v[2:3]
	v_mul_f64_e32 v[2:3], s[38:39], v[2:3]
	s_delay_alu instid0(VALU_DEP_2) | instskip(NEXT) | instid1(VALU_DEP_2)
	v_fma_f64 v[42:43], s[38:39], v[0:1], -v[42:43]
	v_fmac_f64_e32 v[2:3], s[40:41], v[0:1]
	s_delay_alu instid0(VALU_DEP_2) | instskip(NEXT) | instid1(VALU_DEP_2)
	v_add_f64_e32 v[0:1], v[38:39], v[42:43]
	v_add_f64_e32 v[2:3], v[40:41], v[2:3]
	v_mul_f64_e32 v[38:39], s[6:7], v[60:61]
	flat_store_b128 v[36:37], v[0:3] offset:512
	flat_load_b128 v[0:3], v[20:21] offset:768
	s_wait_xcnt 0x0
	v_mul_f64_e32 v[20:21], s[8:9], v[60:61]
	v_fmac_f64_e32 v[38:39], s[8:9], v[56:57]
	s_delay_alu instid0(VALU_DEP_2) | instskip(SKIP_3) | instid1(VALU_DEP_2)
	v_fma_f64 v[20:21], s[6:7], v[56:57], -v[20:21]
	s_wait_loadcnt_dscnt 0x0
	v_mul_f64_e32 v[40:41], s[40:41], v[2:3]
	v_mul_f64_e32 v[2:3], s[38:39], v[2:3]
	v_fma_f64 v[40:41], s[38:39], v[0:1], -v[40:41]
	s_delay_alu instid0(VALU_DEP_2) | instskip(NEXT) | instid1(VALU_DEP_2)
	v_fmac_f64_e32 v[2:3], s[40:41], v[0:1]
	v_add_f64_e32 v[0:1], v[20:21], v[40:41]
	s_delay_alu instid0(VALU_DEP_2) | instskip(SKIP_3) | instid1(VALU_DEP_1)
	v_add_f64_e32 v[2:3], v[38:39], v[2:3]
	v_add_nc_u64_e32 v[20:21], v[4:5], v[6:7]
	v_mul_f64_e32 v[38:39], s[6:7], v[82:83]
	v_add_nc_u64_e32 v[4:5], s[18:19], v[4:5]
	v_add_nc_u64_e32 v[4:5], v[4:5], v[6:7]
	flat_store_b128 v[36:37], v[0:3] offset:768
	flat_load_b128 v[0:3], v[20:21]
	v_mul_f64_e32 v[36:37], s[8:9], v[82:83]
	v_fmac_f64_e32 v[38:39], s[8:9], v[78:79]
	s_delay_alu instid0(VALU_DEP_2) | instskip(SKIP_3) | instid1(VALU_DEP_2)
	v_fma_f64 v[36:37], s[6:7], v[78:79], -v[36:37]
	s_wait_loadcnt_dscnt 0x0
	v_mul_f64_e32 v[40:41], s[40:41], v[2:3]
	v_mul_f64_e32 v[2:3], s[38:39], v[2:3]
	v_fma_f64 v[40:41], s[38:39], v[0:1], -v[40:41]
	s_delay_alu instid0(VALU_DEP_2) | instskip(NEXT) | instid1(VALU_DEP_2)
	v_fmac_f64_e32 v[2:3], s[40:41], v[0:1]
	v_add_f64_e32 v[0:1], v[36:37], v[40:41]
	s_delay_alu instid0(VALU_DEP_2)
	v_add_f64_e32 v[2:3], v[38:39], v[2:3]
	v_add_nc_u64_e32 v[36:37], v[22:23], v[6:7]
	v_mul_f64_e32 v[38:39], s[8:9], v[74:75]
	v_mul_f64_e32 v[40:41], s[6:7], v[74:75]
	flat_store_b128 v[36:37], v[0:3]
	flat_load_b128 v[0:3], v[20:21] offset:256
	v_fma_f64 v[38:39], s[6:7], v[70:71], -v[38:39]
	v_fmac_f64_e32 v[40:41], s[8:9], v[70:71]
	s_wait_loadcnt_dscnt 0x0
	v_mul_f64_e32 v[42:43], s[40:41], v[2:3]
	v_mul_f64_e32 v[2:3], s[38:39], v[2:3]
	s_delay_alu instid0(VALU_DEP_2) | instskip(NEXT) | instid1(VALU_DEP_2)
	v_fma_f64 v[42:43], s[38:39], v[0:1], -v[42:43]
	v_fmac_f64_e32 v[2:3], s[40:41], v[0:1]
	s_delay_alu instid0(VALU_DEP_2) | instskip(NEXT) | instid1(VALU_DEP_2)
	v_add_f64_e32 v[0:1], v[38:39], v[42:43]
	v_add_f64_e32 v[2:3], v[40:41], v[2:3]
	v_mul_f64_e32 v[38:39], s[8:9], v[62:63]
	v_mul_f64_e32 v[40:41], s[6:7], v[62:63]
	flat_store_b128 v[36:37], v[0:3] offset:256
	flat_load_b128 v[0:3], v[20:21] offset:512
	v_fma_f64 v[38:39], s[6:7], v[58:59], -v[38:39]
	v_fmac_f64_e32 v[40:41], s[8:9], v[58:59]
	s_wait_loadcnt_dscnt 0x0
	v_mul_f64_e32 v[42:43], s[40:41], v[2:3]
	v_mul_f64_e32 v[2:3], s[38:39], v[2:3]
	s_delay_alu instid0(VALU_DEP_2) | instskip(NEXT) | instid1(VALU_DEP_2)
	v_fma_f64 v[42:43], s[38:39], v[0:1], -v[42:43]
	v_fmac_f64_e32 v[2:3], s[40:41], v[0:1]
	s_delay_alu instid0(VALU_DEP_2) | instskip(NEXT) | instid1(VALU_DEP_2)
	v_add_f64_e32 v[0:1], v[38:39], v[42:43]
	v_add_f64_e32 v[2:3], v[40:41], v[2:3]
	v_mul_f64_e32 v[38:39], s[6:7], v[54:55]
	flat_store_b128 v[36:37], v[0:3] offset:512
	flat_load_b128 v[0:3], v[20:21] offset:768
	s_wait_xcnt 0x0
	v_mul_f64_e32 v[20:21], s[8:9], v[54:55]
	v_fmac_f64_e32 v[38:39], s[8:9], v[50:51]
	s_delay_alu instid0(VALU_DEP_2) | instskip(SKIP_3) | instid1(VALU_DEP_2)
	v_fma_f64 v[20:21], s[6:7], v[50:51], -v[20:21]
	s_wait_loadcnt_dscnt 0x0
	v_mul_f64_e32 v[40:41], s[40:41], v[2:3]
	v_mul_f64_e32 v[2:3], s[38:39], v[2:3]
	v_fma_f64 v[40:41], s[38:39], v[0:1], -v[40:41]
	s_delay_alu instid0(VALU_DEP_2) | instskip(NEXT) | instid1(VALU_DEP_2)
	v_fmac_f64_e32 v[2:3], s[40:41], v[0:1]
	v_add_f64_e32 v[0:1], v[20:21], v[40:41]
	s_delay_alu instid0(VALU_DEP_2)
	v_add_f64_e32 v[2:3], v[38:39], v[2:3]
	v_mul_f64_e32 v[20:21], s[8:9], v[18:19]
	v_mul_f64_e32 v[18:19], s[6:7], v[18:19]
	flat_store_b128 v[36:37], v[0:3] offset:768
	flat_load_b128 v[0:3], v[4:5]
	v_fma_f64 v[20:21], s[6:7], v[16:17], -v[20:21]
	v_fmac_f64_e32 v[18:19], s[8:9], v[16:17]
	s_wait_loadcnt_dscnt 0x0
	v_mul_f64_e32 v[36:37], s[40:41], v[2:3]
	v_mul_f64_e32 v[2:3], s[38:39], v[2:3]
	s_delay_alu instid0(VALU_DEP_2) | instskip(NEXT) | instid1(VALU_DEP_2)
	v_fma_f64 v[16:17], s[38:39], v[0:1], -v[36:37]
	v_fmac_f64_e32 v[2:3], s[40:41], v[0:1]
	s_delay_alu instid0(VALU_DEP_2) | instskip(NEXT) | instid1(VALU_DEP_2)
	v_add_f64_e32 v[0:1], v[20:21], v[16:17]
	v_add_f64_e32 v[2:3], v[18:19], v[2:3]
	v_add_nc_u64_e32 v[16:17], s[20:21], v[22:23]
	s_delay_alu instid0(VALU_DEP_1)
	v_add_nc_u64_e32 v[6:7], v[16:17], v[6:7]
	v_mul_f64_e32 v[16:17], s[8:9], v[14:15]
	v_mul_f64_e32 v[14:15], s[6:7], v[14:15]
	flat_store_b128 v[6:7], v[0:3]
	flat_load_b128 v[0:3], v[4:5] offset:256
	v_fma_f64 v[16:17], s[6:7], v[12:13], -v[16:17]
	v_fmac_f64_e32 v[14:15], s[8:9], v[12:13]
	s_wait_loadcnt_dscnt 0x0
	v_mul_f64_e32 v[18:19], s[40:41], v[2:3]
	v_mul_f64_e32 v[2:3], s[38:39], v[2:3]
	s_delay_alu instid0(VALU_DEP_2) | instskip(NEXT) | instid1(VALU_DEP_2)
	v_fma_f64 v[12:13], s[38:39], v[0:1], -v[18:19]
	v_fmac_f64_e32 v[2:3], s[40:41], v[0:1]
	s_delay_alu instid0(VALU_DEP_2) | instskip(NEXT) | instid1(VALU_DEP_2)
	v_add_f64_e32 v[0:1], v[16:17], v[12:13]
	v_add_f64_e32 v[2:3], v[14:15], v[2:3]
	v_mul_f64_e32 v[12:13], s[8:9], v[10:11]
	v_mul_f64_e32 v[10:11], s[6:7], v[10:11]
	flat_store_b128 v[6:7], v[0:3] offset:256
	flat_load_b128 v[0:3], v[4:5] offset:512
	v_fma_f64 v[12:13], s[6:7], v[8:9], -v[12:13]
	v_fmac_f64_e32 v[10:11], s[8:9], v[8:9]
	s_wait_loadcnt_dscnt 0x0
	v_mul_f64_e32 v[14:15], s[40:41], v[2:3]
	v_mul_f64_e32 v[2:3], s[38:39], v[2:3]
	s_delay_alu instid0(VALU_DEP_2) | instskip(NEXT) | instid1(VALU_DEP_2)
	v_fma_f64 v[8:9], s[38:39], v[0:1], -v[14:15]
	v_fmac_f64_e32 v[2:3], s[40:41], v[0:1]
	s_delay_alu instid0(VALU_DEP_2) | instskip(NEXT) | instid1(VALU_DEP_2)
	v_add_f64_e32 v[0:1], v[12:13], v[8:9]
	v_add_f64_e32 v[2:3], v[10:11], v[2:3]
	v_mul_f64_e32 v[8:9], s[6:7], v[90:91]
	flat_store_b128 v[6:7], v[0:3] offset:512
	flat_load_b128 v[0:3], v[4:5] offset:768
	s_wait_xcnt 0x0
	v_mul_f64_e32 v[4:5], s[8:9], v[90:91]
	v_fmac_f64_e32 v[8:9], s[8:9], v[88:89]
	s_delay_alu instid0(VALU_DEP_2) | instskip(SKIP_3) | instid1(VALU_DEP_2)
	v_fma_f64 v[4:5], s[6:7], v[88:89], -v[4:5]
	s_wait_loadcnt_dscnt 0x0
	v_mul_f64_e32 v[10:11], s[40:41], v[2:3]
	v_mul_f64_e32 v[2:3], s[38:39], v[2:3]
	v_fma_f64 v[10:11], s[38:39], v[0:1], -v[10:11]
	s_delay_alu instid0(VALU_DEP_2) | instskip(NEXT) | instid1(VALU_DEP_2)
	v_fmac_f64_e32 v[2:3], s[40:41], v[0:1]
	v_add_f64_e32 v[0:1], v[4:5], v[10:11]
	s_delay_alu instid0(VALU_DEP_2)
	v_add_f64_e32 v[2:3], v[8:9], v[2:3]
	v_add_nc_u64_e32 v[4:5], 0x300, v[6:7]
	flat_store_b64 v[6:7], v[0:1] offset:768
	s_branch .LBB256_2
.LBB256_11:
	s_sendmsg sendmsg(MSG_DEALLOC_VGPRS)
	s_endpgm
	.section	.rodata,"a",@progbits
	.p2align	6, 0x0
	.amdhsa_kernel _ZN12_GLOBAL__N_127rocblas_gemm_batched_kernelI19rocblas_complex_numIdELi16ELi16ELi64ELi64ELi4ELi64ELi4ELi4ELi64ELc67ELc78EKPKS2_S5_KPS2_EEvlllT_PT11_llSA_llS8_PT12_llPT13_lli
		.amdhsa_group_segment_fixed_size 8192
		.amdhsa_private_segment_fixed_size 0
		.amdhsa_kernarg_size 156
		.amdhsa_user_sgpr_count 2
		.amdhsa_user_sgpr_dispatch_ptr 0
		.amdhsa_user_sgpr_queue_ptr 0
		.amdhsa_user_sgpr_kernarg_segment_ptr 1
		.amdhsa_user_sgpr_dispatch_id 0
		.amdhsa_user_sgpr_kernarg_preload_length 0
		.amdhsa_user_sgpr_kernarg_preload_offset 0
		.amdhsa_user_sgpr_private_segment_size 0
		.amdhsa_wavefront_size32 1
		.amdhsa_uses_dynamic_stack 0
		.amdhsa_enable_private_segment 0
		.amdhsa_system_sgpr_workgroup_id_x 1
		.amdhsa_system_sgpr_workgroup_id_y 1
		.amdhsa_system_sgpr_workgroup_id_z 1
		.amdhsa_system_sgpr_workgroup_info 0
		.amdhsa_system_vgpr_workitem_id 1
		.amdhsa_next_free_vgpr 154
		.amdhsa_next_free_sgpr 52
		.amdhsa_named_barrier_count 0
		.amdhsa_reserve_vcc 1
		.amdhsa_float_round_mode_32 0
		.amdhsa_float_round_mode_16_64 0
		.amdhsa_float_denorm_mode_32 3
		.amdhsa_float_denorm_mode_16_64 3
		.amdhsa_fp16_overflow 0
		.amdhsa_memory_ordered 1
		.amdhsa_forward_progress 1
		.amdhsa_inst_pref_size 45
		.amdhsa_round_robin_scheduling 0
		.amdhsa_exception_fp_ieee_invalid_op 0
		.amdhsa_exception_fp_denorm_src 0
		.amdhsa_exception_fp_ieee_div_zero 0
		.amdhsa_exception_fp_ieee_overflow 0
		.amdhsa_exception_fp_ieee_underflow 0
		.amdhsa_exception_fp_ieee_inexact 0
		.amdhsa_exception_int_div_zero 0
	.end_amdhsa_kernel
	.section	.text._ZN12_GLOBAL__N_127rocblas_gemm_batched_kernelI19rocblas_complex_numIdELi16ELi16ELi64ELi64ELi4ELi64ELi4ELi4ELi64ELc67ELc78EKPKS2_S5_KPS2_EEvlllT_PT11_llSA_llS8_PT12_llPT13_lli,"axG",@progbits,_ZN12_GLOBAL__N_127rocblas_gemm_batched_kernelI19rocblas_complex_numIdELi16ELi16ELi64ELi64ELi4ELi64ELi4ELi4ELi64ELc67ELc78EKPKS2_S5_KPS2_EEvlllT_PT11_llSA_llS8_PT12_llPT13_lli,comdat
.Lfunc_end256:
	.size	_ZN12_GLOBAL__N_127rocblas_gemm_batched_kernelI19rocblas_complex_numIdELi16ELi16ELi64ELi64ELi4ELi64ELi4ELi4ELi64ELc67ELc78EKPKS2_S5_KPS2_EEvlllT_PT11_llSA_llS8_PT12_llPT13_lli, .Lfunc_end256-_ZN12_GLOBAL__N_127rocblas_gemm_batched_kernelI19rocblas_complex_numIdELi16ELi16ELi64ELi64ELi4ELi64ELi4ELi4ELi64ELc67ELc78EKPKS2_S5_KPS2_EEvlllT_PT11_llSA_llS8_PT12_llPT13_lli
                                        ; -- End function
	.set _ZN12_GLOBAL__N_127rocblas_gemm_batched_kernelI19rocblas_complex_numIdELi16ELi16ELi64ELi64ELi4ELi64ELi4ELi4ELi64ELc67ELc78EKPKS2_S5_KPS2_EEvlllT_PT11_llSA_llS8_PT12_llPT13_lli.num_vgpr, 154
	.set _ZN12_GLOBAL__N_127rocblas_gemm_batched_kernelI19rocblas_complex_numIdELi16ELi16ELi64ELi64ELi4ELi64ELi4ELi4ELi64ELc67ELc78EKPKS2_S5_KPS2_EEvlllT_PT11_llSA_llS8_PT12_llPT13_lli.num_agpr, 0
	.set _ZN12_GLOBAL__N_127rocblas_gemm_batched_kernelI19rocblas_complex_numIdELi16ELi16ELi64ELi64ELi4ELi64ELi4ELi4ELi64ELc67ELc78EKPKS2_S5_KPS2_EEvlllT_PT11_llSA_llS8_PT12_llPT13_lli.numbered_sgpr, 52
	.set _ZN12_GLOBAL__N_127rocblas_gemm_batched_kernelI19rocblas_complex_numIdELi16ELi16ELi64ELi64ELi4ELi64ELi4ELi4ELi64ELc67ELc78EKPKS2_S5_KPS2_EEvlllT_PT11_llSA_llS8_PT12_llPT13_lli.num_named_barrier, 0
	.set _ZN12_GLOBAL__N_127rocblas_gemm_batched_kernelI19rocblas_complex_numIdELi16ELi16ELi64ELi64ELi4ELi64ELi4ELi4ELi64ELc67ELc78EKPKS2_S5_KPS2_EEvlllT_PT11_llSA_llS8_PT12_llPT13_lli.private_seg_size, 0
	.set _ZN12_GLOBAL__N_127rocblas_gemm_batched_kernelI19rocblas_complex_numIdELi16ELi16ELi64ELi64ELi4ELi64ELi4ELi4ELi64ELc67ELc78EKPKS2_S5_KPS2_EEvlllT_PT11_llSA_llS8_PT12_llPT13_lli.uses_vcc, 1
	.set _ZN12_GLOBAL__N_127rocblas_gemm_batched_kernelI19rocblas_complex_numIdELi16ELi16ELi64ELi64ELi4ELi64ELi4ELi4ELi64ELc67ELc78EKPKS2_S5_KPS2_EEvlllT_PT11_llSA_llS8_PT12_llPT13_lli.uses_flat_scratch, 1
	.set _ZN12_GLOBAL__N_127rocblas_gemm_batched_kernelI19rocblas_complex_numIdELi16ELi16ELi64ELi64ELi4ELi64ELi4ELi4ELi64ELc67ELc78EKPKS2_S5_KPS2_EEvlllT_PT11_llSA_llS8_PT12_llPT13_lli.has_dyn_sized_stack, 0
	.set _ZN12_GLOBAL__N_127rocblas_gemm_batched_kernelI19rocblas_complex_numIdELi16ELi16ELi64ELi64ELi4ELi64ELi4ELi4ELi64ELc67ELc78EKPKS2_S5_KPS2_EEvlllT_PT11_llSA_llS8_PT12_llPT13_lli.has_recursion, 0
	.set _ZN12_GLOBAL__N_127rocblas_gemm_batched_kernelI19rocblas_complex_numIdELi16ELi16ELi64ELi64ELi4ELi64ELi4ELi4ELi64ELc67ELc78EKPKS2_S5_KPS2_EEvlllT_PT11_llSA_llS8_PT12_llPT13_lli.has_indirect_call, 0
	.section	.AMDGPU.csdata,"",@progbits
; Kernel info:
; codeLenInByte = 5704
; TotalNumSgprs: 54
; NumVgprs: 154
; ScratchSize: 0
; MemoryBound: 0
; FloatMode: 240
; IeeeMode: 1
; LDSByteSize: 8192 bytes/workgroup (compile time only)
; SGPRBlocks: 0
; VGPRBlocks: 9
; NumSGPRsForWavesPerEU: 54
; NumVGPRsForWavesPerEU: 154
; NamedBarCnt: 0
; Occupancy: 6
; WaveLimiterHint : 1
; COMPUTE_PGM_RSRC2:SCRATCH_EN: 0
; COMPUTE_PGM_RSRC2:USER_SGPR: 2
; COMPUTE_PGM_RSRC2:TRAP_HANDLER: 0
; COMPUTE_PGM_RSRC2:TGID_X_EN: 1
; COMPUTE_PGM_RSRC2:TGID_Y_EN: 1
; COMPUTE_PGM_RSRC2:TGID_Z_EN: 1
; COMPUTE_PGM_RSRC2:TIDIG_COMP_CNT: 1
	.section	.text._ZN12_GLOBAL__N_127rocblas_gemm_batched_kernelI19rocblas_complex_numIdELi16ELi16ELi64ELi64ELi4ELi64ELi4ELi4ELi64ELc67ELc84EKPKS2_S5_KPS2_EEvlllT_PT11_llSA_llS8_PT12_llPT13_lli,"axG",@progbits,_ZN12_GLOBAL__N_127rocblas_gemm_batched_kernelI19rocblas_complex_numIdELi16ELi16ELi64ELi64ELi4ELi64ELi4ELi4ELi64ELc67ELc84EKPKS2_S5_KPS2_EEvlllT_PT11_llSA_llS8_PT12_llPT13_lli,comdat
	.globl	_ZN12_GLOBAL__N_127rocblas_gemm_batched_kernelI19rocblas_complex_numIdELi16ELi16ELi64ELi64ELi4ELi64ELi4ELi4ELi64ELc67ELc84EKPKS2_S5_KPS2_EEvlllT_PT11_llSA_llS8_PT12_llPT13_lli ; -- Begin function _ZN12_GLOBAL__N_127rocblas_gemm_batched_kernelI19rocblas_complex_numIdELi16ELi16ELi64ELi64ELi4ELi64ELi4ELi4ELi64ELc67ELc84EKPKS2_S5_KPS2_EEvlllT_PT11_llSA_llS8_PT12_llPT13_lli
	.p2align	8
	.type	_ZN12_GLOBAL__N_127rocblas_gemm_batched_kernelI19rocblas_complex_numIdELi16ELi16ELi64ELi64ELi4ELi64ELi4ELi4ELi64ELc67ELc84EKPKS2_S5_KPS2_EEvlllT_PT11_llSA_llS8_PT12_llPT13_lli,@function
_ZN12_GLOBAL__N_127rocblas_gemm_batched_kernelI19rocblas_complex_numIdELi16ELi16ELi64ELi64ELi4ELi64ELi4ELi4ELi64ELc67ELc84EKPKS2_S5_KPS2_EEvlllT_PT11_llSA_llS8_PT12_llPT13_lli: ; @_ZN12_GLOBAL__N_127rocblas_gemm_batched_kernelI19rocblas_complex_numIdELi16ELi16ELi64ELi64ELi4ELi64ELi4ELi4ELi64ELc67ELc84EKPKS2_S5_KPS2_EEvlllT_PT11_llSA_llS8_PT12_llPT13_lli
; %bb.0:
	s_load_b32 s26, s[0:1], 0x98
	s_bfe_u32 s2, ttmp6, 0x40014
	s_lshr_b32 s3, ttmp7, 16
	s_add_co_i32 s2, s2, 1
	s_bfe_u32 s4, ttmp6, 0x40008
	s_mul_i32 s2, s3, s2
	s_getreg_b32 s20, hwreg(HW_REG_IB_STS2, 6, 4)
	s_add_co_i32 s4, s4, s2
	s_cmp_eq_u32 s20, 0
	s_cselect_b32 s2, s3, s4
	s_mov_b32 s3, 0
	s_wait_kmcnt 0x0
	s_cmp_ge_i32 s2, s26
	s_cbranch_scc1 .LBB257_11
; %bb.1:
	s_bfe_u32 s21, ttmp6, 0x4000c
	s_bfe_u32 s23, ttmp6, 0x40010
	s_add_co_i32 s21, s21, 1
	s_and_b32 s24, ttmp7, 0xffff
	s_add_co_i32 s23, s23, 1
	v_bfe_u32 v24, v0, 10, 10
	v_and_b32_e32 v2, 0x3ff, v0
	s_clause 0x1
	s_load_b512 s[4:19], s[0:1], 0x10
	s_load_b512 s[36:51], s[0:1], 0x50
	s_and_b32 s22, ttmp6, 15
	s_mul_i32 s21, ttmp9, s21
	s_mul_i32 s23, s24, s23
	s_bfe_u32 s25, ttmp6, 0x40004
	s_add_co_i32 s22, s22, s21
	s_add_co_i32 s25, s25, s23
	s_cmp_eq_u32 s20, 0
	v_lshl_add_u32 v10, v24, 4, v2
	s_cselect_b32 s20, ttmp9, s22
	s_cselect_b32 s22, s24, s25
	s_ashr_i32 s21, s20, 31
	v_mov_b32_e32 v25, 0
	s_lshl_b64 s[20:21], s[20:21], 6
	s_delay_alu instid0(SALU_CYCLE_1) | instskip(NEXT) | instid1(VALU_DEP_2)
	v_dual_mov_b32 v5, s21 :: v_dual_bitop2_b32 v11, 63, v10 bitop3:0x40
	v_dual_mov_b32 v7, v25 :: v_dual_lshrrev_b32 v6, 2, v10
	s_wait_xcnt 0x0
	s_load_b64 s[0:1], s[0:1], 0x90
	s_delay_alu instid0(VALU_DEP_2)
	v_or_b32_e32 v4, s20, v11
	s_wait_kmcnt 0x0
	v_cmp_eq_f64_e64 s24, s[38:39], 0
	v_cmp_eq_f64_e64 s25, s[40:41], 0
	v_mov_b32_e32 v3, v25
	v_lshl_add_u32 v105, v24, 6, 0x1000
	v_mul_u64_e32 v[4:5], s[12:13], v[4:5]
	s_lshl_b32 s12, s22, 6
	s_mov_b32 s13, s3
	v_add_nc_u64_e32 v[30:31], s[20:21], v[2:3]
	v_add_nc_u64_e32 v[8:9], s[12:13], v[6:7]
	v_and_b32_e32 v7, 3, v0
	v_add_nc_u64_e32 v[0:1], s[12:13], v[24:25]
	s_lshl_b64 s[12:13], s[14:15], 4
	v_lshlrev_b32_e32 v104, 4, v2
	v_cmp_gt_i64_e64 s14, s[4:5], 0
	s_lshl_b64 s[22:23], s[50:51], 4
	v_mad_nc_u64_u32 v[8:9], s18, v7, v[8:9]
	s_lshl_b64 s[20:21], s[44:45], 4
	v_mul_u64_e32 v[26:27], s[50:51], v[0:1]
	v_mul_u64_e32 v[28:29], s[44:45], v[0:1]
	v_dual_lshlrev_b32 v0, 4, v7 :: v_dual_lshrrev_b32 v1, 6, v10
	s_lshl_b64 s[20:21], s[20:21], 4
	s_lshl_b64 s[22:23], s[22:23], 4
	s_delay_alu instid0(VALU_DEP_1) | instskip(SKIP_2) | instid1(VALU_DEP_3)
	v_lshl_or_b32 v6, v6, 6, v0
	v_mad_u32 v9, s19, v7, v9
	v_dual_lshlrev_b32 v7, 4, v11 :: v_dual_lshlrev_b32 v24, 4, v1
	v_add_nc_u32_e32 v107, 0x1000, v6
	s_delay_alu instid0(VALU_DEP_2) | instskip(SKIP_4) | instid1(VALU_DEP_2)
	v_lshl_or_b32 v106, v1, 10, v7
	v_lshl_add_u64 v[0:1], v[4:5], 4, s[12:13]
	v_lshlrev_b64_e32 v[2:3], 4, v[8:9]
	s_lshl_b64 s[12:13], s[18:19], 6
	s_lshl_b64 s[18:19], s[46:47], 4
	v_add_nc_u64_e32 v[32:33], v[0:1], v[24:25]
	v_cndmask_b32_e64 v0, 0, 1, s14
	s_lshl_b64 s[14:15], s[0:1], 4
	s_delay_alu instid0(VALU_DEP_3) | instskip(SKIP_1) | instid1(VALU_DEP_2)
	v_lshl_add_u64 v[34:35], s[36:37], 4, v[2:3]
	s_and_b32 s1, s24, s25
	v_cmp_ne_u32_e64 s0, 1, v0
	s_delay_alu instid0(VALU_DEP_4)
	v_or_b32_e32 v32, 8, v32
	s_branch .LBB257_3
.LBB257_2:                              ;   in Loop: Header=BB257_3 Depth=1
	s_add_co_i32 s2, s2, 0x10000
	flat_store_b64 v[4:5], v[2:3] offset:8
	s_cmp_lt_i32 s2, s26
	s_cbranch_scc0 .LBB257_11
.LBB257_3:                              ; =>This Loop Header: Depth=1
                                        ;     Child Loop BB257_5 Depth 2
	s_wait_xcnt 0x1
	v_mov_b32_e32 v0, s2
	s_and_b32 vcc_lo, exec_lo, s0
	s_clause 0x1
	global_load_b64 v[36:37], v0, s[42:43] scale_offset
	global_load_b64 v[38:39], v0, s[48:49] scale_offset
	s_cbranch_vccnz .LBB257_8
; %bb.4:                                ;   in Loop: Header=BB257_3 Depth=1
	s_lshl_b64 s[24:25], s[2:3], 3
	v_mov_b64_e32 v[90:91], 0
	s_add_nc_u64 s[28:29], s[10:11], s[24:25]
	s_add_nc_u64 s[24:25], s[16:17], s[24:25]
	s_clause 0x1
	global_load_b64 v[0:1], v25, s[28:29]
	global_load_b64 v[2:3], v25, s[24:25]
	v_mov_b64_e32 v[88:89], 0
	v_mov_b64_e32 v[10:11], 0
	;; [unrolled: 1-line block ×31, first 2 shown]
	s_wait_xcnt 0x0
	s_mov_b64 s[24:25], 0
	s_wait_loadcnt 0x1
	v_add_nc_u64_e32 v[40:41], v[0:1], v[32:33]
	s_wait_loadcnt 0x0
	v_add_nc_u64_e32 v[42:43], v[2:3], v[34:35]
.LBB257_5:                              ;   Parent Loop BB257_3 Depth=1
                                        ; =>  This Inner Loop Header: Depth=2
	flat_load_b128 v[0:3], v[40:41] offset:-8
	s_add_nc_u64 s[24:25], s[24:25], 4
	s_wait_xcnt 0x0
	v_add_nc_u64_e32 v[40:41], 64, v[40:41]
	v_cmp_lt_i64_e64 s27, s[24:25], s[4:5]
	s_and_b32 vcc_lo, exec_lo, s27
	s_wait_loadcnt_dscnt 0x0
	v_xor_b32_e32 v3, 0x80000000, v3
	ds_store_b128 v106, v[0:3]
	flat_load_b128 v[0:3], v[42:43]
	s_wait_xcnt 0x0
	v_add_nc_u64_e32 v[42:43], s[12:13], v[42:43]
	s_wait_loadcnt_dscnt 0x0
	ds_store_2addr_b64 v107, v[0:1], v[2:3] offset1:1
	s_wait_dscnt 0x0
	s_barrier_signal -1
	s_barrier_wait -1
	ds_load_b128 v[92:95], v105
	ds_load_b128 v[96:99], v105 offset:16
	ds_load_b128 v[4:7], v105 offset:32
	;; [unrolled: 1-line block ×3, first 2 shown]
	ds_load_b128 v[100:103], v104
	s_wait_dscnt 0x0
	v_mul_f64_e32 v[108:109], v[94:95], v[102:103]
	v_mul_f64_e32 v[110:111], v[92:93], v[102:103]
	s_delay_alu instid0(VALU_DEP_2) | instskip(NEXT) | instid1(VALU_DEP_2)
	v_fma_f64 v[108:109], v[92:93], v[100:101], -v[108:109]
	v_fmac_f64_e32 v[110:111], v[94:95], v[100:101]
	s_delay_alu instid0(VALU_DEP_2) | instskip(NEXT) | instid1(VALU_DEP_2)
	v_add_f64_e32 v[112:113], v[64:65], v[108:109]
	v_add_f64_e32 v[114:115], v[110:111], v[66:67]
	ds_load_b128 v[64:67], v104 offset:256
	s_wait_dscnt 0x0
	v_mul_f64_e32 v[108:109], v[94:95], v[66:67]
	v_mul_f64_e32 v[110:111], v[92:93], v[66:67]
	s_delay_alu instid0(VALU_DEP_2) | instskip(NEXT) | instid1(VALU_DEP_2)
	v_fma_f64 v[108:109], v[92:93], v[64:65], -v[108:109]
	v_fmac_f64_e32 v[110:111], v[94:95], v[64:65]
	s_delay_alu instid0(VALU_DEP_2) | instskip(NEXT) | instid1(VALU_DEP_2)
	v_add_f64_e32 v[48:49], v[48:49], v[108:109]
	v_add_f64_e32 v[116:117], v[110:111], v[52:53]
	ds_load_b128 v[108:111], v104 offset:512
	;; [unrolled: 10-line block ×3, first 2 shown]
	s_wait_dscnt 0x0
	v_mul_f64_e32 v[52:53], v[94:95], v[46:47]
	s_delay_alu instid0(VALU_DEP_1) | instskip(SKIP_1) | instid1(VALU_DEP_1)
	v_fma_f64 v[52:53], v[92:93], v[44:45], -v[52:53]
	v_mul_f64_e32 v[92:93], v[92:93], v[46:47]
	v_fmac_f64_e32 v[92:93], v[94:95], v[44:45]
	s_delay_alu instid0(VALU_DEP_3) | instskip(NEXT) | instid1(VALU_DEP_2)
	v_add_f64_e32 v[94:95], v[20:21], v[52:53]
	v_add_f64_e32 v[92:93], v[92:93], v[22:23]
	ds_load_b128 v[20:23], v105 offset:1024
	s_wait_dscnt 0x0
	v_mul_f64_e32 v[52:53], v[22:23], v[102:103]
	v_mul_f64_e32 v[122:123], v[20:21], v[102:103]
	s_delay_alu instid0(VALU_DEP_2) | instskip(NEXT) | instid1(VALU_DEP_2)
	v_fma_f64 v[52:53], v[20:21], v[100:101], -v[52:53]
	v_fmac_f64_e32 v[122:123], v[22:23], v[100:101]
	s_delay_alu instid0(VALU_DEP_2) | instskip(SKIP_1) | instid1(VALU_DEP_3)
	v_add_f64_e32 v[84:85], v[84:85], v[52:53]
	v_mul_f64_e32 v[52:53], v[22:23], v[66:67]
	v_add_f64_e32 v[86:87], v[122:123], v[86:87]
	v_mul_f64_e32 v[122:123], v[20:21], v[66:67]
	s_delay_alu instid0(VALU_DEP_3) | instskip(NEXT) | instid1(VALU_DEP_2)
	v_fma_f64 v[52:53], v[20:21], v[64:65], -v[52:53]
	v_fmac_f64_e32 v[122:123], v[22:23], v[64:65]
	s_delay_alu instid0(VALU_DEP_2) | instskip(SKIP_2) | instid1(VALU_DEP_4)
	v_add_f64_e32 v[124:125], v[76:77], v[52:53]
	v_mul_f64_e32 v[52:53], v[22:23], v[110:111]
	v_mul_f64_e32 v[76:77], v[20:21], v[110:111]
	v_add_f64_e32 v[122:123], v[122:123], v[80:81]
	s_delay_alu instid0(VALU_DEP_3) | instskip(NEXT) | instid1(VALU_DEP_3)
	v_fma_f64 v[52:53], v[20:21], v[108:109], -v[52:53]
	v_fmac_f64_e32 v[76:77], v[22:23], v[108:109]
	s_delay_alu instid0(VALU_DEP_2) | instskip(SKIP_1) | instid1(VALU_DEP_3)
	v_add_f64_e32 v[126:127], v[68:69], v[52:53]
	v_mul_f64_e32 v[52:53], v[22:23], v[46:47]
	v_add_f64_e32 v[128:129], v[76:77], v[72:73]
	s_delay_alu instid0(VALU_DEP_2) | instskip(SKIP_1) | instid1(VALU_DEP_2)
	v_fma_f64 v[52:53], v[20:21], v[44:45], -v[52:53]
	v_mul_f64_e32 v[20:21], v[20:21], v[46:47]
	v_add_f64_e32 v[130:131], v[56:57], v[52:53]
	s_delay_alu instid0(VALU_DEP_2) | instskip(NEXT) | instid1(VALU_DEP_1)
	v_fmac_f64_e32 v[20:21], v[22:23], v[44:45]
	v_add_f64_e32 v[132:133], v[20:21], v[60:61]
	ds_load_b128 v[20:23], v105 offset:2048
	s_wait_dscnt 0x0
	v_mul_f64_e32 v[52:53], v[22:23], v[102:103]
	v_mul_f64_e32 v[56:57], v[20:21], v[102:103]
	s_delay_alu instid0(VALU_DEP_2) | instskip(NEXT) | instid1(VALU_DEP_2)
	v_fma_f64 v[52:53], v[20:21], v[100:101], -v[52:53]
	v_fmac_f64_e32 v[56:57], v[22:23], v[100:101]
	s_delay_alu instid0(VALU_DEP_2) | instskip(SKIP_1) | instid1(VALU_DEP_3)
	v_add_f64_e32 v[134:135], v[78:79], v[52:53]
	v_mul_f64_e32 v[52:53], v[22:23], v[66:67]
	v_add_f64_e32 v[136:137], v[56:57], v[82:83]
	v_mul_f64_e32 v[56:57], v[20:21], v[66:67]
	s_delay_alu instid0(VALU_DEP_3) | instskip(NEXT) | instid1(VALU_DEP_2)
	v_fma_f64 v[52:53], v[20:21], v[64:65], -v[52:53]
	v_fmac_f64_e32 v[56:57], v[22:23], v[64:65]
	s_delay_alu instid0(VALU_DEP_2) | instskip(SKIP_1) | instid1(VALU_DEP_3)
	v_add_f64_e32 v[138:139], v[70:71], v[52:53]
	v_mul_f64_e32 v[52:53], v[22:23], v[110:111]
	v_add_f64_e32 v[140:141], v[56:57], v[74:75]
	v_mul_f64_e32 v[56:57], v[20:21], v[110:111]
	s_delay_alu instid0(VALU_DEP_3) | instskip(NEXT) | instid1(VALU_DEP_2)
	v_fma_f64 v[52:53], v[20:21], v[108:109], -v[52:53]
	v_fmac_f64_e32 v[56:57], v[22:23], v[108:109]
	s_delay_alu instid0(VALU_DEP_2) | instskip(SKIP_1) | instid1(VALU_DEP_3)
	v_add_f64_e32 v[142:143], v[58:59], v[52:53]
	v_mul_f64_e32 v[52:53], v[22:23], v[46:47]
	v_add_f64_e32 v[144:145], v[56:57], v[62:63]
	s_delay_alu instid0(VALU_DEP_2) | instskip(SKIP_1) | instid1(VALU_DEP_2)
	v_fma_f64 v[52:53], v[20:21], v[44:45], -v[52:53]
	v_mul_f64_e32 v[20:21], v[20:21], v[46:47]
	v_add_f64_e32 v[146:147], v[50:51], v[52:53]
	s_delay_alu instid0(VALU_DEP_2) | instskip(NEXT) | instid1(VALU_DEP_1)
	v_fmac_f64_e32 v[20:21], v[22:23], v[44:45]
	v_add_f64_e32 v[148:149], v[20:21], v[54:55]
	ds_load_b128 v[20:23], v105 offset:3072
	s_wait_dscnt 0x0
	v_mul_f64_e32 v[50:51], v[22:23], v[102:103]
	v_mul_f64_e32 v[52:53], v[20:21], v[102:103]
	s_delay_alu instid0(VALU_DEP_2) | instskip(NEXT) | instid1(VALU_DEP_2)
	v_fma_f64 v[50:51], v[20:21], v[100:101], -v[50:51]
	v_fmac_f64_e32 v[52:53], v[22:23], v[100:101]
	s_delay_alu instid0(VALU_DEP_2) | instskip(NEXT) | instid1(VALU_DEP_2)
	v_add_f64_e32 v[72:73], v[16:17], v[50:51]
	v_add_f64_e32 v[74:75], v[52:53], v[18:19]
	v_mul_f64_e32 v[16:17], v[22:23], v[66:67]
	v_mul_f64_e32 v[18:19], v[20:21], v[66:67]
	s_delay_alu instid0(VALU_DEP_2) | instskip(NEXT) | instid1(VALU_DEP_2)
	v_fma_f64 v[16:17], v[20:21], v[64:65], -v[16:17]
	v_fmac_f64_e32 v[18:19], v[22:23], v[64:65]
	s_delay_alu instid0(VALU_DEP_2) | instskip(NEXT) | instid1(VALU_DEP_2)
	v_add_f64_e32 v[68:69], v[12:13], v[16:17]
	v_add_f64_e32 v[70:71], v[18:19], v[14:15]
	v_mul_f64_e32 v[12:13], v[22:23], v[110:111]
	v_mul_f64_e32 v[14:15], v[20:21], v[110:111]
	ds_load_b128 v[16:19], v104 offset:1280
	v_fma_f64 v[12:13], v[20:21], v[108:109], -v[12:13]
	v_fmac_f64_e32 v[14:15], v[22:23], v[108:109]
	s_delay_alu instid0(VALU_DEP_2) | instskip(NEXT) | instid1(VALU_DEP_2)
	v_add_f64_e32 v[64:65], v[8:9], v[12:13]
	v_add_f64_e32 v[66:67], v[14:15], v[10:11]
	v_mul_f64_e32 v[8:9], v[22:23], v[46:47]
	v_mul_f64_e32 v[10:11], v[20:21], v[46:47]
	ds_load_b128 v[12:15], v104 offset:1536
	v_fma_f64 v[8:9], v[20:21], v[44:45], -v[8:9]
	v_fmac_f64_e32 v[10:11], v[22:23], v[44:45]
	ds_load_b128 v[20:23], v104 offset:1024
	v_add_f64_e32 v[60:61], v[88:89], v[8:9]
	v_add_f64_e32 v[62:63], v[10:11], v[90:91]
	s_wait_dscnt 0x0
	v_mul_f64_e32 v[8:9], v[98:99], v[22:23]
	v_mul_f64_e32 v[10:11], v[96:97], v[22:23]
	ds_load_b128 v[88:91], v105 offset:1040
	s_wait_dscnt 0x0
	v_mul_f64_e32 v[76:77], v[90:91], v[22:23]
	v_mul_f64_e32 v[78:79], v[88:89], v[22:23]
	;; [unrolled: 1-line block ×4, first 2 shown]
	v_fma_f64 v[8:9], v[96:97], v[20:21], -v[8:9]
	v_fmac_f64_e32 v[10:11], v[98:99], v[20:21]
	v_fma_f64 v[76:77], v[88:89], v[20:21], -v[76:77]
	v_fmac_f64_e32 v[78:79], v[90:91], v[20:21]
	;; [unrolled: 2-line block ×3, first 2 shown]
	v_add_f64_e32 v[56:57], v[112:113], v[8:9]
	v_add_f64_e32 v[58:59], v[10:11], v[114:115]
	v_mul_f64_e32 v[8:9], v[98:99], v[18:19]
	v_mul_f64_e32 v[10:11], v[96:97], v[18:19]
	v_add_f64_e32 v[76:77], v[84:85], v[76:77]
	v_add_f64_e32 v[78:79], v[78:79], v[86:87]
	v_mul_f64_e32 v[84:85], v[90:91], v[14:15]
	v_mul_f64_e32 v[86:87], v[88:89], v[14:15]
	v_add_f64_e32 v[80:81], v[124:125], v[80:81]
	v_add_f64_e32 v[82:83], v[82:83], v[122:123]
	v_fma_f64 v[8:9], v[96:97], v[16:17], -v[8:9]
	v_fmac_f64_e32 v[10:11], v[98:99], v[16:17]
	v_fma_f64 v[84:85], v[88:89], v[12:13], -v[84:85]
	v_fmac_f64_e32 v[86:87], v[90:91], v[12:13]
	s_delay_alu instid0(VALU_DEP_4) | instskip(NEXT) | instid1(VALU_DEP_4)
	v_add_f64_e32 v[52:53], v[48:49], v[8:9]
	v_add_f64_e32 v[54:55], v[10:11], v[116:117]
	v_mul_f64_e32 v[8:9], v[98:99], v[14:15]
	v_mul_f64_e32 v[10:11], v[96:97], v[14:15]
	v_add_f64_e32 v[84:85], v[126:127], v[84:85]
	v_add_f64_e32 v[86:87], v[86:87], v[128:129]
	s_delay_alu instid0(VALU_DEP_4) | instskip(NEXT) | instid1(VALU_DEP_4)
	v_fma_f64 v[8:9], v[96:97], v[12:13], -v[8:9]
	v_fmac_f64_e32 v[10:11], v[98:99], v[12:13]
	s_delay_alu instid0(VALU_DEP_2) | instskip(NEXT) | instid1(VALU_DEP_2)
	v_add_f64_e32 v[48:49], v[120:121], v[8:9]
	v_add_f64_e32 v[50:51], v[10:11], v[118:119]
	ds_load_b128 v[8:11], v104 offset:1792
	s_wait_dscnt 0x0
	v_mul_f64_e32 v[44:45], v[98:99], v[10:11]
	v_mul_f64_e32 v[46:47], v[96:97], v[10:11]
	s_delay_alu instid0(VALU_DEP_2) | instskip(NEXT) | instid1(VALU_DEP_2)
	v_fma_f64 v[44:45], v[96:97], v[8:9], -v[44:45]
	v_fmac_f64_e32 v[46:47], v[98:99], v[8:9]
	s_delay_alu instid0(VALU_DEP_2) | instskip(NEXT) | instid1(VALU_DEP_2)
	v_add_f64_e32 v[44:45], v[94:95], v[44:45]
	v_add_f64_e32 v[46:47], v[46:47], v[92:93]
	v_mul_f64_e32 v[92:93], v[90:91], v[10:11]
	v_mul_f64_e32 v[94:95], v[88:89], v[10:11]
	s_delay_alu instid0(VALU_DEP_2) | instskip(NEXT) | instid1(VALU_DEP_2)
	v_fma_f64 v[92:93], v[88:89], v[8:9], -v[92:93]
	v_fmac_f64_e32 v[94:95], v[90:91], v[8:9]
	s_delay_alu instid0(VALU_DEP_2) | instskip(NEXT) | instid1(VALU_DEP_2)
	v_add_f64_e32 v[88:89], v[130:131], v[92:93]
	v_add_f64_e32 v[90:91], v[94:95], v[132:133]
	ds_load_b128 v[92:95], v105 offset:2064
	s_wait_dscnt 0x0
	v_mul_f64_e32 v[96:97], v[94:95], v[22:23]
	v_mul_f64_e32 v[100:101], v[94:95], v[18:19]
	;; [unrolled: 1-line block ×7, first 2 shown]
	v_fma_f64 v[96:97], v[92:93], v[20:21], -v[96:97]
	v_fma_f64 v[100:101], v[92:93], v[16:17], -v[100:101]
	;; [unrolled: 1-line block ×4, first 2 shown]
	v_mul_f64_e32 v[92:93], v[92:93], v[10:11]
	v_fmac_f64_e32 v[98:99], v[94:95], v[20:21]
	v_fmac_f64_e32 v[102:103], v[94:95], v[16:17]
	v_fmac_f64_e32 v[110:111], v[94:95], v[12:13]
	v_add_f64_e32 v[96:97], v[134:135], v[96:97]
	v_add_f64_e32 v[100:101], v[138:139], v[100:101]
	;; [unrolled: 1-line block ×4, first 2 shown]
	v_fmac_f64_e32 v[92:93], v[94:95], v[8:9]
	v_add_f64_e32 v[98:99], v[98:99], v[136:137]
	v_add_f64_e32 v[102:103], v[102:103], v[140:141]
	;; [unrolled: 1-line block ×3, first 2 shown]
	s_delay_alu instid0(VALU_DEP_4) | instskip(SKIP_4) | instid1(VALU_DEP_2)
	v_add_f64_e32 v[114:115], v[92:93], v[148:149]
	ds_load_b128 v[92:95], v105 offset:3088
	s_wait_dscnt 0x0
	v_mul_f64_e32 v[116:117], v[94:95], v[22:23]
	v_mul_f64_e32 v[22:23], v[92:93], v[22:23]
	v_fma_f64 v[116:117], v[92:93], v[20:21], -v[116:117]
	s_delay_alu instid0(VALU_DEP_2) | instskip(SKIP_2) | instid1(VALU_DEP_4)
	v_fmac_f64_e32 v[22:23], v[94:95], v[20:21]
	v_mul_f64_e32 v[20:21], v[94:95], v[18:19]
	v_mul_f64_e32 v[18:19], v[92:93], v[18:19]
	v_add_f64_e32 v[72:73], v[72:73], v[116:117]
	s_delay_alu instid0(VALU_DEP_4) | instskip(NEXT) | instid1(VALU_DEP_4)
	v_add_f64_e32 v[74:75], v[22:23], v[74:75]
	v_fma_f64 v[20:21], v[92:93], v[16:17], -v[20:21]
	s_delay_alu instid0(VALU_DEP_4) | instskip(SKIP_2) | instid1(VALU_DEP_4)
	v_fmac_f64_e32 v[18:19], v[94:95], v[16:17]
	v_mul_f64_e32 v[16:17], v[94:95], v[14:15]
	v_mul_f64_e32 v[14:15], v[92:93], v[14:15]
	v_add_f64_e32 v[68:69], v[68:69], v[20:21]
	s_delay_alu instid0(VALU_DEP_4) | instskip(NEXT) | instid1(VALU_DEP_4)
	v_add_f64_e32 v[70:71], v[18:19], v[70:71]
	v_fma_f64 v[16:17], v[92:93], v[12:13], -v[16:17]
	s_delay_alu instid0(VALU_DEP_4) | instskip(SKIP_2) | instid1(VALU_DEP_4)
	v_fmac_f64_e32 v[14:15], v[94:95], v[12:13]
	v_mul_f64_e32 v[12:13], v[94:95], v[10:11]
	v_mul_f64_e32 v[10:11], v[92:93], v[10:11]
	v_add_f64_e32 v[64:65], v[64:65], v[16:17]
	s_delay_alu instid0(VALU_DEP_4) | instskip(NEXT) | instid1(VALU_DEP_4)
	v_add_f64_e32 v[66:67], v[14:15], v[66:67]
	v_fma_f64 v[12:13], v[92:93], v[8:9], -v[12:13]
	s_delay_alu instid0(VALU_DEP_4) | instskip(NEXT) | instid1(VALU_DEP_2)
	v_fmac_f64_e32 v[10:11], v[94:95], v[8:9]
	v_add_f64_e32 v[60:61], v[60:61], v[12:13]
	s_delay_alu instid0(VALU_DEP_2) | instskip(SKIP_4) | instid1(VALU_DEP_2)
	v_add_f64_e32 v[62:63], v[10:11], v[62:63]
	ds_load_b128 v[8:11], v104 offset:2048
	s_wait_dscnt 0x0
	v_mul_f64_e32 v[12:13], v[6:7], v[10:11]
	v_mul_f64_e32 v[14:15], v[4:5], v[10:11]
	v_fma_f64 v[12:13], v[4:5], v[8:9], -v[12:13]
	s_delay_alu instid0(VALU_DEP_2) | instskip(NEXT) | instid1(VALU_DEP_2)
	v_fmac_f64_e32 v[14:15], v[6:7], v[8:9]
	v_add_f64_e32 v[56:57], v[56:57], v[12:13]
	s_delay_alu instid0(VALU_DEP_2) | instskip(SKIP_4) | instid1(VALU_DEP_2)
	v_add_f64_e32 v[58:59], v[14:15], v[58:59]
	ds_load_b128 v[12:15], v104 offset:2304
	s_wait_dscnt 0x0
	v_mul_f64_e32 v[16:17], v[6:7], v[14:15]
	v_mul_f64_e32 v[18:19], v[4:5], v[14:15]
	v_fma_f64 v[16:17], v[4:5], v[12:13], -v[16:17]
	s_delay_alu instid0(VALU_DEP_2) | instskip(NEXT) | instid1(VALU_DEP_2)
	;; [unrolled: 10-line block ×3, first 2 shown]
	v_fmac_f64_e32 v[22:23], v[6:7], v[16:17]
	v_add_f64_e32 v[116:117], v[48:49], v[20:21]
	s_delay_alu instid0(VALU_DEP_2) | instskip(SKIP_3) | instid1(VALU_DEP_1)
	v_add_f64_e32 v[50:51], v[22:23], v[50:51]
	ds_load_b128 v[20:23], v104 offset:2816
	s_wait_dscnt 0x0
	v_mul_f64_e32 v[48:49], v[6:7], v[22:23]
	v_fma_f64 v[48:49], v[4:5], v[20:21], -v[48:49]
	v_mul_f64_e32 v[4:5], v[4:5], v[22:23]
	s_delay_alu instid0(VALU_DEP_2) | instskip(NEXT) | instid1(VALU_DEP_2)
	v_add_f64_e32 v[118:119], v[44:45], v[48:49]
	v_fmac_f64_e32 v[4:5], v[6:7], v[20:21]
	s_delay_alu instid0(VALU_DEP_1) | instskip(SKIP_4) | instid1(VALU_DEP_2)
	v_add_f64_e32 v[120:121], v[4:5], v[46:47]
	ds_load_b128 v[4:7], v105 offset:1056
	s_wait_dscnt 0x0
	v_mul_f64_e32 v[44:45], v[6:7], v[10:11]
	v_mul_f64_e32 v[46:47], v[4:5], v[10:11]
	v_fma_f64 v[44:45], v[4:5], v[8:9], -v[44:45]
	s_delay_alu instid0(VALU_DEP_2) | instskip(NEXT) | instid1(VALU_DEP_2)
	v_fmac_f64_e32 v[46:47], v[6:7], v[8:9]
	v_add_f64_e32 v[76:77], v[76:77], v[44:45]
	v_mul_f64_e32 v[44:45], v[6:7], v[14:15]
	s_delay_alu instid0(VALU_DEP_3) | instskip(SKIP_1) | instid1(VALU_DEP_3)
	v_add_f64_e32 v[78:79], v[46:47], v[78:79]
	v_mul_f64_e32 v[46:47], v[4:5], v[14:15]
	v_fma_f64 v[44:45], v[4:5], v[12:13], -v[44:45]
	s_delay_alu instid0(VALU_DEP_2) | instskip(NEXT) | instid1(VALU_DEP_2)
	v_fmac_f64_e32 v[46:47], v[6:7], v[12:13]
	v_add_f64_e32 v[80:81], v[80:81], v[44:45]
	v_mul_f64_e32 v[44:45], v[6:7], v[18:19]
	s_delay_alu instid0(VALU_DEP_3) | instskip(SKIP_1) | instid1(VALU_DEP_3)
	v_add_f64_e32 v[82:83], v[46:47], v[82:83]
	v_mul_f64_e32 v[46:47], v[4:5], v[18:19]
	v_fma_f64 v[44:45], v[4:5], v[16:17], -v[44:45]
	s_delay_alu instid0(VALU_DEP_2) | instskip(NEXT) | instid1(VALU_DEP_2)
	v_fmac_f64_e32 v[46:47], v[6:7], v[16:17]
	v_add_f64_e32 v[122:123], v[84:85], v[44:45]
	v_mul_f64_e32 v[44:45], v[6:7], v[22:23]
	s_delay_alu instid0(VALU_DEP_3) | instskip(NEXT) | instid1(VALU_DEP_2)
	v_add_f64_e32 v[124:125], v[46:47], v[86:87]
	v_fma_f64 v[44:45], v[4:5], v[20:21], -v[44:45]
	v_mul_f64_e32 v[4:5], v[4:5], v[22:23]
	s_delay_alu instid0(VALU_DEP_2) | instskip(NEXT) | instid1(VALU_DEP_2)
	v_add_f64_e32 v[126:127], v[88:89], v[44:45]
	v_fmac_f64_e32 v[4:5], v[6:7], v[20:21]
	s_delay_alu instid0(VALU_DEP_1) | instskip(SKIP_4) | instid1(VALU_DEP_2)
	v_add_f64_e32 v[128:129], v[4:5], v[90:91]
	ds_load_b128 v[4:7], v105 offset:2080
	s_wait_dscnt 0x0
	v_mul_f64_e32 v[44:45], v[6:7], v[10:11]
	v_mul_f64_e32 v[46:47], v[4:5], v[10:11]
	v_fma_f64 v[44:45], v[4:5], v[8:9], -v[44:45]
	s_delay_alu instid0(VALU_DEP_2) | instskip(NEXT) | instid1(VALU_DEP_2)
	v_fmac_f64_e32 v[46:47], v[6:7], v[8:9]
	v_add_f64_e32 v[130:131], v[96:97], v[44:45]
	v_mul_f64_e32 v[44:45], v[6:7], v[14:15]
	s_delay_alu instid0(VALU_DEP_3) | instskip(SKIP_1) | instid1(VALU_DEP_3)
	v_add_f64_e32 v[132:133], v[46:47], v[98:99]
	v_mul_f64_e32 v[46:47], v[4:5], v[14:15]
	v_fma_f64 v[44:45], v[4:5], v[12:13], -v[44:45]
	s_delay_alu instid0(VALU_DEP_2) | instskip(NEXT) | instid1(VALU_DEP_2)
	v_fmac_f64_e32 v[46:47], v[6:7], v[12:13]
	v_add_f64_e32 v[134:135], v[100:101], v[44:45]
	v_mul_f64_e32 v[44:45], v[6:7], v[18:19]
	s_delay_alu instid0(VALU_DEP_3) | instskip(SKIP_1) | instid1(VALU_DEP_3)
	v_add_f64_e32 v[136:137], v[46:47], v[102:103]
	v_mul_f64_e32 v[46:47], v[4:5], v[18:19]
	v_fma_f64 v[44:45], v[4:5], v[16:17], -v[44:45]
	s_delay_alu instid0(VALU_DEP_2) | instskip(NEXT) | instid1(VALU_DEP_2)
	v_fmac_f64_e32 v[46:47], v[6:7], v[16:17]
	v_add_f64_e32 v[108:109], v[108:109], v[44:45]
	v_mul_f64_e32 v[44:45], v[6:7], v[22:23]
	s_delay_alu instid0(VALU_DEP_3) | instskip(NEXT) | instid1(VALU_DEP_2)
	v_add_f64_e32 v[110:111], v[46:47], v[110:111]
	v_fma_f64 v[44:45], v[4:5], v[20:21], -v[44:45]
	v_mul_f64_e32 v[4:5], v[4:5], v[22:23]
	s_delay_alu instid0(VALU_DEP_2) | instskip(NEXT) | instid1(VALU_DEP_2)
	v_add_f64_e32 v[112:113], v[112:113], v[44:45]
	v_fmac_f64_e32 v[4:5], v[6:7], v[20:21]
	s_delay_alu instid0(VALU_DEP_1) | instskip(SKIP_4) | instid1(VALU_DEP_2)
	v_add_f64_e32 v[114:115], v[4:5], v[114:115]
	ds_load_b128 v[4:7], v105 offset:3104
	s_wait_dscnt 0x0
	v_mul_f64_e32 v[44:45], v[6:7], v[10:11]
	v_mul_f64_e32 v[10:11], v[4:5], v[10:11]
	v_fma_f64 v[44:45], v[4:5], v[8:9], -v[44:45]
	s_delay_alu instid0(VALU_DEP_2) | instskip(SKIP_1) | instid1(VALU_DEP_3)
	v_fmac_f64_e32 v[10:11], v[6:7], v[8:9]
	v_mul_f64_e32 v[8:9], v[6:7], v[14:15]
	v_add_f64_e32 v[100:101], v[72:73], v[44:45]
	s_delay_alu instid0(VALU_DEP_3) | instskip(NEXT) | instid1(VALU_DEP_3)
	v_add_f64_e32 v[102:103], v[10:11], v[74:75]
	v_fma_f64 v[8:9], v[4:5], v[12:13], -v[8:9]
	v_mul_f64_e32 v[10:11], v[4:5], v[14:15]
	s_delay_alu instid0(VALU_DEP_2) | instskip(SKIP_1) | instid1(VALU_DEP_3)
	v_add_f64_e32 v[96:97], v[68:69], v[8:9]
	v_mul_f64_e32 v[8:9], v[6:7], v[18:19]
	v_fmac_f64_e32 v[10:11], v[6:7], v[12:13]
	ds_load_b128 v[12:15], v104 offset:3328
	v_fma_f64 v[8:9], v[4:5], v[16:17], -v[8:9]
	v_add_f64_e32 v[98:99], v[10:11], v[70:71]
	v_mul_f64_e32 v[10:11], v[4:5], v[18:19]
	s_delay_alu instid0(VALU_DEP_3) | instskip(SKIP_1) | instid1(VALU_DEP_3)
	v_add_f64_e32 v[92:93], v[64:65], v[8:9]
	v_mul_f64_e32 v[8:9], v[6:7], v[22:23]
	v_fmac_f64_e32 v[10:11], v[6:7], v[16:17]
	ds_load_b128 v[16:19], v104 offset:3072
	v_fma_f64 v[8:9], v[4:5], v[20:21], -v[8:9]
	v_mul_f64_e32 v[4:5], v[4:5], v[22:23]
	v_add_f64_e32 v[94:95], v[10:11], v[66:67]
	s_delay_alu instid0(VALU_DEP_3) | instskip(NEXT) | instid1(VALU_DEP_3)
	v_add_f64_e32 v[88:89], v[60:61], v[8:9]
	v_fmac_f64_e32 v[4:5], v[6:7], v[20:21]
	s_wait_dscnt 0x0
	v_mul_f64_e32 v[6:7], v[0:1], v[18:19]
	ds_load_b128 v[8:11], v104 offset:3584
	v_add_f64_e32 v[90:91], v[4:5], v[62:63]
	v_mul_f64_e32 v[4:5], v[2:3], v[18:19]
	v_fmac_f64_e32 v[6:7], v[2:3], v[16:17]
	s_delay_alu instid0(VALU_DEP_2) | instskip(NEXT) | instid1(VALU_DEP_2)
	v_fma_f64 v[4:5], v[0:1], v[16:17], -v[4:5]
	v_add_f64_e32 v[66:67], v[6:7], v[58:59]
	v_mul_f64_e32 v[6:7], v[0:1], v[14:15]
	s_delay_alu instid0(VALU_DEP_3) | instskip(SKIP_1) | instid1(VALU_DEP_3)
	v_add_f64_e32 v[64:65], v[56:57], v[4:5]
	v_mul_f64_e32 v[4:5], v[2:3], v[14:15]
	v_fmac_f64_e32 v[6:7], v[2:3], v[12:13]
	s_delay_alu instid0(VALU_DEP_2) | instskip(NEXT) | instid1(VALU_DEP_1)
	v_fma_f64 v[4:5], v[0:1], v[12:13], -v[4:5]
	v_add_f64_e32 v[48:49], v[52:53], v[4:5]
	s_delay_alu instid0(VALU_DEP_3) | instskip(SKIP_3) | instid1(VALU_DEP_2)
	v_add_f64_e32 v[52:53], v[6:7], v[54:55]
	s_wait_dscnt 0x0
	v_mul_f64_e32 v[4:5], v[2:3], v[10:11]
	v_mul_f64_e32 v[6:7], v[0:1], v[10:11]
	v_fma_f64 v[4:5], v[0:1], v[8:9], -v[4:5]
	s_delay_alu instid0(VALU_DEP_2) | instskip(NEXT) | instid1(VALU_DEP_2)
	v_fmac_f64_e32 v[6:7], v[2:3], v[8:9]
	v_add_f64_e32 v[44:45], v[116:117], v[4:5]
	s_delay_alu instid0(VALU_DEP_2) | instskip(SKIP_3) | instid1(VALU_DEP_1)
	v_add_f64_e32 v[46:47], v[6:7], v[50:51]
	ds_load_b128 v[4:7], v104 offset:3840
	s_wait_dscnt 0x0
	v_mul_f64_e32 v[20:21], v[2:3], v[6:7]
	v_fma_f64 v[20:21], v[0:1], v[4:5], -v[20:21]
	v_mul_f64_e32 v[0:1], v[0:1], v[6:7]
	s_delay_alu instid0(VALU_DEP_2) | instskip(NEXT) | instid1(VALU_DEP_2)
	v_add_f64_e32 v[20:21], v[118:119], v[20:21]
	v_fmac_f64_e32 v[0:1], v[2:3], v[4:5]
	s_delay_alu instid0(VALU_DEP_1) | instskip(SKIP_4) | instid1(VALU_DEP_2)
	v_add_f64_e32 v[22:23], v[0:1], v[120:121]
	ds_load_b128 v[0:3], v105 offset:1072
	s_wait_dscnt 0x0
	v_mul_f64_e32 v[50:51], v[2:3], v[18:19]
	v_mul_f64_e32 v[54:55], v[0:1], v[18:19]
	v_fma_f64 v[50:51], v[0:1], v[16:17], -v[50:51]
	s_delay_alu instid0(VALU_DEP_2) | instskip(NEXT) | instid1(VALU_DEP_2)
	v_fmac_f64_e32 v[54:55], v[2:3], v[16:17]
	v_add_f64_e32 v[84:85], v[76:77], v[50:51]
	v_mul_f64_e32 v[50:51], v[2:3], v[14:15]
	s_delay_alu instid0(VALU_DEP_3) | instskip(SKIP_1) | instid1(VALU_DEP_3)
	v_add_f64_e32 v[86:87], v[54:55], v[78:79]
	v_mul_f64_e32 v[54:55], v[0:1], v[14:15]
	v_fma_f64 v[50:51], v[0:1], v[12:13], -v[50:51]
	s_delay_alu instid0(VALU_DEP_2) | instskip(NEXT) | instid1(VALU_DEP_2)
	v_fmac_f64_e32 v[54:55], v[2:3], v[12:13]
	v_add_f64_e32 v[76:77], v[80:81], v[50:51]
	v_mul_f64_e32 v[50:51], v[2:3], v[10:11]
	s_delay_alu instid0(VALU_DEP_3) | instskip(SKIP_1) | instid1(VALU_DEP_3)
	v_add_f64_e32 v[80:81], v[54:55], v[82:83]
	v_mul_f64_e32 v[54:55], v[0:1], v[10:11]
	v_fma_f64 v[50:51], v[0:1], v[8:9], -v[50:51]
	s_delay_alu instid0(VALU_DEP_2) | instskip(NEXT) | instid1(VALU_DEP_2)
	v_fmac_f64_e32 v[54:55], v[2:3], v[8:9]
	v_add_f64_e32 v[68:69], v[122:123], v[50:51]
	v_mul_f64_e32 v[50:51], v[2:3], v[6:7]
	s_delay_alu instid0(VALU_DEP_3) | instskip(NEXT) | instid1(VALU_DEP_2)
	v_add_f64_e32 v[72:73], v[54:55], v[124:125]
	v_fma_f64 v[50:51], v[0:1], v[4:5], -v[50:51]
	v_mul_f64_e32 v[0:1], v[0:1], v[6:7]
	s_delay_alu instid0(VALU_DEP_2) | instskip(NEXT) | instid1(VALU_DEP_2)
	v_add_f64_e32 v[56:57], v[126:127], v[50:51]
	v_fmac_f64_e32 v[0:1], v[2:3], v[4:5]
	s_delay_alu instid0(VALU_DEP_1) | instskip(SKIP_4) | instid1(VALU_DEP_2)
	v_add_f64_e32 v[60:61], v[0:1], v[128:129]
	ds_load_b128 v[0:3], v105 offset:2096
	s_wait_dscnt 0x0
	v_mul_f64_e32 v[50:51], v[2:3], v[18:19]
	v_mul_f64_e32 v[54:55], v[0:1], v[18:19]
	v_fma_f64 v[50:51], v[0:1], v[16:17], -v[50:51]
	s_delay_alu instid0(VALU_DEP_2) | instskip(NEXT) | instid1(VALU_DEP_2)
	v_fmac_f64_e32 v[54:55], v[2:3], v[16:17]
	v_add_f64_e32 v[78:79], v[130:131], v[50:51]
	v_mul_f64_e32 v[50:51], v[2:3], v[14:15]
	s_delay_alu instid0(VALU_DEP_3) | instskip(SKIP_1) | instid1(VALU_DEP_3)
	v_add_f64_e32 v[82:83], v[54:55], v[132:133]
	v_mul_f64_e32 v[54:55], v[0:1], v[14:15]
	v_fma_f64 v[50:51], v[0:1], v[12:13], -v[50:51]
	s_delay_alu instid0(VALU_DEP_2) | instskip(NEXT) | instid1(VALU_DEP_2)
	v_fmac_f64_e32 v[54:55], v[2:3], v[12:13]
	v_add_f64_e32 v[70:71], v[134:135], v[50:51]
	v_mul_f64_e32 v[50:51], v[2:3], v[10:11]
	s_delay_alu instid0(VALU_DEP_3) | instskip(SKIP_1) | instid1(VALU_DEP_3)
	v_add_f64_e32 v[74:75], v[54:55], v[136:137]
	v_mul_f64_e32 v[54:55], v[0:1], v[10:11]
	v_fma_f64 v[50:51], v[0:1], v[8:9], -v[50:51]
	s_delay_alu instid0(VALU_DEP_2) | instskip(NEXT) | instid1(VALU_DEP_2)
	v_fmac_f64_e32 v[54:55], v[2:3], v[8:9]
	v_add_f64_e32 v[58:59], v[108:109], v[50:51]
	v_mul_f64_e32 v[50:51], v[2:3], v[6:7]
	s_delay_alu instid0(VALU_DEP_3) | instskip(NEXT) | instid1(VALU_DEP_2)
	v_add_f64_e32 v[62:63], v[54:55], v[110:111]
	v_fma_f64 v[50:51], v[0:1], v[4:5], -v[50:51]
	v_mul_f64_e32 v[0:1], v[0:1], v[6:7]
	s_delay_alu instid0(VALU_DEP_2) | instskip(NEXT) | instid1(VALU_DEP_2)
	v_add_f64_e32 v[50:51], v[112:113], v[50:51]
	v_fmac_f64_e32 v[0:1], v[2:3], v[4:5]
	s_delay_alu instid0(VALU_DEP_1)
	v_add_f64_e32 v[54:55], v[0:1], v[114:115]
	ds_load_b128 v[0:3], v105 offset:3120
	s_wait_dscnt 0x0
	s_barrier_signal -1
	s_barrier_wait -1
	v_mul_f64_e32 v[108:109], v[2:3], v[18:19]
	v_mul_f64_e32 v[18:19], v[0:1], v[18:19]
	s_delay_alu instid0(VALU_DEP_2) | instskip(NEXT) | instid1(VALU_DEP_2)
	v_fma_f64 v[108:109], v[0:1], v[16:17], -v[108:109]
	v_fmac_f64_e32 v[18:19], v[2:3], v[16:17]
	s_delay_alu instid0(VALU_DEP_2) | instskip(SKIP_2) | instid1(VALU_DEP_4)
	v_add_f64_e32 v[16:17], v[100:101], v[108:109]
	v_mul_f64_e32 v[100:101], v[2:3], v[14:15]
	v_mul_f64_e32 v[14:15], v[0:1], v[14:15]
	v_add_f64_e32 v[18:19], v[18:19], v[102:103]
	s_delay_alu instid0(VALU_DEP_3) | instskip(NEXT) | instid1(VALU_DEP_3)
	v_fma_f64 v[100:101], v[0:1], v[12:13], -v[100:101]
	v_fmac_f64_e32 v[14:15], v[2:3], v[12:13]
	s_delay_alu instid0(VALU_DEP_2) | instskip(SKIP_2) | instid1(VALU_DEP_4)
	v_add_f64_e32 v[12:13], v[96:97], v[100:101]
	v_mul_f64_e32 v[96:97], v[2:3], v[10:11]
	v_mul_f64_e32 v[10:11], v[0:1], v[10:11]
	v_add_f64_e32 v[14:15], v[14:15], v[98:99]
	s_delay_alu instid0(VALU_DEP_3) | instskip(NEXT) | instid1(VALU_DEP_3)
	v_fma_f64 v[96:97], v[0:1], v[8:9], -v[96:97]
	v_fmac_f64_e32 v[10:11], v[2:3], v[8:9]
	s_delay_alu instid0(VALU_DEP_2) | instskip(SKIP_1) | instid1(VALU_DEP_3)
	v_add_f64_e32 v[8:9], v[92:93], v[96:97]
	v_mul_f64_e32 v[92:93], v[2:3], v[6:7]
	v_add_f64_e32 v[10:11], v[10:11], v[94:95]
	s_delay_alu instid0(VALU_DEP_2) | instskip(SKIP_1) | instid1(VALU_DEP_2)
	v_fma_f64 v[92:93], v[0:1], v[4:5], -v[92:93]
	v_mul_f64_e32 v[0:1], v[0:1], v[6:7]
	v_add_f64_e32 v[88:89], v[88:89], v[92:93]
	s_delay_alu instid0(VALU_DEP_2) | instskip(NEXT) | instid1(VALU_DEP_1)
	v_fmac_f64_e32 v[0:1], v[2:3], v[4:5]
	v_add_f64_e32 v[90:91], v[0:1], v[90:91]
	s_cbranch_vccnz .LBB257_5
; %bb.6:                                ;   in Loop: Header=BB257_3 Depth=1
	v_add_nc_u64_e32 v[0:1], s[14:15], v[38:39]
	s_and_not1_b32 vcc_lo, exec_lo, s1
	s_mov_b32 s24, -1
                                        ; implicit-def: $vgpr2_vgpr3
                                        ; implicit-def: $vgpr4_vgpr5
	s_cbranch_vccnz .LBB257_9
.LBB257_7:                              ;   in Loop: Header=BB257_3 Depth=1
	v_mul_f64_e32 v[2:3], s[8:9], v[66:67]
	v_mul_f64_e32 v[42:43], s[8:9], v[46:47]
	;; [unrolled: 1-line block ×30, first 2 shown]
	v_lshlrev_b64_e32 v[148:149], 4, v[30:31]
	v_lshl_add_u64 v[150:151], v[26:27], 4, v[0:1]
	v_fma_f64 v[4:5], s[6:7], v[64:65], -v[2:3]
	v_mul_f64_e32 v[2:3], s[6:7], v[90:91]
	v_fma_f64 v[92:93], s[6:7], v[44:45], -v[42:43]
	v_mul_f64_e32 v[42:43], s[8:9], v[90:91]
	v_fmac_f64_e32 v[6:7], s[8:9], v[64:65]
	v_fma_f64 v[38:39], s[6:7], v[48:49], -v[38:39]
	v_fmac_f64_e32 v[40:41], s[8:9], v[48:49]
	v_add_nc_u64_e32 v[152:153], v[150:151], v[148:149]
	v_add_nc_u64_e32 v[150:151], s[22:23], v[150:151]
	v_fma_f64 v[100:101], s[6:7], v[84:85], -v[100:101]
	v_fma_f64 v[128:129], s[6:7], v[58:59], -v[128:129]
	v_fmac_f64_e32 v[94:95], s[8:9], v[44:45]
	v_fma_f64 v[144:145], s[6:7], v[8:9], -v[144:145]
	v_fmac_f64_e32 v[102:103], s[8:9], v[84:85]
	v_fmac_f64_e32 v[130:131], s[8:9], v[58:59]
	;; [unrolled: 1-line block ×3, first 2 shown]
	v_fma_f64 v[96:97], s[6:7], v[20:21], -v[96:97]
	v_fma_f64 v[108:109], s[6:7], v[76:77], -v[108:109]
	;; [unrolled: 1-line block ×3, first 2 shown]
	v_fmac_f64_e32 v[98:99], s[8:9], v[20:21]
	v_fmac_f64_e32 v[110:111], s[8:9], v[76:77]
	;; [unrolled: 1-line block ×3, first 2 shown]
	v_fma_f64 v[112:113], s[6:7], v[68:69], -v[112:113]
	v_fma_f64 v[136:137], s[6:7], v[16:17], -v[136:137]
	v_fmac_f64_e32 v[114:115], s[8:9], v[68:69]
	v_fmac_f64_e32 v[138:139], s[8:9], v[16:17]
	v_fma_f64 v[116:117], s[6:7], v[56:57], -v[116:117]
	v_fma_f64 v[140:141], s[6:7], v[12:13], -v[140:141]
	v_fmac_f64_e32 v[118:119], s[8:9], v[56:57]
	v_fmac_f64_e32 v[142:143], s[8:9], v[12:13]
	v_fma_f64 v[120:121], s[6:7], v[78:79], -v[120:121]
	v_fmac_f64_e32 v[122:123], s[8:9], v[78:79]
	v_fma_f64 v[124:125], s[6:7], v[70:71], -v[124:125]
	v_fmac_f64_e32 v[2:3], s[8:9], v[88:89]
	v_fmac_f64_e32 v[126:127], s[8:9], v[70:71]
	v_fma_f64 v[42:43], s[6:7], v[88:89], -v[42:43]
	flat_store_b128 v[152:153], v[4:7]
	s_wait_xcnt 0x0
	v_add_nc_u64_e32 v[4:5], s[22:23], v[150:151]
	v_add_nc_u64_e32 v[150:151], v[150:151], v[148:149]
	flat_store_b128 v[152:153], v[38:41] offset:256
	s_clause 0x1
	flat_store_b128 v[152:153], v[92:95] offset:512
	flat_store_b128 v[152:153], v[96:99] offset:768
	v_add_nc_u64_e32 v[6:7], s[22:23], v[4:5]
	s_wait_xcnt 0x2
	v_add_nc_u64_e32 v[38:39], v[4:5], v[148:149]
	s_clause 0x5
	flat_store_b128 v[150:151], v[100:103]
	flat_store_b128 v[150:151], v[108:111] offset:256
	flat_store_b128 v[150:151], v[112:115] offset:512
	;; [unrolled: 1-line block ×3, first 2 shown]
	flat_store_b128 v[38:39], v[120:123]
	flat_store_b128 v[38:39], v[124:127] offset:256
	v_add_nc_u64_e32 v[6:7], v[6:7], v[148:149]
	s_clause 0x5
	flat_store_b128 v[38:39], v[128:131] offset:512
	flat_store_b128 v[38:39], v[132:135] offset:768
	flat_store_b128 v[6:7], v[136:139]
	flat_store_b128 v[6:7], v[140:143] offset:256
	flat_store_b128 v[6:7], v[144:147] offset:512
	flat_store_b64 v[6:7], v[42:43] offset:768
	v_add_nc_u64_e32 v[4:5], 0x300, v[6:7]
	s_cbranch_execnz .LBB257_2
	s_branch .LBB257_10
.LBB257_8:                              ;   in Loop: Header=BB257_3 Depth=1
	v_mov_b64_e32 v[64:65], 0
	v_mov_b64_e32 v[66:67], 0
	;; [unrolled: 1-line block ×32, first 2 shown]
	s_wait_loadcnt 0x0
	s_wait_xcnt 0x0
	v_add_nc_u64_e32 v[0:1], s[14:15], v[38:39]
	s_and_not1_b32 vcc_lo, exec_lo, s1
	s_mov_b32 s24, -1
                                        ; implicit-def: $vgpr2_vgpr3
                                        ; implicit-def: $vgpr4_vgpr5
	s_cbranch_vccz .LBB257_7
.LBB257_9:                              ;   in Loop: Header=BB257_3 Depth=1
	s_and_not1_b32 vcc_lo, exec_lo, s24
	s_cbranch_vccnz .LBB257_2
.LBB257_10:                             ;   in Loop: Header=BB257_3 Depth=1
	v_add_nc_u64_e32 v[2:3], s[18:19], v[36:37]
	s_wait_xcnt 0x0
	v_lshlrev_b64_e32 v[6:7], 4, v[30:31]
	v_mul_f64_e32 v[40:41], s[8:9], v[66:67]
	v_mul_f64_e32 v[42:43], s[6:7], v[66:67]
	s_delay_alu instid0(VALU_DEP_4) | instskip(NEXT) | instid1(VALU_DEP_1)
	v_lshl_add_u64 v[36:37], v[28:29], 4, v[2:3]
	v_add_nc_u64_e32 v[38:39], v[36:37], v[6:7]
	flat_load_b128 v[2:5], v[38:39]
	v_fma_f64 v[40:41], s[6:7], v[64:65], -v[40:41]
	v_fmac_f64_e32 v[42:43], s[8:9], v[64:65]
	s_wait_loadcnt_dscnt 0x0
	v_mul_f64_e32 v[66:67], s[40:41], v[4:5]
	v_mul_f64_e32 v[4:5], s[38:39], v[4:5]
	s_delay_alu instid0(VALU_DEP_2) | instskip(NEXT) | instid1(VALU_DEP_2)
	v_fma_f64 v[64:65], s[38:39], v[2:3], -v[66:67]
	v_fmac_f64_e32 v[4:5], s[40:41], v[2:3]
	s_delay_alu instid0(VALU_DEP_2) | instskip(NEXT) | instid1(VALU_DEP_2)
	v_add_f64_e32 v[2:3], v[40:41], v[64:65]
	v_add_f64_e32 v[4:5], v[42:43], v[4:5]
	v_lshl_add_u64 v[40:41], v[26:27], 4, v[0:1]
	s_delay_alu instid0(VALU_DEP_1) | instskip(SKIP_4) | instid1(VALU_DEP_2)
	v_add_nc_u64_e32 v[42:43], v[40:41], v[6:7]
	flat_store_b128 v[42:43], v[2:5]
	flat_load_b128 v[0:3], v[38:39] offset:256
	v_mul_f64_e32 v[4:5], s[8:9], v[52:53]
	v_mul_f64_e32 v[52:53], s[6:7], v[52:53]
	v_fma_f64 v[4:5], s[6:7], v[48:49], -v[4:5]
	s_delay_alu instid0(VALU_DEP_2) | instskip(SKIP_3) | instid1(VALU_DEP_2)
	v_fmac_f64_e32 v[52:53], s[8:9], v[48:49]
	s_wait_loadcnt_dscnt 0x0
	v_mul_f64_e32 v[64:65], s[40:41], v[2:3]
	v_mul_f64_e32 v[2:3], s[38:39], v[2:3]
	v_fma_f64 v[48:49], s[38:39], v[0:1], -v[64:65]
	s_delay_alu instid0(VALU_DEP_2) | instskip(NEXT) | instid1(VALU_DEP_2)
	v_fmac_f64_e32 v[2:3], s[40:41], v[0:1]
	v_add_f64_e32 v[0:1], v[4:5], v[48:49]
	s_delay_alu instid0(VALU_DEP_2)
	v_add_f64_e32 v[2:3], v[52:53], v[2:3]
	v_mul_f64_e32 v[4:5], s[8:9], v[46:47]
	v_mul_f64_e32 v[46:47], s[6:7], v[46:47]
	flat_store_b128 v[42:43], v[0:3] offset:256
	flat_load_b128 v[0:3], v[38:39] offset:512
	v_fma_f64 v[4:5], s[6:7], v[44:45], -v[4:5]
	v_fmac_f64_e32 v[46:47], s[8:9], v[44:45]
	s_wait_loadcnt_dscnt 0x0
	v_mul_f64_e32 v[48:49], s[40:41], v[2:3]
	v_mul_f64_e32 v[2:3], s[38:39], v[2:3]
	s_delay_alu instid0(VALU_DEP_2) | instskip(NEXT) | instid1(VALU_DEP_2)
	v_fma_f64 v[44:45], s[38:39], v[0:1], -v[48:49]
	v_fmac_f64_e32 v[2:3], s[40:41], v[0:1]
	s_delay_alu instid0(VALU_DEP_2) | instskip(NEXT) | instid1(VALU_DEP_2)
	v_add_f64_e32 v[0:1], v[4:5], v[44:45]
	v_add_f64_e32 v[2:3], v[46:47], v[2:3]
	v_mul_f64_e32 v[4:5], s[8:9], v[22:23]
	v_mul_f64_e32 v[22:23], s[6:7], v[22:23]
	flat_store_b128 v[42:43], v[0:3] offset:512
	flat_load_b128 v[0:3], v[38:39] offset:768
	v_fma_f64 v[4:5], s[6:7], v[20:21], -v[4:5]
	v_fmac_f64_e32 v[22:23], s[8:9], v[20:21]
	s_wait_loadcnt_dscnt 0x0
	s_wait_xcnt 0x0
	v_mul_f64_e32 v[38:39], s[40:41], v[2:3]
	v_mul_f64_e32 v[2:3], s[38:39], v[2:3]
	s_delay_alu instid0(VALU_DEP_2) | instskip(NEXT) | instid1(VALU_DEP_2)
	v_fma_f64 v[20:21], s[38:39], v[0:1], -v[38:39]
	v_fmac_f64_e32 v[2:3], s[40:41], v[0:1]
	s_delay_alu instid0(VALU_DEP_2) | instskip(NEXT) | instid1(VALU_DEP_2)
	v_add_f64_e32 v[0:1], v[4:5], v[20:21]
	v_add_f64_e32 v[2:3], v[22:23], v[2:3]
	v_add_nc_u64_e32 v[4:5], s[20:21], v[36:37]
	v_mul_f64_e32 v[22:23], s[8:9], v[86:87]
	v_mul_f64_e32 v[36:37], s[6:7], v[86:87]
	s_delay_alu instid0(VALU_DEP_3)
	v_add_nc_u64_e32 v[20:21], v[4:5], v[6:7]
	v_add_nc_u64_e32 v[4:5], s[20:21], v[4:5]
	flat_store_b128 v[42:43], v[0:3] offset:768
	flat_load_b128 v[0:3], v[20:21]
	v_fma_f64 v[22:23], s[6:7], v[84:85], -v[22:23]
	v_fmac_f64_e32 v[36:37], s[8:9], v[84:85]
	s_wait_loadcnt_dscnt 0x0
	v_mul_f64_e32 v[38:39], s[40:41], v[2:3]
	v_mul_f64_e32 v[2:3], s[38:39], v[2:3]
	s_delay_alu instid0(VALU_DEP_2) | instskip(NEXT) | instid1(VALU_DEP_2)
	v_fma_f64 v[38:39], s[38:39], v[0:1], -v[38:39]
	v_fmac_f64_e32 v[2:3], s[40:41], v[0:1]
	s_delay_alu instid0(VALU_DEP_2) | instskip(NEXT) | instid1(VALU_DEP_2)
	v_add_f64_e32 v[0:1], v[22:23], v[38:39]
	v_add_f64_e32 v[2:3], v[36:37], v[2:3]
	v_add_nc_u64_e32 v[22:23], s[22:23], v[40:41]
	v_mul_f64_e32 v[38:39], s[8:9], v[80:81]
	v_mul_f64_e32 v[40:41], s[6:7], v[80:81]
	s_delay_alu instid0(VALU_DEP_3)
	v_add_nc_u64_e32 v[36:37], v[22:23], v[6:7]
	v_add_nc_u64_e32 v[22:23], s[22:23], v[22:23]
	flat_store_b128 v[36:37], v[0:3]
	flat_load_b128 v[0:3], v[20:21] offset:256
	v_fma_f64 v[38:39], s[6:7], v[76:77], -v[38:39]
	v_fmac_f64_e32 v[40:41], s[8:9], v[76:77]
	s_wait_loadcnt_dscnt 0x0
	v_mul_f64_e32 v[42:43], s[40:41], v[2:3]
	v_mul_f64_e32 v[2:3], s[38:39], v[2:3]
	s_delay_alu instid0(VALU_DEP_2) | instskip(NEXT) | instid1(VALU_DEP_2)
	v_fma_f64 v[42:43], s[38:39], v[0:1], -v[42:43]
	v_fmac_f64_e32 v[2:3], s[40:41], v[0:1]
	s_delay_alu instid0(VALU_DEP_2) | instskip(NEXT) | instid1(VALU_DEP_2)
	v_add_f64_e32 v[0:1], v[38:39], v[42:43]
	v_add_f64_e32 v[2:3], v[40:41], v[2:3]
	v_mul_f64_e32 v[38:39], s[8:9], v[72:73]
	v_mul_f64_e32 v[40:41], s[6:7], v[72:73]
	flat_store_b128 v[36:37], v[0:3] offset:256
	flat_load_b128 v[0:3], v[20:21] offset:512
	v_fma_f64 v[38:39], s[6:7], v[68:69], -v[38:39]
	v_fmac_f64_e32 v[40:41], s[8:9], v[68:69]
	s_wait_loadcnt_dscnt 0x0
	v_mul_f64_e32 v[42:43], s[40:41], v[2:3]
	v_mul_f64_e32 v[2:3], s[38:39], v[2:3]
	s_delay_alu instid0(VALU_DEP_2) | instskip(NEXT) | instid1(VALU_DEP_2)
	v_fma_f64 v[42:43], s[38:39], v[0:1], -v[42:43]
	v_fmac_f64_e32 v[2:3], s[40:41], v[0:1]
	s_delay_alu instid0(VALU_DEP_2) | instskip(NEXT) | instid1(VALU_DEP_2)
	v_add_f64_e32 v[0:1], v[38:39], v[42:43]
	v_add_f64_e32 v[2:3], v[40:41], v[2:3]
	v_mul_f64_e32 v[38:39], s[6:7], v[60:61]
	flat_store_b128 v[36:37], v[0:3] offset:512
	flat_load_b128 v[0:3], v[20:21] offset:768
	s_wait_xcnt 0x0
	v_mul_f64_e32 v[20:21], s[8:9], v[60:61]
	v_fmac_f64_e32 v[38:39], s[8:9], v[56:57]
	s_delay_alu instid0(VALU_DEP_2) | instskip(SKIP_3) | instid1(VALU_DEP_2)
	v_fma_f64 v[20:21], s[6:7], v[56:57], -v[20:21]
	s_wait_loadcnt_dscnt 0x0
	v_mul_f64_e32 v[40:41], s[40:41], v[2:3]
	v_mul_f64_e32 v[2:3], s[38:39], v[2:3]
	v_fma_f64 v[40:41], s[38:39], v[0:1], -v[40:41]
	s_delay_alu instid0(VALU_DEP_2) | instskip(NEXT) | instid1(VALU_DEP_2)
	v_fmac_f64_e32 v[2:3], s[40:41], v[0:1]
	v_add_f64_e32 v[0:1], v[20:21], v[40:41]
	s_delay_alu instid0(VALU_DEP_2) | instskip(SKIP_3) | instid1(VALU_DEP_1)
	v_add_f64_e32 v[2:3], v[38:39], v[2:3]
	v_add_nc_u64_e32 v[20:21], v[4:5], v[6:7]
	v_mul_f64_e32 v[38:39], s[6:7], v[82:83]
	v_add_nc_u64_e32 v[4:5], s[20:21], v[4:5]
	v_add_nc_u64_e32 v[4:5], v[4:5], v[6:7]
	flat_store_b128 v[36:37], v[0:3] offset:768
	flat_load_b128 v[0:3], v[20:21]
	v_mul_f64_e32 v[36:37], s[8:9], v[82:83]
	v_fmac_f64_e32 v[38:39], s[8:9], v[78:79]
	s_delay_alu instid0(VALU_DEP_2) | instskip(SKIP_3) | instid1(VALU_DEP_2)
	v_fma_f64 v[36:37], s[6:7], v[78:79], -v[36:37]
	s_wait_loadcnt_dscnt 0x0
	v_mul_f64_e32 v[40:41], s[40:41], v[2:3]
	v_mul_f64_e32 v[2:3], s[38:39], v[2:3]
	v_fma_f64 v[40:41], s[38:39], v[0:1], -v[40:41]
	s_delay_alu instid0(VALU_DEP_2) | instskip(NEXT) | instid1(VALU_DEP_2)
	v_fmac_f64_e32 v[2:3], s[40:41], v[0:1]
	v_add_f64_e32 v[0:1], v[36:37], v[40:41]
	s_delay_alu instid0(VALU_DEP_2)
	v_add_f64_e32 v[2:3], v[38:39], v[2:3]
	v_add_nc_u64_e32 v[36:37], v[22:23], v[6:7]
	v_mul_f64_e32 v[38:39], s[8:9], v[74:75]
	v_mul_f64_e32 v[40:41], s[6:7], v[74:75]
	flat_store_b128 v[36:37], v[0:3]
	flat_load_b128 v[0:3], v[20:21] offset:256
	v_fma_f64 v[38:39], s[6:7], v[70:71], -v[38:39]
	v_fmac_f64_e32 v[40:41], s[8:9], v[70:71]
	s_wait_loadcnt_dscnt 0x0
	v_mul_f64_e32 v[42:43], s[40:41], v[2:3]
	v_mul_f64_e32 v[2:3], s[38:39], v[2:3]
	s_delay_alu instid0(VALU_DEP_2) | instskip(NEXT) | instid1(VALU_DEP_2)
	v_fma_f64 v[42:43], s[38:39], v[0:1], -v[42:43]
	v_fmac_f64_e32 v[2:3], s[40:41], v[0:1]
	s_delay_alu instid0(VALU_DEP_2) | instskip(NEXT) | instid1(VALU_DEP_2)
	v_add_f64_e32 v[0:1], v[38:39], v[42:43]
	v_add_f64_e32 v[2:3], v[40:41], v[2:3]
	v_mul_f64_e32 v[38:39], s[8:9], v[62:63]
	v_mul_f64_e32 v[40:41], s[6:7], v[62:63]
	flat_store_b128 v[36:37], v[0:3] offset:256
	flat_load_b128 v[0:3], v[20:21] offset:512
	v_fma_f64 v[38:39], s[6:7], v[58:59], -v[38:39]
	v_fmac_f64_e32 v[40:41], s[8:9], v[58:59]
	s_wait_loadcnt_dscnt 0x0
	v_mul_f64_e32 v[42:43], s[40:41], v[2:3]
	v_mul_f64_e32 v[2:3], s[38:39], v[2:3]
	s_delay_alu instid0(VALU_DEP_2) | instskip(NEXT) | instid1(VALU_DEP_2)
	v_fma_f64 v[42:43], s[38:39], v[0:1], -v[42:43]
	v_fmac_f64_e32 v[2:3], s[40:41], v[0:1]
	s_delay_alu instid0(VALU_DEP_2) | instskip(NEXT) | instid1(VALU_DEP_2)
	v_add_f64_e32 v[0:1], v[38:39], v[42:43]
	v_add_f64_e32 v[2:3], v[40:41], v[2:3]
	v_mul_f64_e32 v[38:39], s[6:7], v[54:55]
	flat_store_b128 v[36:37], v[0:3] offset:512
	flat_load_b128 v[0:3], v[20:21] offset:768
	s_wait_xcnt 0x0
	v_mul_f64_e32 v[20:21], s[8:9], v[54:55]
	v_fmac_f64_e32 v[38:39], s[8:9], v[50:51]
	s_delay_alu instid0(VALU_DEP_2) | instskip(SKIP_3) | instid1(VALU_DEP_2)
	v_fma_f64 v[20:21], s[6:7], v[50:51], -v[20:21]
	s_wait_loadcnt_dscnt 0x0
	v_mul_f64_e32 v[40:41], s[40:41], v[2:3]
	v_mul_f64_e32 v[2:3], s[38:39], v[2:3]
	v_fma_f64 v[40:41], s[38:39], v[0:1], -v[40:41]
	s_delay_alu instid0(VALU_DEP_2) | instskip(NEXT) | instid1(VALU_DEP_2)
	v_fmac_f64_e32 v[2:3], s[40:41], v[0:1]
	v_add_f64_e32 v[0:1], v[20:21], v[40:41]
	s_delay_alu instid0(VALU_DEP_2)
	v_add_f64_e32 v[2:3], v[38:39], v[2:3]
	v_mul_f64_e32 v[20:21], s[8:9], v[18:19]
	v_mul_f64_e32 v[18:19], s[6:7], v[18:19]
	flat_store_b128 v[36:37], v[0:3] offset:768
	flat_load_b128 v[0:3], v[4:5]
	v_fma_f64 v[20:21], s[6:7], v[16:17], -v[20:21]
	v_fmac_f64_e32 v[18:19], s[8:9], v[16:17]
	s_wait_loadcnt_dscnt 0x0
	v_mul_f64_e32 v[36:37], s[40:41], v[2:3]
	v_mul_f64_e32 v[2:3], s[38:39], v[2:3]
	s_delay_alu instid0(VALU_DEP_2) | instskip(NEXT) | instid1(VALU_DEP_2)
	v_fma_f64 v[16:17], s[38:39], v[0:1], -v[36:37]
	v_fmac_f64_e32 v[2:3], s[40:41], v[0:1]
	s_delay_alu instid0(VALU_DEP_2) | instskip(NEXT) | instid1(VALU_DEP_2)
	v_add_f64_e32 v[0:1], v[20:21], v[16:17]
	v_add_f64_e32 v[2:3], v[18:19], v[2:3]
	v_add_nc_u64_e32 v[16:17], s[22:23], v[22:23]
	s_delay_alu instid0(VALU_DEP_1)
	v_add_nc_u64_e32 v[6:7], v[16:17], v[6:7]
	v_mul_f64_e32 v[16:17], s[8:9], v[14:15]
	v_mul_f64_e32 v[14:15], s[6:7], v[14:15]
	flat_store_b128 v[6:7], v[0:3]
	flat_load_b128 v[0:3], v[4:5] offset:256
	v_fma_f64 v[16:17], s[6:7], v[12:13], -v[16:17]
	v_fmac_f64_e32 v[14:15], s[8:9], v[12:13]
	s_wait_loadcnt_dscnt 0x0
	v_mul_f64_e32 v[18:19], s[40:41], v[2:3]
	v_mul_f64_e32 v[2:3], s[38:39], v[2:3]
	s_delay_alu instid0(VALU_DEP_2) | instskip(NEXT) | instid1(VALU_DEP_2)
	v_fma_f64 v[12:13], s[38:39], v[0:1], -v[18:19]
	v_fmac_f64_e32 v[2:3], s[40:41], v[0:1]
	s_delay_alu instid0(VALU_DEP_2) | instskip(NEXT) | instid1(VALU_DEP_2)
	v_add_f64_e32 v[0:1], v[16:17], v[12:13]
	v_add_f64_e32 v[2:3], v[14:15], v[2:3]
	v_mul_f64_e32 v[12:13], s[8:9], v[10:11]
	v_mul_f64_e32 v[10:11], s[6:7], v[10:11]
	flat_store_b128 v[6:7], v[0:3] offset:256
	flat_load_b128 v[0:3], v[4:5] offset:512
	v_fma_f64 v[12:13], s[6:7], v[8:9], -v[12:13]
	v_fmac_f64_e32 v[10:11], s[8:9], v[8:9]
	s_wait_loadcnt_dscnt 0x0
	v_mul_f64_e32 v[14:15], s[40:41], v[2:3]
	v_mul_f64_e32 v[2:3], s[38:39], v[2:3]
	s_delay_alu instid0(VALU_DEP_2) | instskip(NEXT) | instid1(VALU_DEP_2)
	v_fma_f64 v[8:9], s[38:39], v[0:1], -v[14:15]
	v_fmac_f64_e32 v[2:3], s[40:41], v[0:1]
	s_delay_alu instid0(VALU_DEP_2) | instskip(NEXT) | instid1(VALU_DEP_2)
	v_add_f64_e32 v[0:1], v[12:13], v[8:9]
	v_add_f64_e32 v[2:3], v[10:11], v[2:3]
	v_mul_f64_e32 v[8:9], s[6:7], v[90:91]
	flat_store_b128 v[6:7], v[0:3] offset:512
	flat_load_b128 v[0:3], v[4:5] offset:768
	s_wait_xcnt 0x0
	v_mul_f64_e32 v[4:5], s[8:9], v[90:91]
	v_fmac_f64_e32 v[8:9], s[8:9], v[88:89]
	s_delay_alu instid0(VALU_DEP_2) | instskip(SKIP_3) | instid1(VALU_DEP_2)
	v_fma_f64 v[4:5], s[6:7], v[88:89], -v[4:5]
	s_wait_loadcnt_dscnt 0x0
	v_mul_f64_e32 v[10:11], s[40:41], v[2:3]
	v_mul_f64_e32 v[2:3], s[38:39], v[2:3]
	v_fma_f64 v[10:11], s[38:39], v[0:1], -v[10:11]
	s_delay_alu instid0(VALU_DEP_2) | instskip(NEXT) | instid1(VALU_DEP_2)
	v_fmac_f64_e32 v[2:3], s[40:41], v[0:1]
	v_add_f64_e32 v[0:1], v[4:5], v[10:11]
	s_delay_alu instid0(VALU_DEP_2)
	v_add_f64_e32 v[2:3], v[8:9], v[2:3]
	v_add_nc_u64_e32 v[4:5], 0x300, v[6:7]
	flat_store_b64 v[6:7], v[0:1] offset:768
	s_branch .LBB257_2
.LBB257_11:
	s_sendmsg sendmsg(MSG_DEALLOC_VGPRS)
	s_endpgm
	.section	.rodata,"a",@progbits
	.p2align	6, 0x0
	.amdhsa_kernel _ZN12_GLOBAL__N_127rocblas_gemm_batched_kernelI19rocblas_complex_numIdELi16ELi16ELi64ELi64ELi4ELi64ELi4ELi4ELi64ELc67ELc84EKPKS2_S5_KPS2_EEvlllT_PT11_llSA_llS8_PT12_llPT13_lli
		.amdhsa_group_segment_fixed_size 8192
		.amdhsa_private_segment_fixed_size 0
		.amdhsa_kernarg_size 156
		.amdhsa_user_sgpr_count 2
		.amdhsa_user_sgpr_dispatch_ptr 0
		.amdhsa_user_sgpr_queue_ptr 0
		.amdhsa_user_sgpr_kernarg_segment_ptr 1
		.amdhsa_user_sgpr_dispatch_id 0
		.amdhsa_user_sgpr_kernarg_preload_length 0
		.amdhsa_user_sgpr_kernarg_preload_offset 0
		.amdhsa_user_sgpr_private_segment_size 0
		.amdhsa_wavefront_size32 1
		.amdhsa_uses_dynamic_stack 0
		.amdhsa_enable_private_segment 0
		.amdhsa_system_sgpr_workgroup_id_x 1
		.amdhsa_system_sgpr_workgroup_id_y 1
		.amdhsa_system_sgpr_workgroup_id_z 1
		.amdhsa_system_sgpr_workgroup_info 0
		.amdhsa_system_vgpr_workitem_id 1
		.amdhsa_next_free_vgpr 154
		.amdhsa_next_free_sgpr 52
		.amdhsa_named_barrier_count 0
		.amdhsa_reserve_vcc 1
		.amdhsa_float_round_mode_32 0
		.amdhsa_float_round_mode_16_64 0
		.amdhsa_float_denorm_mode_32 3
		.amdhsa_float_denorm_mode_16_64 3
		.amdhsa_fp16_overflow 0
		.amdhsa_memory_ordered 1
		.amdhsa_forward_progress 1
		.amdhsa_inst_pref_size 45
		.amdhsa_round_robin_scheduling 0
		.amdhsa_exception_fp_ieee_invalid_op 0
		.amdhsa_exception_fp_denorm_src 0
		.amdhsa_exception_fp_ieee_div_zero 0
		.amdhsa_exception_fp_ieee_overflow 0
		.amdhsa_exception_fp_ieee_underflow 0
		.amdhsa_exception_fp_ieee_inexact 0
		.amdhsa_exception_int_div_zero 0
	.end_amdhsa_kernel
	.section	.text._ZN12_GLOBAL__N_127rocblas_gemm_batched_kernelI19rocblas_complex_numIdELi16ELi16ELi64ELi64ELi4ELi64ELi4ELi4ELi64ELc67ELc84EKPKS2_S5_KPS2_EEvlllT_PT11_llSA_llS8_PT12_llPT13_lli,"axG",@progbits,_ZN12_GLOBAL__N_127rocblas_gemm_batched_kernelI19rocblas_complex_numIdELi16ELi16ELi64ELi64ELi4ELi64ELi4ELi4ELi64ELc67ELc84EKPKS2_S5_KPS2_EEvlllT_PT11_llSA_llS8_PT12_llPT13_lli,comdat
.Lfunc_end257:
	.size	_ZN12_GLOBAL__N_127rocblas_gemm_batched_kernelI19rocblas_complex_numIdELi16ELi16ELi64ELi64ELi4ELi64ELi4ELi4ELi64ELc67ELc84EKPKS2_S5_KPS2_EEvlllT_PT11_llSA_llS8_PT12_llPT13_lli, .Lfunc_end257-_ZN12_GLOBAL__N_127rocblas_gemm_batched_kernelI19rocblas_complex_numIdELi16ELi16ELi64ELi64ELi4ELi64ELi4ELi4ELi64ELc67ELc84EKPKS2_S5_KPS2_EEvlllT_PT11_llSA_llS8_PT12_llPT13_lli
                                        ; -- End function
	.set _ZN12_GLOBAL__N_127rocblas_gemm_batched_kernelI19rocblas_complex_numIdELi16ELi16ELi64ELi64ELi4ELi64ELi4ELi4ELi64ELc67ELc84EKPKS2_S5_KPS2_EEvlllT_PT11_llSA_llS8_PT12_llPT13_lli.num_vgpr, 154
	.set _ZN12_GLOBAL__N_127rocblas_gemm_batched_kernelI19rocblas_complex_numIdELi16ELi16ELi64ELi64ELi4ELi64ELi4ELi4ELi64ELc67ELc84EKPKS2_S5_KPS2_EEvlllT_PT11_llSA_llS8_PT12_llPT13_lli.num_agpr, 0
	.set _ZN12_GLOBAL__N_127rocblas_gemm_batched_kernelI19rocblas_complex_numIdELi16ELi16ELi64ELi64ELi4ELi64ELi4ELi4ELi64ELc67ELc84EKPKS2_S5_KPS2_EEvlllT_PT11_llSA_llS8_PT12_llPT13_lli.numbered_sgpr, 52
	.set _ZN12_GLOBAL__N_127rocblas_gemm_batched_kernelI19rocblas_complex_numIdELi16ELi16ELi64ELi64ELi4ELi64ELi4ELi4ELi64ELc67ELc84EKPKS2_S5_KPS2_EEvlllT_PT11_llSA_llS8_PT12_llPT13_lli.num_named_barrier, 0
	.set _ZN12_GLOBAL__N_127rocblas_gemm_batched_kernelI19rocblas_complex_numIdELi16ELi16ELi64ELi64ELi4ELi64ELi4ELi4ELi64ELc67ELc84EKPKS2_S5_KPS2_EEvlllT_PT11_llSA_llS8_PT12_llPT13_lli.private_seg_size, 0
	.set _ZN12_GLOBAL__N_127rocblas_gemm_batched_kernelI19rocblas_complex_numIdELi16ELi16ELi64ELi64ELi4ELi64ELi4ELi4ELi64ELc67ELc84EKPKS2_S5_KPS2_EEvlllT_PT11_llSA_llS8_PT12_llPT13_lli.uses_vcc, 1
	.set _ZN12_GLOBAL__N_127rocblas_gemm_batched_kernelI19rocblas_complex_numIdELi16ELi16ELi64ELi64ELi4ELi64ELi4ELi4ELi64ELc67ELc84EKPKS2_S5_KPS2_EEvlllT_PT11_llSA_llS8_PT12_llPT13_lli.uses_flat_scratch, 1
	.set _ZN12_GLOBAL__N_127rocblas_gemm_batched_kernelI19rocblas_complex_numIdELi16ELi16ELi64ELi64ELi4ELi64ELi4ELi4ELi64ELc67ELc84EKPKS2_S5_KPS2_EEvlllT_PT11_llSA_llS8_PT12_llPT13_lli.has_dyn_sized_stack, 0
	.set _ZN12_GLOBAL__N_127rocblas_gemm_batched_kernelI19rocblas_complex_numIdELi16ELi16ELi64ELi64ELi4ELi64ELi4ELi4ELi64ELc67ELc84EKPKS2_S5_KPS2_EEvlllT_PT11_llSA_llS8_PT12_llPT13_lli.has_recursion, 0
	.set _ZN12_GLOBAL__N_127rocblas_gemm_batched_kernelI19rocblas_complex_numIdELi16ELi16ELi64ELi64ELi4ELi64ELi4ELi4ELi64ELc67ELc84EKPKS2_S5_KPS2_EEvlllT_PT11_llSA_llS8_PT12_llPT13_lli.has_indirect_call, 0
	.section	.AMDGPU.csdata,"",@progbits
; Kernel info:
; codeLenInByte = 5704
; TotalNumSgprs: 54
; NumVgprs: 154
; ScratchSize: 0
; MemoryBound: 0
; FloatMode: 240
; IeeeMode: 1
; LDSByteSize: 8192 bytes/workgroup (compile time only)
; SGPRBlocks: 0
; VGPRBlocks: 9
; NumSGPRsForWavesPerEU: 54
; NumVGPRsForWavesPerEU: 154
; NamedBarCnt: 0
; Occupancy: 6
; WaveLimiterHint : 1
; COMPUTE_PGM_RSRC2:SCRATCH_EN: 0
; COMPUTE_PGM_RSRC2:USER_SGPR: 2
; COMPUTE_PGM_RSRC2:TRAP_HANDLER: 0
; COMPUTE_PGM_RSRC2:TGID_X_EN: 1
; COMPUTE_PGM_RSRC2:TGID_Y_EN: 1
; COMPUTE_PGM_RSRC2:TGID_Z_EN: 1
; COMPUTE_PGM_RSRC2:TIDIG_COMP_CNT: 1
	.section	.text._ZN12_GLOBAL__N_127rocblas_gemm_batched_kernelI19rocblas_complex_numIdELi16ELi16ELi64ELi64ELi4ELi64ELi4ELi4ELi64ELc78ELc67EKPKS2_S5_KPS2_EEvlllT_PT11_llSA_llS8_PT12_llPT13_lli,"axG",@progbits,_ZN12_GLOBAL__N_127rocblas_gemm_batched_kernelI19rocblas_complex_numIdELi16ELi16ELi64ELi64ELi4ELi64ELi4ELi4ELi64ELc78ELc67EKPKS2_S5_KPS2_EEvlllT_PT11_llSA_llS8_PT12_llPT13_lli,comdat
	.globl	_ZN12_GLOBAL__N_127rocblas_gemm_batched_kernelI19rocblas_complex_numIdELi16ELi16ELi64ELi64ELi4ELi64ELi4ELi4ELi64ELc78ELc67EKPKS2_S5_KPS2_EEvlllT_PT11_llSA_llS8_PT12_llPT13_lli ; -- Begin function _ZN12_GLOBAL__N_127rocblas_gemm_batched_kernelI19rocblas_complex_numIdELi16ELi16ELi64ELi64ELi4ELi64ELi4ELi4ELi64ELc78ELc67EKPKS2_S5_KPS2_EEvlllT_PT11_llSA_llS8_PT12_llPT13_lli
	.p2align	8
	.type	_ZN12_GLOBAL__N_127rocblas_gemm_batched_kernelI19rocblas_complex_numIdELi16ELi16ELi64ELi64ELi4ELi64ELi4ELi4ELi64ELc78ELc67EKPKS2_S5_KPS2_EEvlllT_PT11_llSA_llS8_PT12_llPT13_lli,@function
_ZN12_GLOBAL__N_127rocblas_gemm_batched_kernelI19rocblas_complex_numIdELi16ELi16ELi64ELi64ELi4ELi64ELi4ELi4ELi64ELc78ELc67EKPKS2_S5_KPS2_EEvlllT_PT11_llSA_llS8_PT12_llPT13_lli: ; @_ZN12_GLOBAL__N_127rocblas_gemm_batched_kernelI19rocblas_complex_numIdELi16ELi16ELi64ELi64ELi4ELi64ELi4ELi4ELi64ELc78ELc67EKPKS2_S5_KPS2_EEvlllT_PT11_llSA_llS8_PT12_llPT13_lli
; %bb.0:
	s_load_b32 s28, s[0:1], 0x98
	s_bfe_u32 s2, ttmp6, 0x40014
	s_lshr_b32 s3, ttmp7, 16
	s_add_co_i32 s2, s2, 1
	s_bfe_u32 s4, ttmp6, 0x40008
	s_mul_i32 s2, s3, s2
	s_getreg_b32 s20, hwreg(HW_REG_IB_STS2, 6, 4)
	s_add_co_i32 s4, s4, s2
	s_cmp_eq_u32 s20, 0
	s_cselect_b32 s2, s3, s4
	s_mov_b32 s3, 0
	s_wait_kmcnt 0x0
	s_cmp_ge_i32 s2, s28
	s_cbranch_scc1 .LBB258_11
; %bb.1:
	v_bfe_u32 v24, v0, 10, 10
	v_and_b32_e32 v2, 0x3ff, v0
	s_clause 0x1
	s_load_b512 s[4:19], s[0:1], 0x10
	s_load_b512 s[36:51], s[0:1], 0x50
	s_bfe_u32 s21, ttmp6, 0x4000c
	s_bfe_u32 s23, ttmp6, 0x40010
	s_add_co_i32 s21, s21, 1
	s_and_b32 s24, ttmp7, 0xffff
	s_add_co_i32 s23, s23, 1
	v_lshl_add_u32 v3, v24, 4, v2
	v_mov_b32_e32 v25, 0
	s_and_b32 s22, ttmp6, 15
	s_mul_i32 s21, ttmp9, s21
	s_mul_i32 s23, s24, s23
	s_bfe_u32 s25, ttmp6, 0x40004
	s_add_co_i32 s22, s22, s21
	s_add_co_i32 s25, s25, s23
	s_cmp_eq_u32 s20, 0
	v_dual_lshrrev_b32 v12, 6, v3 :: v_dual_lshrrev_b32 v4, 2, v3
	v_mov_b32_e32 v5, v25
	s_cselect_b32 s20, ttmp9, s22
	s_cselect_b32 s22, s24, s25
	s_mov_b32 s23, s3
	s_lshl_b32 s22, s22, 6
	s_ashr_i32 s21, s20, 31
	v_add_nc_u64_e32 v[6:7], s[22:23], v[4:5]
	v_dual_mov_b32 v11, v25 :: v_dual_bitop2_b32 v5, 3, v0 bitop3:0x40
	s_lshl_b64 s[20:21], s[20:21], 6
	s_wait_kmcnt 0x0
	v_cmp_eq_f64_e64 s24, s[38:39], 0
	v_mad_nc_u64_u32 v[8:9], s12, v12, s[20:21]
	v_cmp_eq_f64_e64 s25, s[40:41], 0
	v_mad_nc_u64_u32 v[0:1], s18, v5, v[6:7]
	v_add_nc_u64_e32 v[6:7], s[22:23], v[24:25]
	v_and_b32_e32 v10, 63, v3
	s_load_b64 s[22:23], s[0:1], 0x90
	s_wait_xcnt 0x0
	v_cmp_gt_i64_e64 s0, s[4:5], 0
	v_mov_b32_e32 v3, v25
	v_lshl_add_u32 v24, v24, 6, 0x1000
	s_lshl_b64 s[26:27], s[44:45], 4
	v_mul_u64_e32 v[26:27], s[50:51], v[6:7]
	v_mul_u64_e32 v[28:29], s[44:45], v[6:7]
	v_mad_u32 v9, s13, v12, v9
	v_mad_u32 v1, s19, v5, v1
	v_dual_lshlrev_b32 v5, 4, v5 :: v_dual_lshlrev_b32 v13, 4, v10
	v_add_nc_u64_e32 v[30:31], s[20:21], v[2:3]
	s_lshl_b64 s[12:13], s[12:13], 6
	s_lshl_b64 s[20:21], s[46:47], 4
	s_delay_alu instid0(VALU_DEP_2) | instskip(SKIP_3) | instid1(VALU_DEP_3)
	v_lshl_or_b32 v105, v12, 10, v13
	v_add_nc_u64_e32 v[6:7], v[8:9], v[10:11]
	v_lshlrev_b64_e32 v[0:1], 4, v[0:1]
	v_lshl_or_b32 v8, v4, 6, v5
	v_lshlrev_b64_e32 v[4:5], 4, v[6:7]
	s_delay_alu instid0(VALU_DEP_3)
	v_lshl_add_u64 v[32:33], s[36:37], 4, v[0:1]
	v_cndmask_b32_e64 v0, 0, 1, s0
	v_lshlrev_b32_e32 v104, 4, v2
	v_add_nc_u32_e32 v106, 0x1000, v8
	s_and_b32 s1, s24, s25
	v_or_b32_e32 v32, 8, v32
	v_lshl_add_u64 v[34:35], s[14:15], 4, v[4:5]
	v_cmp_ne_u32_e64 s0, 1, v0
	s_lshl_b64 s[24:25], s[50:51], 4
	s_lshl_b64 s[14:15], s[18:19], 6
	s_wait_kmcnt 0x0
	s_lshl_b64 s[18:19], s[22:23], 4
	s_lshl_b64 s[22:23], s[26:27], 4
	;; [unrolled: 1-line block ×3, first 2 shown]
	s_branch .LBB258_3
.LBB258_2:                              ;   in Loop: Header=BB258_3 Depth=1
	s_add_co_i32 s2, s2, 0x10000
	flat_store_b64 v[4:5], v[2:3] offset:8
	s_cmp_lt_i32 s2, s28
	s_cbranch_scc0 .LBB258_11
.LBB258_3:                              ; =>This Loop Header: Depth=1
                                        ;     Child Loop BB258_5 Depth 2
	s_wait_xcnt 0x1
	v_mov_b32_e32 v0, s2
	s_and_b32 vcc_lo, exec_lo, s0
	s_clause 0x1
	global_load_b64 v[36:37], v0, s[42:43] scale_offset
	global_load_b64 v[38:39], v0, s[48:49] scale_offset
	s_cbranch_vccnz .LBB258_8
; %bb.4:                                ;   in Loop: Header=BB258_3 Depth=1
	s_lshl_b64 s[26:27], s[2:3], 3
	v_mov_b64_e32 v[90:91], 0
	s_add_nc_u64 s[30:31], s[10:11], s[26:27]
	s_add_nc_u64 s[26:27], s[16:17], s[26:27]
	s_clause 0x1
	global_load_b64 v[0:1], v25, s[30:31]
	global_load_b64 v[2:3], v25, s[26:27]
	v_mov_b64_e32 v[88:89], 0
	v_mov_b64_e32 v[10:11], 0
	;; [unrolled: 1-line block ×31, first 2 shown]
	s_wait_xcnt 0x0
	s_mov_b64 s[26:27], 0
	s_wait_loadcnt 0x1
	v_add_nc_u64_e32 v[40:41], v[0:1], v[34:35]
	s_wait_loadcnt 0x0
	v_add_nc_u64_e32 v[42:43], v[2:3], v[32:33]
.LBB258_5:                              ;   Parent Loop BB258_3 Depth=1
                                        ; =>  This Inner Loop Header: Depth=2
	flat_load_b128 v[0:3], v[40:41]
	s_add_nc_u64 s[26:27], s[26:27], 4
	s_wait_xcnt 0x0
	v_add_nc_u64_e32 v[40:41], s[12:13], v[40:41]
	v_cmp_lt_i64_e64 s29, s[26:27], s[4:5]
	s_and_b32 vcc_lo, exec_lo, s29
	s_wait_loadcnt_dscnt 0x0
	ds_store_2addr_b64 v105, v[0:1], v[2:3] offset1:1
	flat_load_b128 v[0:3], v[42:43] offset:-8
	s_wait_xcnt 0x0
	v_add_nc_u64_e32 v[42:43], s[14:15], v[42:43]
	s_wait_loadcnt_dscnt 0x0
	v_xor_b32_e32 v3, 0x80000000, v3
	ds_store_b128 v106, v[0:3]
	s_wait_dscnt 0x0
	s_barrier_signal -1
	s_barrier_wait -1
	ds_load_b128 v[92:95], v24
	ds_load_b128 v[96:99], v24 offset:16
	ds_load_b128 v[4:7], v24 offset:32
	;; [unrolled: 1-line block ×3, first 2 shown]
	ds_load_b128 v[100:103], v104
	s_wait_dscnt 0x0
	v_mul_f64_e32 v[108:109], v[94:95], v[102:103]
	v_mul_f64_e32 v[110:111], v[92:93], v[102:103]
	s_delay_alu instid0(VALU_DEP_2) | instskip(NEXT) | instid1(VALU_DEP_2)
	v_fma_f64 v[108:109], v[92:93], v[100:101], -v[108:109]
	v_fmac_f64_e32 v[110:111], v[94:95], v[100:101]
	s_delay_alu instid0(VALU_DEP_2) | instskip(NEXT) | instid1(VALU_DEP_2)
	v_add_f64_e32 v[112:113], v[64:65], v[108:109]
	v_add_f64_e32 v[114:115], v[110:111], v[66:67]
	ds_load_b128 v[64:67], v104 offset:256
	s_wait_dscnt 0x0
	v_mul_f64_e32 v[108:109], v[94:95], v[66:67]
	v_mul_f64_e32 v[110:111], v[92:93], v[66:67]
	s_delay_alu instid0(VALU_DEP_2) | instskip(NEXT) | instid1(VALU_DEP_2)
	v_fma_f64 v[108:109], v[92:93], v[64:65], -v[108:109]
	v_fmac_f64_e32 v[110:111], v[94:95], v[64:65]
	s_delay_alu instid0(VALU_DEP_2) | instskip(NEXT) | instid1(VALU_DEP_2)
	v_add_f64_e32 v[48:49], v[48:49], v[108:109]
	v_add_f64_e32 v[116:117], v[110:111], v[52:53]
	ds_load_b128 v[108:111], v104 offset:512
	;; [unrolled: 10-line block ×3, first 2 shown]
	s_wait_dscnt 0x0
	v_mul_f64_e32 v[52:53], v[94:95], v[46:47]
	s_delay_alu instid0(VALU_DEP_1) | instskip(SKIP_1) | instid1(VALU_DEP_1)
	v_fma_f64 v[52:53], v[92:93], v[44:45], -v[52:53]
	v_mul_f64_e32 v[92:93], v[92:93], v[46:47]
	v_fmac_f64_e32 v[92:93], v[94:95], v[44:45]
	s_delay_alu instid0(VALU_DEP_3) | instskip(NEXT) | instid1(VALU_DEP_2)
	v_add_f64_e32 v[94:95], v[20:21], v[52:53]
	v_add_f64_e32 v[92:93], v[92:93], v[22:23]
	ds_load_b128 v[20:23], v24 offset:1024
	s_wait_dscnt 0x0
	v_mul_f64_e32 v[52:53], v[22:23], v[102:103]
	v_mul_f64_e32 v[122:123], v[20:21], v[102:103]
	s_delay_alu instid0(VALU_DEP_2) | instskip(NEXT) | instid1(VALU_DEP_2)
	v_fma_f64 v[52:53], v[20:21], v[100:101], -v[52:53]
	v_fmac_f64_e32 v[122:123], v[22:23], v[100:101]
	s_delay_alu instid0(VALU_DEP_2) | instskip(SKIP_1) | instid1(VALU_DEP_3)
	v_add_f64_e32 v[84:85], v[84:85], v[52:53]
	v_mul_f64_e32 v[52:53], v[22:23], v[66:67]
	v_add_f64_e32 v[86:87], v[122:123], v[86:87]
	v_mul_f64_e32 v[122:123], v[20:21], v[66:67]
	s_delay_alu instid0(VALU_DEP_3) | instskip(NEXT) | instid1(VALU_DEP_2)
	v_fma_f64 v[52:53], v[20:21], v[64:65], -v[52:53]
	v_fmac_f64_e32 v[122:123], v[22:23], v[64:65]
	s_delay_alu instid0(VALU_DEP_2) | instskip(SKIP_2) | instid1(VALU_DEP_4)
	v_add_f64_e32 v[124:125], v[76:77], v[52:53]
	v_mul_f64_e32 v[52:53], v[22:23], v[110:111]
	v_mul_f64_e32 v[76:77], v[20:21], v[110:111]
	v_add_f64_e32 v[122:123], v[122:123], v[80:81]
	s_delay_alu instid0(VALU_DEP_3) | instskip(NEXT) | instid1(VALU_DEP_3)
	v_fma_f64 v[52:53], v[20:21], v[108:109], -v[52:53]
	v_fmac_f64_e32 v[76:77], v[22:23], v[108:109]
	s_delay_alu instid0(VALU_DEP_2) | instskip(SKIP_1) | instid1(VALU_DEP_3)
	v_add_f64_e32 v[126:127], v[68:69], v[52:53]
	v_mul_f64_e32 v[52:53], v[22:23], v[46:47]
	v_add_f64_e32 v[128:129], v[76:77], v[72:73]
	s_delay_alu instid0(VALU_DEP_2) | instskip(SKIP_1) | instid1(VALU_DEP_2)
	v_fma_f64 v[52:53], v[20:21], v[44:45], -v[52:53]
	v_mul_f64_e32 v[20:21], v[20:21], v[46:47]
	v_add_f64_e32 v[130:131], v[56:57], v[52:53]
	s_delay_alu instid0(VALU_DEP_2) | instskip(NEXT) | instid1(VALU_DEP_1)
	v_fmac_f64_e32 v[20:21], v[22:23], v[44:45]
	v_add_f64_e32 v[132:133], v[20:21], v[60:61]
	ds_load_b128 v[20:23], v24 offset:2048
	s_wait_dscnt 0x0
	v_mul_f64_e32 v[52:53], v[22:23], v[102:103]
	v_mul_f64_e32 v[56:57], v[20:21], v[102:103]
	s_delay_alu instid0(VALU_DEP_2) | instskip(NEXT) | instid1(VALU_DEP_2)
	v_fma_f64 v[52:53], v[20:21], v[100:101], -v[52:53]
	v_fmac_f64_e32 v[56:57], v[22:23], v[100:101]
	s_delay_alu instid0(VALU_DEP_2) | instskip(SKIP_1) | instid1(VALU_DEP_3)
	v_add_f64_e32 v[134:135], v[78:79], v[52:53]
	v_mul_f64_e32 v[52:53], v[22:23], v[66:67]
	v_add_f64_e32 v[136:137], v[56:57], v[82:83]
	v_mul_f64_e32 v[56:57], v[20:21], v[66:67]
	s_delay_alu instid0(VALU_DEP_3) | instskip(NEXT) | instid1(VALU_DEP_2)
	v_fma_f64 v[52:53], v[20:21], v[64:65], -v[52:53]
	v_fmac_f64_e32 v[56:57], v[22:23], v[64:65]
	s_delay_alu instid0(VALU_DEP_2) | instskip(SKIP_1) | instid1(VALU_DEP_3)
	v_add_f64_e32 v[138:139], v[70:71], v[52:53]
	v_mul_f64_e32 v[52:53], v[22:23], v[110:111]
	v_add_f64_e32 v[140:141], v[56:57], v[74:75]
	v_mul_f64_e32 v[56:57], v[20:21], v[110:111]
	s_delay_alu instid0(VALU_DEP_3) | instskip(NEXT) | instid1(VALU_DEP_2)
	v_fma_f64 v[52:53], v[20:21], v[108:109], -v[52:53]
	v_fmac_f64_e32 v[56:57], v[22:23], v[108:109]
	s_delay_alu instid0(VALU_DEP_2) | instskip(SKIP_1) | instid1(VALU_DEP_3)
	v_add_f64_e32 v[142:143], v[58:59], v[52:53]
	v_mul_f64_e32 v[52:53], v[22:23], v[46:47]
	v_add_f64_e32 v[144:145], v[56:57], v[62:63]
	s_delay_alu instid0(VALU_DEP_2) | instskip(SKIP_1) | instid1(VALU_DEP_2)
	v_fma_f64 v[52:53], v[20:21], v[44:45], -v[52:53]
	v_mul_f64_e32 v[20:21], v[20:21], v[46:47]
	v_add_f64_e32 v[146:147], v[50:51], v[52:53]
	s_delay_alu instid0(VALU_DEP_2) | instskip(NEXT) | instid1(VALU_DEP_1)
	v_fmac_f64_e32 v[20:21], v[22:23], v[44:45]
	v_add_f64_e32 v[148:149], v[20:21], v[54:55]
	ds_load_b128 v[20:23], v24 offset:3072
	s_wait_dscnt 0x0
	v_mul_f64_e32 v[50:51], v[22:23], v[102:103]
	v_mul_f64_e32 v[52:53], v[20:21], v[102:103]
	s_delay_alu instid0(VALU_DEP_2) | instskip(NEXT) | instid1(VALU_DEP_2)
	v_fma_f64 v[50:51], v[20:21], v[100:101], -v[50:51]
	v_fmac_f64_e32 v[52:53], v[22:23], v[100:101]
	s_delay_alu instid0(VALU_DEP_2) | instskip(NEXT) | instid1(VALU_DEP_2)
	v_add_f64_e32 v[72:73], v[16:17], v[50:51]
	v_add_f64_e32 v[74:75], v[52:53], v[18:19]
	v_mul_f64_e32 v[16:17], v[22:23], v[66:67]
	v_mul_f64_e32 v[18:19], v[20:21], v[66:67]
	s_delay_alu instid0(VALU_DEP_2) | instskip(NEXT) | instid1(VALU_DEP_2)
	v_fma_f64 v[16:17], v[20:21], v[64:65], -v[16:17]
	v_fmac_f64_e32 v[18:19], v[22:23], v[64:65]
	s_delay_alu instid0(VALU_DEP_2) | instskip(NEXT) | instid1(VALU_DEP_2)
	v_add_f64_e32 v[68:69], v[12:13], v[16:17]
	v_add_f64_e32 v[70:71], v[18:19], v[14:15]
	v_mul_f64_e32 v[12:13], v[22:23], v[110:111]
	v_mul_f64_e32 v[14:15], v[20:21], v[110:111]
	ds_load_b128 v[16:19], v104 offset:1280
	v_fma_f64 v[12:13], v[20:21], v[108:109], -v[12:13]
	v_fmac_f64_e32 v[14:15], v[22:23], v[108:109]
	s_delay_alu instid0(VALU_DEP_2) | instskip(NEXT) | instid1(VALU_DEP_2)
	v_add_f64_e32 v[64:65], v[8:9], v[12:13]
	v_add_f64_e32 v[66:67], v[14:15], v[10:11]
	v_mul_f64_e32 v[8:9], v[22:23], v[46:47]
	v_mul_f64_e32 v[10:11], v[20:21], v[46:47]
	ds_load_b128 v[12:15], v104 offset:1536
	v_fma_f64 v[8:9], v[20:21], v[44:45], -v[8:9]
	v_fmac_f64_e32 v[10:11], v[22:23], v[44:45]
	ds_load_b128 v[20:23], v104 offset:1024
	v_add_f64_e32 v[60:61], v[88:89], v[8:9]
	v_add_f64_e32 v[62:63], v[10:11], v[90:91]
	ds_load_b128 v[88:91], v24 offset:1040
	s_wait_dscnt 0x1
	v_mul_f64_e32 v[8:9], v[98:99], v[22:23]
	v_mul_f64_e32 v[10:11], v[96:97], v[22:23]
	s_wait_dscnt 0x0
	v_mul_f64_e32 v[76:77], v[90:91], v[22:23]
	v_mul_f64_e32 v[78:79], v[88:89], v[22:23]
	;; [unrolled: 1-line block ×4, first 2 shown]
	v_fma_f64 v[8:9], v[96:97], v[20:21], -v[8:9]
	v_fmac_f64_e32 v[10:11], v[98:99], v[20:21]
	v_fma_f64 v[76:77], v[88:89], v[20:21], -v[76:77]
	v_fmac_f64_e32 v[78:79], v[90:91], v[20:21]
	;; [unrolled: 2-line block ×3, first 2 shown]
	v_add_f64_e32 v[56:57], v[112:113], v[8:9]
	v_add_f64_e32 v[58:59], v[10:11], v[114:115]
	v_mul_f64_e32 v[8:9], v[98:99], v[18:19]
	v_mul_f64_e32 v[10:11], v[96:97], v[18:19]
	v_add_f64_e32 v[76:77], v[84:85], v[76:77]
	v_add_f64_e32 v[78:79], v[78:79], v[86:87]
	v_mul_f64_e32 v[84:85], v[90:91], v[14:15]
	v_mul_f64_e32 v[86:87], v[88:89], v[14:15]
	v_add_f64_e32 v[80:81], v[124:125], v[80:81]
	v_add_f64_e32 v[82:83], v[82:83], v[122:123]
	v_fma_f64 v[8:9], v[96:97], v[16:17], -v[8:9]
	v_fmac_f64_e32 v[10:11], v[98:99], v[16:17]
	v_fma_f64 v[84:85], v[88:89], v[12:13], -v[84:85]
	v_fmac_f64_e32 v[86:87], v[90:91], v[12:13]
	s_delay_alu instid0(VALU_DEP_4) | instskip(NEXT) | instid1(VALU_DEP_4)
	v_add_f64_e32 v[52:53], v[48:49], v[8:9]
	v_add_f64_e32 v[54:55], v[10:11], v[116:117]
	v_mul_f64_e32 v[8:9], v[98:99], v[14:15]
	v_mul_f64_e32 v[10:11], v[96:97], v[14:15]
	v_add_f64_e32 v[84:85], v[126:127], v[84:85]
	v_add_f64_e32 v[86:87], v[86:87], v[128:129]
	s_delay_alu instid0(VALU_DEP_4) | instskip(NEXT) | instid1(VALU_DEP_4)
	v_fma_f64 v[8:9], v[96:97], v[12:13], -v[8:9]
	v_fmac_f64_e32 v[10:11], v[98:99], v[12:13]
	s_delay_alu instid0(VALU_DEP_2) | instskip(NEXT) | instid1(VALU_DEP_2)
	v_add_f64_e32 v[48:49], v[120:121], v[8:9]
	v_add_f64_e32 v[50:51], v[10:11], v[118:119]
	ds_load_b128 v[8:11], v104 offset:1792
	s_wait_dscnt 0x0
	v_mul_f64_e32 v[44:45], v[98:99], v[10:11]
	v_mul_f64_e32 v[46:47], v[96:97], v[10:11]
	s_delay_alu instid0(VALU_DEP_2) | instskip(NEXT) | instid1(VALU_DEP_2)
	v_fma_f64 v[44:45], v[96:97], v[8:9], -v[44:45]
	v_fmac_f64_e32 v[46:47], v[98:99], v[8:9]
	s_delay_alu instid0(VALU_DEP_2) | instskip(NEXT) | instid1(VALU_DEP_2)
	v_add_f64_e32 v[44:45], v[94:95], v[44:45]
	v_add_f64_e32 v[46:47], v[46:47], v[92:93]
	v_mul_f64_e32 v[92:93], v[90:91], v[10:11]
	v_mul_f64_e32 v[94:95], v[88:89], v[10:11]
	s_delay_alu instid0(VALU_DEP_2) | instskip(NEXT) | instid1(VALU_DEP_2)
	v_fma_f64 v[92:93], v[88:89], v[8:9], -v[92:93]
	v_fmac_f64_e32 v[94:95], v[90:91], v[8:9]
	s_delay_alu instid0(VALU_DEP_2) | instskip(NEXT) | instid1(VALU_DEP_2)
	v_add_f64_e32 v[88:89], v[130:131], v[92:93]
	v_add_f64_e32 v[90:91], v[94:95], v[132:133]
	ds_load_b128 v[92:95], v24 offset:2064
	s_wait_dscnt 0x0
	v_mul_f64_e32 v[96:97], v[94:95], v[22:23]
	v_mul_f64_e32 v[100:101], v[94:95], v[18:19]
	;; [unrolled: 1-line block ×7, first 2 shown]
	v_fma_f64 v[96:97], v[92:93], v[20:21], -v[96:97]
	v_fma_f64 v[100:101], v[92:93], v[16:17], -v[100:101]
	;; [unrolled: 1-line block ×4, first 2 shown]
	v_mul_f64_e32 v[92:93], v[92:93], v[10:11]
	v_fmac_f64_e32 v[98:99], v[94:95], v[20:21]
	v_fmac_f64_e32 v[102:103], v[94:95], v[16:17]
	v_fmac_f64_e32 v[110:111], v[94:95], v[12:13]
	v_add_f64_e32 v[96:97], v[134:135], v[96:97]
	v_add_f64_e32 v[100:101], v[138:139], v[100:101]
	;; [unrolled: 1-line block ×4, first 2 shown]
	v_fmac_f64_e32 v[92:93], v[94:95], v[8:9]
	v_add_f64_e32 v[98:99], v[98:99], v[136:137]
	v_add_f64_e32 v[102:103], v[102:103], v[140:141]
	;; [unrolled: 1-line block ×3, first 2 shown]
	s_delay_alu instid0(VALU_DEP_4) | instskip(SKIP_4) | instid1(VALU_DEP_2)
	v_add_f64_e32 v[114:115], v[92:93], v[148:149]
	ds_load_b128 v[92:95], v24 offset:3088
	s_wait_dscnt 0x0
	v_mul_f64_e32 v[116:117], v[94:95], v[22:23]
	v_mul_f64_e32 v[22:23], v[92:93], v[22:23]
	v_fma_f64 v[116:117], v[92:93], v[20:21], -v[116:117]
	s_delay_alu instid0(VALU_DEP_2) | instskip(SKIP_2) | instid1(VALU_DEP_4)
	v_fmac_f64_e32 v[22:23], v[94:95], v[20:21]
	v_mul_f64_e32 v[20:21], v[94:95], v[18:19]
	v_mul_f64_e32 v[18:19], v[92:93], v[18:19]
	v_add_f64_e32 v[72:73], v[72:73], v[116:117]
	s_delay_alu instid0(VALU_DEP_4) | instskip(NEXT) | instid1(VALU_DEP_4)
	v_add_f64_e32 v[74:75], v[22:23], v[74:75]
	v_fma_f64 v[20:21], v[92:93], v[16:17], -v[20:21]
	s_delay_alu instid0(VALU_DEP_4) | instskip(SKIP_2) | instid1(VALU_DEP_4)
	v_fmac_f64_e32 v[18:19], v[94:95], v[16:17]
	v_mul_f64_e32 v[16:17], v[94:95], v[14:15]
	v_mul_f64_e32 v[14:15], v[92:93], v[14:15]
	v_add_f64_e32 v[68:69], v[68:69], v[20:21]
	s_delay_alu instid0(VALU_DEP_4) | instskip(NEXT) | instid1(VALU_DEP_4)
	v_add_f64_e32 v[70:71], v[18:19], v[70:71]
	v_fma_f64 v[16:17], v[92:93], v[12:13], -v[16:17]
	s_delay_alu instid0(VALU_DEP_4) | instskip(SKIP_2) | instid1(VALU_DEP_4)
	v_fmac_f64_e32 v[14:15], v[94:95], v[12:13]
	v_mul_f64_e32 v[12:13], v[94:95], v[10:11]
	v_mul_f64_e32 v[10:11], v[92:93], v[10:11]
	v_add_f64_e32 v[64:65], v[64:65], v[16:17]
	s_delay_alu instid0(VALU_DEP_4) | instskip(NEXT) | instid1(VALU_DEP_4)
	v_add_f64_e32 v[66:67], v[14:15], v[66:67]
	v_fma_f64 v[12:13], v[92:93], v[8:9], -v[12:13]
	s_delay_alu instid0(VALU_DEP_4) | instskip(NEXT) | instid1(VALU_DEP_2)
	v_fmac_f64_e32 v[10:11], v[94:95], v[8:9]
	v_add_f64_e32 v[60:61], v[60:61], v[12:13]
	s_delay_alu instid0(VALU_DEP_2) | instskip(SKIP_4) | instid1(VALU_DEP_2)
	v_add_f64_e32 v[62:63], v[10:11], v[62:63]
	ds_load_b128 v[8:11], v104 offset:2048
	s_wait_dscnt 0x0
	v_mul_f64_e32 v[12:13], v[6:7], v[10:11]
	v_mul_f64_e32 v[14:15], v[4:5], v[10:11]
	v_fma_f64 v[12:13], v[4:5], v[8:9], -v[12:13]
	s_delay_alu instid0(VALU_DEP_2) | instskip(NEXT) | instid1(VALU_DEP_2)
	v_fmac_f64_e32 v[14:15], v[6:7], v[8:9]
	v_add_f64_e32 v[56:57], v[56:57], v[12:13]
	s_delay_alu instid0(VALU_DEP_2) | instskip(SKIP_4) | instid1(VALU_DEP_2)
	v_add_f64_e32 v[58:59], v[14:15], v[58:59]
	ds_load_b128 v[12:15], v104 offset:2304
	s_wait_dscnt 0x0
	v_mul_f64_e32 v[16:17], v[6:7], v[14:15]
	v_mul_f64_e32 v[18:19], v[4:5], v[14:15]
	v_fma_f64 v[16:17], v[4:5], v[12:13], -v[16:17]
	s_delay_alu instid0(VALU_DEP_2) | instskip(NEXT) | instid1(VALU_DEP_2)
	;; [unrolled: 10-line block ×3, first 2 shown]
	v_fmac_f64_e32 v[22:23], v[6:7], v[16:17]
	v_add_f64_e32 v[116:117], v[48:49], v[20:21]
	s_delay_alu instid0(VALU_DEP_2) | instskip(SKIP_3) | instid1(VALU_DEP_1)
	v_add_f64_e32 v[50:51], v[22:23], v[50:51]
	ds_load_b128 v[20:23], v104 offset:2816
	s_wait_dscnt 0x0
	v_mul_f64_e32 v[48:49], v[6:7], v[22:23]
	v_fma_f64 v[48:49], v[4:5], v[20:21], -v[48:49]
	v_mul_f64_e32 v[4:5], v[4:5], v[22:23]
	s_delay_alu instid0(VALU_DEP_2) | instskip(NEXT) | instid1(VALU_DEP_2)
	v_add_f64_e32 v[118:119], v[44:45], v[48:49]
	v_fmac_f64_e32 v[4:5], v[6:7], v[20:21]
	s_delay_alu instid0(VALU_DEP_1) | instskip(SKIP_4) | instid1(VALU_DEP_2)
	v_add_f64_e32 v[120:121], v[4:5], v[46:47]
	ds_load_b128 v[4:7], v24 offset:1056
	s_wait_dscnt 0x0
	v_mul_f64_e32 v[44:45], v[6:7], v[10:11]
	v_mul_f64_e32 v[46:47], v[4:5], v[10:11]
	v_fma_f64 v[44:45], v[4:5], v[8:9], -v[44:45]
	s_delay_alu instid0(VALU_DEP_2) | instskip(NEXT) | instid1(VALU_DEP_2)
	v_fmac_f64_e32 v[46:47], v[6:7], v[8:9]
	v_add_f64_e32 v[76:77], v[76:77], v[44:45]
	v_mul_f64_e32 v[44:45], v[6:7], v[14:15]
	s_delay_alu instid0(VALU_DEP_3) | instskip(SKIP_1) | instid1(VALU_DEP_3)
	v_add_f64_e32 v[78:79], v[46:47], v[78:79]
	v_mul_f64_e32 v[46:47], v[4:5], v[14:15]
	v_fma_f64 v[44:45], v[4:5], v[12:13], -v[44:45]
	s_delay_alu instid0(VALU_DEP_2) | instskip(NEXT) | instid1(VALU_DEP_2)
	v_fmac_f64_e32 v[46:47], v[6:7], v[12:13]
	v_add_f64_e32 v[80:81], v[80:81], v[44:45]
	v_mul_f64_e32 v[44:45], v[6:7], v[18:19]
	s_delay_alu instid0(VALU_DEP_3) | instskip(SKIP_1) | instid1(VALU_DEP_3)
	v_add_f64_e32 v[82:83], v[46:47], v[82:83]
	v_mul_f64_e32 v[46:47], v[4:5], v[18:19]
	v_fma_f64 v[44:45], v[4:5], v[16:17], -v[44:45]
	s_delay_alu instid0(VALU_DEP_2) | instskip(NEXT) | instid1(VALU_DEP_2)
	v_fmac_f64_e32 v[46:47], v[6:7], v[16:17]
	v_add_f64_e32 v[122:123], v[84:85], v[44:45]
	v_mul_f64_e32 v[44:45], v[6:7], v[22:23]
	s_delay_alu instid0(VALU_DEP_3) | instskip(NEXT) | instid1(VALU_DEP_2)
	v_add_f64_e32 v[124:125], v[46:47], v[86:87]
	v_fma_f64 v[44:45], v[4:5], v[20:21], -v[44:45]
	v_mul_f64_e32 v[4:5], v[4:5], v[22:23]
	s_delay_alu instid0(VALU_DEP_2) | instskip(NEXT) | instid1(VALU_DEP_2)
	v_add_f64_e32 v[126:127], v[88:89], v[44:45]
	v_fmac_f64_e32 v[4:5], v[6:7], v[20:21]
	s_delay_alu instid0(VALU_DEP_1) | instskip(SKIP_4) | instid1(VALU_DEP_2)
	v_add_f64_e32 v[128:129], v[4:5], v[90:91]
	ds_load_b128 v[4:7], v24 offset:2080
	s_wait_dscnt 0x0
	v_mul_f64_e32 v[44:45], v[6:7], v[10:11]
	v_mul_f64_e32 v[46:47], v[4:5], v[10:11]
	v_fma_f64 v[44:45], v[4:5], v[8:9], -v[44:45]
	s_delay_alu instid0(VALU_DEP_2) | instskip(NEXT) | instid1(VALU_DEP_2)
	v_fmac_f64_e32 v[46:47], v[6:7], v[8:9]
	v_add_f64_e32 v[130:131], v[96:97], v[44:45]
	v_mul_f64_e32 v[44:45], v[6:7], v[14:15]
	s_delay_alu instid0(VALU_DEP_3) | instskip(SKIP_1) | instid1(VALU_DEP_3)
	v_add_f64_e32 v[132:133], v[46:47], v[98:99]
	v_mul_f64_e32 v[46:47], v[4:5], v[14:15]
	v_fma_f64 v[44:45], v[4:5], v[12:13], -v[44:45]
	s_delay_alu instid0(VALU_DEP_2) | instskip(NEXT) | instid1(VALU_DEP_2)
	v_fmac_f64_e32 v[46:47], v[6:7], v[12:13]
	v_add_f64_e32 v[134:135], v[100:101], v[44:45]
	v_mul_f64_e32 v[44:45], v[6:7], v[18:19]
	s_delay_alu instid0(VALU_DEP_3) | instskip(SKIP_1) | instid1(VALU_DEP_3)
	v_add_f64_e32 v[136:137], v[46:47], v[102:103]
	v_mul_f64_e32 v[46:47], v[4:5], v[18:19]
	v_fma_f64 v[44:45], v[4:5], v[16:17], -v[44:45]
	s_delay_alu instid0(VALU_DEP_2) | instskip(NEXT) | instid1(VALU_DEP_2)
	v_fmac_f64_e32 v[46:47], v[6:7], v[16:17]
	v_add_f64_e32 v[108:109], v[108:109], v[44:45]
	v_mul_f64_e32 v[44:45], v[6:7], v[22:23]
	s_delay_alu instid0(VALU_DEP_3) | instskip(NEXT) | instid1(VALU_DEP_2)
	v_add_f64_e32 v[110:111], v[46:47], v[110:111]
	v_fma_f64 v[44:45], v[4:5], v[20:21], -v[44:45]
	v_mul_f64_e32 v[4:5], v[4:5], v[22:23]
	s_delay_alu instid0(VALU_DEP_2) | instskip(NEXT) | instid1(VALU_DEP_2)
	v_add_f64_e32 v[112:113], v[112:113], v[44:45]
	v_fmac_f64_e32 v[4:5], v[6:7], v[20:21]
	s_delay_alu instid0(VALU_DEP_1) | instskip(SKIP_4) | instid1(VALU_DEP_2)
	v_add_f64_e32 v[114:115], v[4:5], v[114:115]
	ds_load_b128 v[4:7], v24 offset:3104
	s_wait_dscnt 0x0
	v_mul_f64_e32 v[44:45], v[6:7], v[10:11]
	v_mul_f64_e32 v[10:11], v[4:5], v[10:11]
	v_fma_f64 v[44:45], v[4:5], v[8:9], -v[44:45]
	s_delay_alu instid0(VALU_DEP_2) | instskip(SKIP_1) | instid1(VALU_DEP_3)
	v_fmac_f64_e32 v[10:11], v[6:7], v[8:9]
	v_mul_f64_e32 v[8:9], v[6:7], v[14:15]
	v_add_f64_e32 v[100:101], v[72:73], v[44:45]
	s_delay_alu instid0(VALU_DEP_3) | instskip(NEXT) | instid1(VALU_DEP_3)
	v_add_f64_e32 v[102:103], v[10:11], v[74:75]
	v_fma_f64 v[8:9], v[4:5], v[12:13], -v[8:9]
	v_mul_f64_e32 v[10:11], v[4:5], v[14:15]
	s_delay_alu instid0(VALU_DEP_2) | instskip(SKIP_1) | instid1(VALU_DEP_3)
	v_add_f64_e32 v[96:97], v[68:69], v[8:9]
	v_mul_f64_e32 v[8:9], v[6:7], v[18:19]
	v_fmac_f64_e32 v[10:11], v[6:7], v[12:13]
	ds_load_b128 v[12:15], v104 offset:3328
	v_fma_f64 v[8:9], v[4:5], v[16:17], -v[8:9]
	v_add_f64_e32 v[98:99], v[10:11], v[70:71]
	v_mul_f64_e32 v[10:11], v[4:5], v[18:19]
	s_delay_alu instid0(VALU_DEP_3) | instskip(SKIP_1) | instid1(VALU_DEP_3)
	v_add_f64_e32 v[92:93], v[64:65], v[8:9]
	v_mul_f64_e32 v[8:9], v[6:7], v[22:23]
	v_fmac_f64_e32 v[10:11], v[6:7], v[16:17]
	ds_load_b128 v[16:19], v104 offset:3072
	v_fma_f64 v[8:9], v[4:5], v[20:21], -v[8:9]
	v_mul_f64_e32 v[4:5], v[4:5], v[22:23]
	v_add_f64_e32 v[94:95], v[10:11], v[66:67]
	s_delay_alu instid0(VALU_DEP_3) | instskip(NEXT) | instid1(VALU_DEP_3)
	v_add_f64_e32 v[88:89], v[60:61], v[8:9]
	v_fmac_f64_e32 v[4:5], v[6:7], v[20:21]
	s_wait_dscnt 0x0
	v_mul_f64_e32 v[6:7], v[0:1], v[18:19]
	ds_load_b128 v[8:11], v104 offset:3584
	v_add_f64_e32 v[90:91], v[4:5], v[62:63]
	v_mul_f64_e32 v[4:5], v[2:3], v[18:19]
	v_fmac_f64_e32 v[6:7], v[2:3], v[16:17]
	s_delay_alu instid0(VALU_DEP_2) | instskip(NEXT) | instid1(VALU_DEP_2)
	v_fma_f64 v[4:5], v[0:1], v[16:17], -v[4:5]
	v_add_f64_e32 v[66:67], v[6:7], v[58:59]
	v_mul_f64_e32 v[6:7], v[0:1], v[14:15]
	s_delay_alu instid0(VALU_DEP_3) | instskip(SKIP_1) | instid1(VALU_DEP_3)
	v_add_f64_e32 v[64:65], v[56:57], v[4:5]
	v_mul_f64_e32 v[4:5], v[2:3], v[14:15]
	v_fmac_f64_e32 v[6:7], v[2:3], v[12:13]
	s_delay_alu instid0(VALU_DEP_2) | instskip(NEXT) | instid1(VALU_DEP_1)
	v_fma_f64 v[4:5], v[0:1], v[12:13], -v[4:5]
	v_add_f64_e32 v[48:49], v[52:53], v[4:5]
	s_delay_alu instid0(VALU_DEP_3) | instskip(SKIP_3) | instid1(VALU_DEP_2)
	v_add_f64_e32 v[52:53], v[6:7], v[54:55]
	s_wait_dscnt 0x0
	v_mul_f64_e32 v[4:5], v[2:3], v[10:11]
	v_mul_f64_e32 v[6:7], v[0:1], v[10:11]
	v_fma_f64 v[4:5], v[0:1], v[8:9], -v[4:5]
	s_delay_alu instid0(VALU_DEP_2) | instskip(NEXT) | instid1(VALU_DEP_2)
	v_fmac_f64_e32 v[6:7], v[2:3], v[8:9]
	v_add_f64_e32 v[44:45], v[116:117], v[4:5]
	s_delay_alu instid0(VALU_DEP_2) | instskip(SKIP_3) | instid1(VALU_DEP_1)
	v_add_f64_e32 v[46:47], v[6:7], v[50:51]
	ds_load_b128 v[4:7], v104 offset:3840
	s_wait_dscnt 0x0
	v_mul_f64_e32 v[20:21], v[2:3], v[6:7]
	v_fma_f64 v[20:21], v[0:1], v[4:5], -v[20:21]
	v_mul_f64_e32 v[0:1], v[0:1], v[6:7]
	s_delay_alu instid0(VALU_DEP_2) | instskip(NEXT) | instid1(VALU_DEP_2)
	v_add_f64_e32 v[20:21], v[118:119], v[20:21]
	v_fmac_f64_e32 v[0:1], v[2:3], v[4:5]
	s_delay_alu instid0(VALU_DEP_1) | instskip(SKIP_4) | instid1(VALU_DEP_2)
	v_add_f64_e32 v[22:23], v[0:1], v[120:121]
	ds_load_b128 v[0:3], v24 offset:1072
	s_wait_dscnt 0x0
	v_mul_f64_e32 v[50:51], v[2:3], v[18:19]
	v_mul_f64_e32 v[54:55], v[0:1], v[18:19]
	v_fma_f64 v[50:51], v[0:1], v[16:17], -v[50:51]
	s_delay_alu instid0(VALU_DEP_2) | instskip(NEXT) | instid1(VALU_DEP_2)
	v_fmac_f64_e32 v[54:55], v[2:3], v[16:17]
	v_add_f64_e32 v[84:85], v[76:77], v[50:51]
	v_mul_f64_e32 v[50:51], v[2:3], v[14:15]
	s_delay_alu instid0(VALU_DEP_3) | instskip(SKIP_1) | instid1(VALU_DEP_3)
	v_add_f64_e32 v[86:87], v[54:55], v[78:79]
	v_mul_f64_e32 v[54:55], v[0:1], v[14:15]
	v_fma_f64 v[50:51], v[0:1], v[12:13], -v[50:51]
	s_delay_alu instid0(VALU_DEP_2) | instskip(NEXT) | instid1(VALU_DEP_2)
	v_fmac_f64_e32 v[54:55], v[2:3], v[12:13]
	v_add_f64_e32 v[76:77], v[80:81], v[50:51]
	v_mul_f64_e32 v[50:51], v[2:3], v[10:11]
	s_delay_alu instid0(VALU_DEP_3) | instskip(SKIP_1) | instid1(VALU_DEP_3)
	v_add_f64_e32 v[80:81], v[54:55], v[82:83]
	v_mul_f64_e32 v[54:55], v[0:1], v[10:11]
	v_fma_f64 v[50:51], v[0:1], v[8:9], -v[50:51]
	s_delay_alu instid0(VALU_DEP_2) | instskip(NEXT) | instid1(VALU_DEP_2)
	v_fmac_f64_e32 v[54:55], v[2:3], v[8:9]
	v_add_f64_e32 v[68:69], v[122:123], v[50:51]
	v_mul_f64_e32 v[50:51], v[2:3], v[6:7]
	s_delay_alu instid0(VALU_DEP_3) | instskip(NEXT) | instid1(VALU_DEP_2)
	v_add_f64_e32 v[72:73], v[54:55], v[124:125]
	v_fma_f64 v[50:51], v[0:1], v[4:5], -v[50:51]
	v_mul_f64_e32 v[0:1], v[0:1], v[6:7]
	s_delay_alu instid0(VALU_DEP_2) | instskip(NEXT) | instid1(VALU_DEP_2)
	v_add_f64_e32 v[56:57], v[126:127], v[50:51]
	v_fmac_f64_e32 v[0:1], v[2:3], v[4:5]
	s_delay_alu instid0(VALU_DEP_1) | instskip(SKIP_4) | instid1(VALU_DEP_2)
	v_add_f64_e32 v[60:61], v[0:1], v[128:129]
	ds_load_b128 v[0:3], v24 offset:2096
	s_wait_dscnt 0x0
	v_mul_f64_e32 v[50:51], v[2:3], v[18:19]
	v_mul_f64_e32 v[54:55], v[0:1], v[18:19]
	v_fma_f64 v[50:51], v[0:1], v[16:17], -v[50:51]
	s_delay_alu instid0(VALU_DEP_2) | instskip(NEXT) | instid1(VALU_DEP_2)
	v_fmac_f64_e32 v[54:55], v[2:3], v[16:17]
	v_add_f64_e32 v[78:79], v[130:131], v[50:51]
	v_mul_f64_e32 v[50:51], v[2:3], v[14:15]
	s_delay_alu instid0(VALU_DEP_3) | instskip(SKIP_1) | instid1(VALU_DEP_3)
	v_add_f64_e32 v[82:83], v[54:55], v[132:133]
	v_mul_f64_e32 v[54:55], v[0:1], v[14:15]
	v_fma_f64 v[50:51], v[0:1], v[12:13], -v[50:51]
	s_delay_alu instid0(VALU_DEP_2) | instskip(NEXT) | instid1(VALU_DEP_2)
	v_fmac_f64_e32 v[54:55], v[2:3], v[12:13]
	v_add_f64_e32 v[70:71], v[134:135], v[50:51]
	v_mul_f64_e32 v[50:51], v[2:3], v[10:11]
	s_delay_alu instid0(VALU_DEP_3) | instskip(SKIP_1) | instid1(VALU_DEP_3)
	v_add_f64_e32 v[74:75], v[54:55], v[136:137]
	v_mul_f64_e32 v[54:55], v[0:1], v[10:11]
	v_fma_f64 v[50:51], v[0:1], v[8:9], -v[50:51]
	s_delay_alu instid0(VALU_DEP_2) | instskip(NEXT) | instid1(VALU_DEP_2)
	v_fmac_f64_e32 v[54:55], v[2:3], v[8:9]
	v_add_f64_e32 v[58:59], v[108:109], v[50:51]
	v_mul_f64_e32 v[50:51], v[2:3], v[6:7]
	s_delay_alu instid0(VALU_DEP_3) | instskip(NEXT) | instid1(VALU_DEP_2)
	v_add_f64_e32 v[62:63], v[54:55], v[110:111]
	v_fma_f64 v[50:51], v[0:1], v[4:5], -v[50:51]
	v_mul_f64_e32 v[0:1], v[0:1], v[6:7]
	s_delay_alu instid0(VALU_DEP_2) | instskip(NEXT) | instid1(VALU_DEP_2)
	v_add_f64_e32 v[50:51], v[112:113], v[50:51]
	v_fmac_f64_e32 v[0:1], v[2:3], v[4:5]
	s_delay_alu instid0(VALU_DEP_1)
	v_add_f64_e32 v[54:55], v[0:1], v[114:115]
	ds_load_b128 v[0:3], v24 offset:3120
	s_wait_dscnt 0x0
	s_barrier_signal -1
	s_barrier_wait -1
	v_mul_f64_e32 v[108:109], v[2:3], v[18:19]
	v_mul_f64_e32 v[18:19], v[0:1], v[18:19]
	s_delay_alu instid0(VALU_DEP_2) | instskip(NEXT) | instid1(VALU_DEP_2)
	v_fma_f64 v[108:109], v[0:1], v[16:17], -v[108:109]
	v_fmac_f64_e32 v[18:19], v[2:3], v[16:17]
	s_delay_alu instid0(VALU_DEP_2) | instskip(SKIP_2) | instid1(VALU_DEP_4)
	v_add_f64_e32 v[16:17], v[100:101], v[108:109]
	v_mul_f64_e32 v[100:101], v[2:3], v[14:15]
	v_mul_f64_e32 v[14:15], v[0:1], v[14:15]
	v_add_f64_e32 v[18:19], v[18:19], v[102:103]
	s_delay_alu instid0(VALU_DEP_3) | instskip(NEXT) | instid1(VALU_DEP_3)
	v_fma_f64 v[100:101], v[0:1], v[12:13], -v[100:101]
	v_fmac_f64_e32 v[14:15], v[2:3], v[12:13]
	s_delay_alu instid0(VALU_DEP_2) | instskip(SKIP_2) | instid1(VALU_DEP_4)
	v_add_f64_e32 v[12:13], v[96:97], v[100:101]
	v_mul_f64_e32 v[96:97], v[2:3], v[10:11]
	v_mul_f64_e32 v[10:11], v[0:1], v[10:11]
	v_add_f64_e32 v[14:15], v[14:15], v[98:99]
	s_delay_alu instid0(VALU_DEP_3) | instskip(NEXT) | instid1(VALU_DEP_3)
	v_fma_f64 v[96:97], v[0:1], v[8:9], -v[96:97]
	v_fmac_f64_e32 v[10:11], v[2:3], v[8:9]
	s_delay_alu instid0(VALU_DEP_2) | instskip(SKIP_1) | instid1(VALU_DEP_3)
	v_add_f64_e32 v[8:9], v[92:93], v[96:97]
	v_mul_f64_e32 v[92:93], v[2:3], v[6:7]
	v_add_f64_e32 v[10:11], v[10:11], v[94:95]
	s_delay_alu instid0(VALU_DEP_2) | instskip(SKIP_1) | instid1(VALU_DEP_2)
	v_fma_f64 v[92:93], v[0:1], v[4:5], -v[92:93]
	v_mul_f64_e32 v[0:1], v[0:1], v[6:7]
	v_add_f64_e32 v[88:89], v[88:89], v[92:93]
	s_delay_alu instid0(VALU_DEP_2) | instskip(NEXT) | instid1(VALU_DEP_1)
	v_fmac_f64_e32 v[0:1], v[2:3], v[4:5]
	v_add_f64_e32 v[90:91], v[0:1], v[90:91]
	s_cbranch_vccnz .LBB258_5
; %bb.6:                                ;   in Loop: Header=BB258_3 Depth=1
	v_add_nc_u64_e32 v[0:1], s[18:19], v[38:39]
	s_and_not1_b32 vcc_lo, exec_lo, s1
	s_mov_b32 s26, -1
                                        ; implicit-def: $vgpr2_vgpr3
                                        ; implicit-def: $vgpr4_vgpr5
	s_cbranch_vccnz .LBB258_9
.LBB258_7:                              ;   in Loop: Header=BB258_3 Depth=1
	v_mul_f64_e32 v[2:3], s[8:9], v[66:67]
	v_mul_f64_e32 v[42:43], s[8:9], v[46:47]
	;; [unrolled: 1-line block ×30, first 2 shown]
	v_lshlrev_b64_e32 v[148:149], 4, v[30:31]
	v_lshl_add_u64 v[150:151], v[26:27], 4, v[0:1]
	v_fma_f64 v[4:5], s[6:7], v[64:65], -v[2:3]
	v_mul_f64_e32 v[2:3], s[6:7], v[90:91]
	v_fma_f64 v[92:93], s[6:7], v[44:45], -v[42:43]
	v_mul_f64_e32 v[42:43], s[8:9], v[90:91]
	v_fmac_f64_e32 v[6:7], s[8:9], v[64:65]
	v_fma_f64 v[38:39], s[6:7], v[48:49], -v[38:39]
	v_fmac_f64_e32 v[40:41], s[8:9], v[48:49]
	v_add_nc_u64_e32 v[152:153], v[150:151], v[148:149]
	v_add_nc_u64_e32 v[150:151], s[24:25], v[150:151]
	v_fma_f64 v[100:101], s[6:7], v[84:85], -v[100:101]
	v_fma_f64 v[128:129], s[6:7], v[58:59], -v[128:129]
	v_fmac_f64_e32 v[94:95], s[8:9], v[44:45]
	v_fma_f64 v[144:145], s[6:7], v[8:9], -v[144:145]
	v_fmac_f64_e32 v[102:103], s[8:9], v[84:85]
	v_fmac_f64_e32 v[130:131], s[8:9], v[58:59]
	;; [unrolled: 1-line block ×3, first 2 shown]
	v_fma_f64 v[96:97], s[6:7], v[20:21], -v[96:97]
	v_fma_f64 v[108:109], s[6:7], v[76:77], -v[108:109]
	;; [unrolled: 1-line block ×3, first 2 shown]
	v_fmac_f64_e32 v[98:99], s[8:9], v[20:21]
	v_fmac_f64_e32 v[110:111], s[8:9], v[76:77]
	;; [unrolled: 1-line block ×3, first 2 shown]
	v_fma_f64 v[112:113], s[6:7], v[68:69], -v[112:113]
	v_fma_f64 v[136:137], s[6:7], v[16:17], -v[136:137]
	v_fmac_f64_e32 v[114:115], s[8:9], v[68:69]
	v_fmac_f64_e32 v[138:139], s[8:9], v[16:17]
	v_fma_f64 v[116:117], s[6:7], v[56:57], -v[116:117]
	v_fma_f64 v[140:141], s[6:7], v[12:13], -v[140:141]
	v_fmac_f64_e32 v[118:119], s[8:9], v[56:57]
	v_fmac_f64_e32 v[142:143], s[8:9], v[12:13]
	v_fma_f64 v[120:121], s[6:7], v[78:79], -v[120:121]
	v_fmac_f64_e32 v[122:123], s[8:9], v[78:79]
	v_fma_f64 v[124:125], s[6:7], v[70:71], -v[124:125]
	v_fmac_f64_e32 v[2:3], s[8:9], v[88:89]
	v_fmac_f64_e32 v[126:127], s[8:9], v[70:71]
	v_fma_f64 v[42:43], s[6:7], v[88:89], -v[42:43]
	flat_store_b128 v[152:153], v[4:7]
	s_wait_xcnt 0x0
	v_add_nc_u64_e32 v[4:5], s[24:25], v[150:151]
	v_add_nc_u64_e32 v[150:151], v[150:151], v[148:149]
	flat_store_b128 v[152:153], v[38:41] offset:256
	s_clause 0x1
	flat_store_b128 v[152:153], v[92:95] offset:512
	flat_store_b128 v[152:153], v[96:99] offset:768
	v_add_nc_u64_e32 v[6:7], s[24:25], v[4:5]
	s_wait_xcnt 0x2
	v_add_nc_u64_e32 v[38:39], v[4:5], v[148:149]
	s_clause 0x5
	flat_store_b128 v[150:151], v[100:103]
	flat_store_b128 v[150:151], v[108:111] offset:256
	flat_store_b128 v[150:151], v[112:115] offset:512
	;; [unrolled: 1-line block ×3, first 2 shown]
	flat_store_b128 v[38:39], v[120:123]
	flat_store_b128 v[38:39], v[124:127] offset:256
	v_add_nc_u64_e32 v[6:7], v[6:7], v[148:149]
	s_clause 0x5
	flat_store_b128 v[38:39], v[128:131] offset:512
	flat_store_b128 v[38:39], v[132:135] offset:768
	flat_store_b128 v[6:7], v[136:139]
	flat_store_b128 v[6:7], v[140:143] offset:256
	flat_store_b128 v[6:7], v[144:147] offset:512
	flat_store_b64 v[6:7], v[42:43] offset:768
	v_add_nc_u64_e32 v[4:5], 0x300, v[6:7]
	s_cbranch_execnz .LBB258_2
	s_branch .LBB258_10
.LBB258_8:                              ;   in Loop: Header=BB258_3 Depth=1
	v_mov_b64_e32 v[64:65], 0
	v_mov_b64_e32 v[66:67], 0
	;; [unrolled: 1-line block ×32, first 2 shown]
	s_wait_loadcnt 0x0
	s_wait_xcnt 0x0
	v_add_nc_u64_e32 v[0:1], s[18:19], v[38:39]
	s_and_not1_b32 vcc_lo, exec_lo, s1
	s_mov_b32 s26, -1
                                        ; implicit-def: $vgpr2_vgpr3
                                        ; implicit-def: $vgpr4_vgpr5
	s_cbranch_vccz .LBB258_7
.LBB258_9:                              ;   in Loop: Header=BB258_3 Depth=1
	s_and_not1_b32 vcc_lo, exec_lo, s26
	s_cbranch_vccnz .LBB258_2
.LBB258_10:                             ;   in Loop: Header=BB258_3 Depth=1
	v_add_nc_u64_e32 v[2:3], s[20:21], v[36:37]
	s_wait_xcnt 0x0
	v_lshlrev_b64_e32 v[6:7], 4, v[30:31]
	v_mul_f64_e32 v[40:41], s[8:9], v[66:67]
	v_mul_f64_e32 v[42:43], s[6:7], v[66:67]
	s_delay_alu instid0(VALU_DEP_4) | instskip(NEXT) | instid1(VALU_DEP_1)
	v_lshl_add_u64 v[36:37], v[28:29], 4, v[2:3]
	v_add_nc_u64_e32 v[38:39], v[36:37], v[6:7]
	flat_load_b128 v[2:5], v[38:39]
	v_fma_f64 v[40:41], s[6:7], v[64:65], -v[40:41]
	v_fmac_f64_e32 v[42:43], s[8:9], v[64:65]
	s_wait_loadcnt_dscnt 0x0
	v_mul_f64_e32 v[66:67], s[40:41], v[4:5]
	v_mul_f64_e32 v[4:5], s[38:39], v[4:5]
	s_delay_alu instid0(VALU_DEP_2) | instskip(NEXT) | instid1(VALU_DEP_2)
	v_fma_f64 v[64:65], s[38:39], v[2:3], -v[66:67]
	v_fmac_f64_e32 v[4:5], s[40:41], v[2:3]
	s_delay_alu instid0(VALU_DEP_2) | instskip(NEXT) | instid1(VALU_DEP_2)
	v_add_f64_e32 v[2:3], v[40:41], v[64:65]
	v_add_f64_e32 v[4:5], v[42:43], v[4:5]
	v_lshl_add_u64 v[40:41], v[26:27], 4, v[0:1]
	s_delay_alu instid0(VALU_DEP_1) | instskip(SKIP_4) | instid1(VALU_DEP_2)
	v_add_nc_u64_e32 v[42:43], v[40:41], v[6:7]
	flat_store_b128 v[42:43], v[2:5]
	flat_load_b128 v[0:3], v[38:39] offset:256
	v_mul_f64_e32 v[4:5], s[8:9], v[52:53]
	v_mul_f64_e32 v[52:53], s[6:7], v[52:53]
	v_fma_f64 v[4:5], s[6:7], v[48:49], -v[4:5]
	s_delay_alu instid0(VALU_DEP_2) | instskip(SKIP_3) | instid1(VALU_DEP_2)
	v_fmac_f64_e32 v[52:53], s[8:9], v[48:49]
	s_wait_loadcnt_dscnt 0x0
	v_mul_f64_e32 v[64:65], s[40:41], v[2:3]
	v_mul_f64_e32 v[2:3], s[38:39], v[2:3]
	v_fma_f64 v[48:49], s[38:39], v[0:1], -v[64:65]
	s_delay_alu instid0(VALU_DEP_2) | instskip(NEXT) | instid1(VALU_DEP_2)
	v_fmac_f64_e32 v[2:3], s[40:41], v[0:1]
	v_add_f64_e32 v[0:1], v[4:5], v[48:49]
	s_delay_alu instid0(VALU_DEP_2)
	v_add_f64_e32 v[2:3], v[52:53], v[2:3]
	v_mul_f64_e32 v[4:5], s[8:9], v[46:47]
	v_mul_f64_e32 v[46:47], s[6:7], v[46:47]
	flat_store_b128 v[42:43], v[0:3] offset:256
	flat_load_b128 v[0:3], v[38:39] offset:512
	v_fma_f64 v[4:5], s[6:7], v[44:45], -v[4:5]
	v_fmac_f64_e32 v[46:47], s[8:9], v[44:45]
	s_wait_loadcnt_dscnt 0x0
	v_mul_f64_e32 v[48:49], s[40:41], v[2:3]
	v_mul_f64_e32 v[2:3], s[38:39], v[2:3]
	s_delay_alu instid0(VALU_DEP_2) | instskip(NEXT) | instid1(VALU_DEP_2)
	v_fma_f64 v[44:45], s[38:39], v[0:1], -v[48:49]
	v_fmac_f64_e32 v[2:3], s[40:41], v[0:1]
	s_delay_alu instid0(VALU_DEP_2) | instskip(NEXT) | instid1(VALU_DEP_2)
	v_add_f64_e32 v[0:1], v[4:5], v[44:45]
	v_add_f64_e32 v[2:3], v[46:47], v[2:3]
	v_mul_f64_e32 v[4:5], s[8:9], v[22:23]
	v_mul_f64_e32 v[22:23], s[6:7], v[22:23]
	flat_store_b128 v[42:43], v[0:3] offset:512
	flat_load_b128 v[0:3], v[38:39] offset:768
	v_fma_f64 v[4:5], s[6:7], v[20:21], -v[4:5]
	v_fmac_f64_e32 v[22:23], s[8:9], v[20:21]
	s_wait_loadcnt_dscnt 0x0
	s_wait_xcnt 0x0
	v_mul_f64_e32 v[38:39], s[40:41], v[2:3]
	v_mul_f64_e32 v[2:3], s[38:39], v[2:3]
	s_delay_alu instid0(VALU_DEP_2) | instskip(NEXT) | instid1(VALU_DEP_2)
	v_fma_f64 v[20:21], s[38:39], v[0:1], -v[38:39]
	v_fmac_f64_e32 v[2:3], s[40:41], v[0:1]
	s_delay_alu instid0(VALU_DEP_2) | instskip(NEXT) | instid1(VALU_DEP_2)
	v_add_f64_e32 v[0:1], v[4:5], v[20:21]
	v_add_f64_e32 v[2:3], v[22:23], v[2:3]
	v_add_nc_u64_e32 v[4:5], s[22:23], v[36:37]
	v_mul_f64_e32 v[22:23], s[8:9], v[86:87]
	v_mul_f64_e32 v[36:37], s[6:7], v[86:87]
	s_delay_alu instid0(VALU_DEP_3)
	v_add_nc_u64_e32 v[20:21], v[4:5], v[6:7]
	v_add_nc_u64_e32 v[4:5], s[22:23], v[4:5]
	flat_store_b128 v[42:43], v[0:3] offset:768
	flat_load_b128 v[0:3], v[20:21]
	v_fma_f64 v[22:23], s[6:7], v[84:85], -v[22:23]
	v_fmac_f64_e32 v[36:37], s[8:9], v[84:85]
	s_wait_loadcnt_dscnt 0x0
	v_mul_f64_e32 v[38:39], s[40:41], v[2:3]
	v_mul_f64_e32 v[2:3], s[38:39], v[2:3]
	s_delay_alu instid0(VALU_DEP_2) | instskip(NEXT) | instid1(VALU_DEP_2)
	v_fma_f64 v[38:39], s[38:39], v[0:1], -v[38:39]
	v_fmac_f64_e32 v[2:3], s[40:41], v[0:1]
	s_delay_alu instid0(VALU_DEP_2) | instskip(NEXT) | instid1(VALU_DEP_2)
	v_add_f64_e32 v[0:1], v[22:23], v[38:39]
	v_add_f64_e32 v[2:3], v[36:37], v[2:3]
	v_add_nc_u64_e32 v[22:23], s[24:25], v[40:41]
	v_mul_f64_e32 v[38:39], s[8:9], v[80:81]
	v_mul_f64_e32 v[40:41], s[6:7], v[80:81]
	s_delay_alu instid0(VALU_DEP_3)
	v_add_nc_u64_e32 v[36:37], v[22:23], v[6:7]
	v_add_nc_u64_e32 v[22:23], s[24:25], v[22:23]
	flat_store_b128 v[36:37], v[0:3]
	flat_load_b128 v[0:3], v[20:21] offset:256
	v_fma_f64 v[38:39], s[6:7], v[76:77], -v[38:39]
	v_fmac_f64_e32 v[40:41], s[8:9], v[76:77]
	s_wait_loadcnt_dscnt 0x0
	v_mul_f64_e32 v[42:43], s[40:41], v[2:3]
	v_mul_f64_e32 v[2:3], s[38:39], v[2:3]
	s_delay_alu instid0(VALU_DEP_2) | instskip(NEXT) | instid1(VALU_DEP_2)
	v_fma_f64 v[42:43], s[38:39], v[0:1], -v[42:43]
	v_fmac_f64_e32 v[2:3], s[40:41], v[0:1]
	s_delay_alu instid0(VALU_DEP_2) | instskip(NEXT) | instid1(VALU_DEP_2)
	v_add_f64_e32 v[0:1], v[38:39], v[42:43]
	v_add_f64_e32 v[2:3], v[40:41], v[2:3]
	v_mul_f64_e32 v[38:39], s[8:9], v[72:73]
	v_mul_f64_e32 v[40:41], s[6:7], v[72:73]
	flat_store_b128 v[36:37], v[0:3] offset:256
	flat_load_b128 v[0:3], v[20:21] offset:512
	v_fma_f64 v[38:39], s[6:7], v[68:69], -v[38:39]
	v_fmac_f64_e32 v[40:41], s[8:9], v[68:69]
	s_wait_loadcnt_dscnt 0x0
	v_mul_f64_e32 v[42:43], s[40:41], v[2:3]
	v_mul_f64_e32 v[2:3], s[38:39], v[2:3]
	s_delay_alu instid0(VALU_DEP_2) | instskip(NEXT) | instid1(VALU_DEP_2)
	v_fma_f64 v[42:43], s[38:39], v[0:1], -v[42:43]
	v_fmac_f64_e32 v[2:3], s[40:41], v[0:1]
	s_delay_alu instid0(VALU_DEP_2) | instskip(NEXT) | instid1(VALU_DEP_2)
	v_add_f64_e32 v[0:1], v[38:39], v[42:43]
	v_add_f64_e32 v[2:3], v[40:41], v[2:3]
	v_mul_f64_e32 v[38:39], s[6:7], v[60:61]
	flat_store_b128 v[36:37], v[0:3] offset:512
	flat_load_b128 v[0:3], v[20:21] offset:768
	s_wait_xcnt 0x0
	v_mul_f64_e32 v[20:21], s[8:9], v[60:61]
	v_fmac_f64_e32 v[38:39], s[8:9], v[56:57]
	s_delay_alu instid0(VALU_DEP_2) | instskip(SKIP_3) | instid1(VALU_DEP_2)
	v_fma_f64 v[20:21], s[6:7], v[56:57], -v[20:21]
	s_wait_loadcnt_dscnt 0x0
	v_mul_f64_e32 v[40:41], s[40:41], v[2:3]
	v_mul_f64_e32 v[2:3], s[38:39], v[2:3]
	v_fma_f64 v[40:41], s[38:39], v[0:1], -v[40:41]
	s_delay_alu instid0(VALU_DEP_2) | instskip(NEXT) | instid1(VALU_DEP_2)
	v_fmac_f64_e32 v[2:3], s[40:41], v[0:1]
	v_add_f64_e32 v[0:1], v[20:21], v[40:41]
	s_delay_alu instid0(VALU_DEP_2) | instskip(SKIP_3) | instid1(VALU_DEP_1)
	v_add_f64_e32 v[2:3], v[38:39], v[2:3]
	v_add_nc_u64_e32 v[20:21], v[4:5], v[6:7]
	v_mul_f64_e32 v[38:39], s[6:7], v[82:83]
	v_add_nc_u64_e32 v[4:5], s[22:23], v[4:5]
	v_add_nc_u64_e32 v[4:5], v[4:5], v[6:7]
	flat_store_b128 v[36:37], v[0:3] offset:768
	flat_load_b128 v[0:3], v[20:21]
	v_mul_f64_e32 v[36:37], s[8:9], v[82:83]
	v_fmac_f64_e32 v[38:39], s[8:9], v[78:79]
	s_delay_alu instid0(VALU_DEP_2) | instskip(SKIP_3) | instid1(VALU_DEP_2)
	v_fma_f64 v[36:37], s[6:7], v[78:79], -v[36:37]
	s_wait_loadcnt_dscnt 0x0
	v_mul_f64_e32 v[40:41], s[40:41], v[2:3]
	v_mul_f64_e32 v[2:3], s[38:39], v[2:3]
	v_fma_f64 v[40:41], s[38:39], v[0:1], -v[40:41]
	s_delay_alu instid0(VALU_DEP_2) | instskip(NEXT) | instid1(VALU_DEP_2)
	v_fmac_f64_e32 v[2:3], s[40:41], v[0:1]
	v_add_f64_e32 v[0:1], v[36:37], v[40:41]
	s_delay_alu instid0(VALU_DEP_2)
	v_add_f64_e32 v[2:3], v[38:39], v[2:3]
	v_add_nc_u64_e32 v[36:37], v[22:23], v[6:7]
	v_mul_f64_e32 v[38:39], s[8:9], v[74:75]
	v_mul_f64_e32 v[40:41], s[6:7], v[74:75]
	flat_store_b128 v[36:37], v[0:3]
	flat_load_b128 v[0:3], v[20:21] offset:256
	v_fma_f64 v[38:39], s[6:7], v[70:71], -v[38:39]
	v_fmac_f64_e32 v[40:41], s[8:9], v[70:71]
	s_wait_loadcnt_dscnt 0x0
	v_mul_f64_e32 v[42:43], s[40:41], v[2:3]
	v_mul_f64_e32 v[2:3], s[38:39], v[2:3]
	s_delay_alu instid0(VALU_DEP_2) | instskip(NEXT) | instid1(VALU_DEP_2)
	v_fma_f64 v[42:43], s[38:39], v[0:1], -v[42:43]
	v_fmac_f64_e32 v[2:3], s[40:41], v[0:1]
	s_delay_alu instid0(VALU_DEP_2) | instskip(NEXT) | instid1(VALU_DEP_2)
	v_add_f64_e32 v[0:1], v[38:39], v[42:43]
	v_add_f64_e32 v[2:3], v[40:41], v[2:3]
	v_mul_f64_e32 v[38:39], s[8:9], v[62:63]
	v_mul_f64_e32 v[40:41], s[6:7], v[62:63]
	flat_store_b128 v[36:37], v[0:3] offset:256
	flat_load_b128 v[0:3], v[20:21] offset:512
	v_fma_f64 v[38:39], s[6:7], v[58:59], -v[38:39]
	v_fmac_f64_e32 v[40:41], s[8:9], v[58:59]
	s_wait_loadcnt_dscnt 0x0
	v_mul_f64_e32 v[42:43], s[40:41], v[2:3]
	v_mul_f64_e32 v[2:3], s[38:39], v[2:3]
	s_delay_alu instid0(VALU_DEP_2) | instskip(NEXT) | instid1(VALU_DEP_2)
	v_fma_f64 v[42:43], s[38:39], v[0:1], -v[42:43]
	v_fmac_f64_e32 v[2:3], s[40:41], v[0:1]
	s_delay_alu instid0(VALU_DEP_2) | instskip(NEXT) | instid1(VALU_DEP_2)
	v_add_f64_e32 v[0:1], v[38:39], v[42:43]
	v_add_f64_e32 v[2:3], v[40:41], v[2:3]
	v_mul_f64_e32 v[38:39], s[6:7], v[54:55]
	flat_store_b128 v[36:37], v[0:3] offset:512
	flat_load_b128 v[0:3], v[20:21] offset:768
	s_wait_xcnt 0x0
	v_mul_f64_e32 v[20:21], s[8:9], v[54:55]
	v_fmac_f64_e32 v[38:39], s[8:9], v[50:51]
	s_delay_alu instid0(VALU_DEP_2) | instskip(SKIP_3) | instid1(VALU_DEP_2)
	v_fma_f64 v[20:21], s[6:7], v[50:51], -v[20:21]
	s_wait_loadcnt_dscnt 0x0
	v_mul_f64_e32 v[40:41], s[40:41], v[2:3]
	v_mul_f64_e32 v[2:3], s[38:39], v[2:3]
	v_fma_f64 v[40:41], s[38:39], v[0:1], -v[40:41]
	s_delay_alu instid0(VALU_DEP_2) | instskip(NEXT) | instid1(VALU_DEP_2)
	v_fmac_f64_e32 v[2:3], s[40:41], v[0:1]
	v_add_f64_e32 v[0:1], v[20:21], v[40:41]
	s_delay_alu instid0(VALU_DEP_2)
	v_add_f64_e32 v[2:3], v[38:39], v[2:3]
	v_mul_f64_e32 v[20:21], s[8:9], v[18:19]
	v_mul_f64_e32 v[18:19], s[6:7], v[18:19]
	flat_store_b128 v[36:37], v[0:3] offset:768
	flat_load_b128 v[0:3], v[4:5]
	v_fma_f64 v[20:21], s[6:7], v[16:17], -v[20:21]
	v_fmac_f64_e32 v[18:19], s[8:9], v[16:17]
	s_wait_loadcnt_dscnt 0x0
	v_mul_f64_e32 v[36:37], s[40:41], v[2:3]
	v_mul_f64_e32 v[2:3], s[38:39], v[2:3]
	s_delay_alu instid0(VALU_DEP_2) | instskip(NEXT) | instid1(VALU_DEP_2)
	v_fma_f64 v[16:17], s[38:39], v[0:1], -v[36:37]
	v_fmac_f64_e32 v[2:3], s[40:41], v[0:1]
	s_delay_alu instid0(VALU_DEP_2) | instskip(NEXT) | instid1(VALU_DEP_2)
	v_add_f64_e32 v[0:1], v[20:21], v[16:17]
	v_add_f64_e32 v[2:3], v[18:19], v[2:3]
	v_add_nc_u64_e32 v[16:17], s[24:25], v[22:23]
	s_delay_alu instid0(VALU_DEP_1)
	v_add_nc_u64_e32 v[6:7], v[16:17], v[6:7]
	v_mul_f64_e32 v[16:17], s[8:9], v[14:15]
	v_mul_f64_e32 v[14:15], s[6:7], v[14:15]
	flat_store_b128 v[6:7], v[0:3]
	flat_load_b128 v[0:3], v[4:5] offset:256
	v_fma_f64 v[16:17], s[6:7], v[12:13], -v[16:17]
	v_fmac_f64_e32 v[14:15], s[8:9], v[12:13]
	s_wait_loadcnt_dscnt 0x0
	v_mul_f64_e32 v[18:19], s[40:41], v[2:3]
	v_mul_f64_e32 v[2:3], s[38:39], v[2:3]
	s_delay_alu instid0(VALU_DEP_2) | instskip(NEXT) | instid1(VALU_DEP_2)
	v_fma_f64 v[12:13], s[38:39], v[0:1], -v[18:19]
	v_fmac_f64_e32 v[2:3], s[40:41], v[0:1]
	s_delay_alu instid0(VALU_DEP_2) | instskip(NEXT) | instid1(VALU_DEP_2)
	v_add_f64_e32 v[0:1], v[16:17], v[12:13]
	v_add_f64_e32 v[2:3], v[14:15], v[2:3]
	v_mul_f64_e32 v[12:13], s[8:9], v[10:11]
	v_mul_f64_e32 v[10:11], s[6:7], v[10:11]
	flat_store_b128 v[6:7], v[0:3] offset:256
	flat_load_b128 v[0:3], v[4:5] offset:512
	v_fma_f64 v[12:13], s[6:7], v[8:9], -v[12:13]
	v_fmac_f64_e32 v[10:11], s[8:9], v[8:9]
	s_wait_loadcnt_dscnt 0x0
	v_mul_f64_e32 v[14:15], s[40:41], v[2:3]
	v_mul_f64_e32 v[2:3], s[38:39], v[2:3]
	s_delay_alu instid0(VALU_DEP_2) | instskip(NEXT) | instid1(VALU_DEP_2)
	v_fma_f64 v[8:9], s[38:39], v[0:1], -v[14:15]
	v_fmac_f64_e32 v[2:3], s[40:41], v[0:1]
	s_delay_alu instid0(VALU_DEP_2) | instskip(NEXT) | instid1(VALU_DEP_2)
	v_add_f64_e32 v[0:1], v[12:13], v[8:9]
	v_add_f64_e32 v[2:3], v[10:11], v[2:3]
	v_mul_f64_e32 v[8:9], s[6:7], v[90:91]
	flat_store_b128 v[6:7], v[0:3] offset:512
	flat_load_b128 v[0:3], v[4:5] offset:768
	s_wait_xcnt 0x0
	v_mul_f64_e32 v[4:5], s[8:9], v[90:91]
	v_fmac_f64_e32 v[8:9], s[8:9], v[88:89]
	s_delay_alu instid0(VALU_DEP_2) | instskip(SKIP_3) | instid1(VALU_DEP_2)
	v_fma_f64 v[4:5], s[6:7], v[88:89], -v[4:5]
	s_wait_loadcnt_dscnt 0x0
	v_mul_f64_e32 v[10:11], s[40:41], v[2:3]
	v_mul_f64_e32 v[2:3], s[38:39], v[2:3]
	v_fma_f64 v[10:11], s[38:39], v[0:1], -v[10:11]
	s_delay_alu instid0(VALU_DEP_2) | instskip(NEXT) | instid1(VALU_DEP_2)
	v_fmac_f64_e32 v[2:3], s[40:41], v[0:1]
	v_add_f64_e32 v[0:1], v[4:5], v[10:11]
	s_delay_alu instid0(VALU_DEP_2)
	v_add_f64_e32 v[2:3], v[8:9], v[2:3]
	v_add_nc_u64_e32 v[4:5], 0x300, v[6:7]
	flat_store_b64 v[6:7], v[0:1] offset:768
	s_branch .LBB258_2
.LBB258_11:
	s_sendmsg sendmsg(MSG_DEALLOC_VGPRS)
	s_endpgm
	.section	.rodata,"a",@progbits
	.p2align	6, 0x0
	.amdhsa_kernel _ZN12_GLOBAL__N_127rocblas_gemm_batched_kernelI19rocblas_complex_numIdELi16ELi16ELi64ELi64ELi4ELi64ELi4ELi4ELi64ELc78ELc67EKPKS2_S5_KPS2_EEvlllT_PT11_llSA_llS8_PT12_llPT13_lli
		.amdhsa_group_segment_fixed_size 8192
		.amdhsa_private_segment_fixed_size 0
		.amdhsa_kernarg_size 156
		.amdhsa_user_sgpr_count 2
		.amdhsa_user_sgpr_dispatch_ptr 0
		.amdhsa_user_sgpr_queue_ptr 0
		.amdhsa_user_sgpr_kernarg_segment_ptr 1
		.amdhsa_user_sgpr_dispatch_id 0
		.amdhsa_user_sgpr_kernarg_preload_length 0
		.amdhsa_user_sgpr_kernarg_preload_offset 0
		.amdhsa_user_sgpr_private_segment_size 0
		.amdhsa_wavefront_size32 1
		.amdhsa_uses_dynamic_stack 0
		.amdhsa_enable_private_segment 0
		.amdhsa_system_sgpr_workgroup_id_x 1
		.amdhsa_system_sgpr_workgroup_id_y 1
		.amdhsa_system_sgpr_workgroup_id_z 1
		.amdhsa_system_sgpr_workgroup_info 0
		.amdhsa_system_vgpr_workitem_id 1
		.amdhsa_next_free_vgpr 154
		.amdhsa_next_free_sgpr 52
		.amdhsa_named_barrier_count 0
		.amdhsa_reserve_vcc 1
		.amdhsa_float_round_mode_32 0
		.amdhsa_float_round_mode_16_64 0
		.amdhsa_float_denorm_mode_32 3
		.amdhsa_float_denorm_mode_16_64 3
		.amdhsa_fp16_overflow 0
		.amdhsa_memory_ordered 1
		.amdhsa_forward_progress 1
		.amdhsa_inst_pref_size 45
		.amdhsa_round_robin_scheduling 0
		.amdhsa_exception_fp_ieee_invalid_op 0
		.amdhsa_exception_fp_denorm_src 0
		.amdhsa_exception_fp_ieee_div_zero 0
		.amdhsa_exception_fp_ieee_overflow 0
		.amdhsa_exception_fp_ieee_underflow 0
		.amdhsa_exception_fp_ieee_inexact 0
		.amdhsa_exception_int_div_zero 0
	.end_amdhsa_kernel
	.section	.text._ZN12_GLOBAL__N_127rocblas_gemm_batched_kernelI19rocblas_complex_numIdELi16ELi16ELi64ELi64ELi4ELi64ELi4ELi4ELi64ELc78ELc67EKPKS2_S5_KPS2_EEvlllT_PT11_llSA_llS8_PT12_llPT13_lli,"axG",@progbits,_ZN12_GLOBAL__N_127rocblas_gemm_batched_kernelI19rocblas_complex_numIdELi16ELi16ELi64ELi64ELi4ELi64ELi4ELi4ELi64ELc78ELc67EKPKS2_S5_KPS2_EEvlllT_PT11_llSA_llS8_PT12_llPT13_lli,comdat
.Lfunc_end258:
	.size	_ZN12_GLOBAL__N_127rocblas_gemm_batched_kernelI19rocblas_complex_numIdELi16ELi16ELi64ELi64ELi4ELi64ELi4ELi4ELi64ELc78ELc67EKPKS2_S5_KPS2_EEvlllT_PT11_llSA_llS8_PT12_llPT13_lli, .Lfunc_end258-_ZN12_GLOBAL__N_127rocblas_gemm_batched_kernelI19rocblas_complex_numIdELi16ELi16ELi64ELi64ELi4ELi64ELi4ELi4ELi64ELc78ELc67EKPKS2_S5_KPS2_EEvlllT_PT11_llSA_llS8_PT12_llPT13_lli
                                        ; -- End function
	.set _ZN12_GLOBAL__N_127rocblas_gemm_batched_kernelI19rocblas_complex_numIdELi16ELi16ELi64ELi64ELi4ELi64ELi4ELi4ELi64ELc78ELc67EKPKS2_S5_KPS2_EEvlllT_PT11_llSA_llS8_PT12_llPT13_lli.num_vgpr, 154
	.set _ZN12_GLOBAL__N_127rocblas_gemm_batched_kernelI19rocblas_complex_numIdELi16ELi16ELi64ELi64ELi4ELi64ELi4ELi4ELi64ELc78ELc67EKPKS2_S5_KPS2_EEvlllT_PT11_llSA_llS8_PT12_llPT13_lli.num_agpr, 0
	.set _ZN12_GLOBAL__N_127rocblas_gemm_batched_kernelI19rocblas_complex_numIdELi16ELi16ELi64ELi64ELi4ELi64ELi4ELi4ELi64ELc78ELc67EKPKS2_S5_KPS2_EEvlllT_PT11_llSA_llS8_PT12_llPT13_lli.numbered_sgpr, 52
	.set _ZN12_GLOBAL__N_127rocblas_gemm_batched_kernelI19rocblas_complex_numIdELi16ELi16ELi64ELi64ELi4ELi64ELi4ELi4ELi64ELc78ELc67EKPKS2_S5_KPS2_EEvlllT_PT11_llSA_llS8_PT12_llPT13_lli.num_named_barrier, 0
	.set _ZN12_GLOBAL__N_127rocblas_gemm_batched_kernelI19rocblas_complex_numIdELi16ELi16ELi64ELi64ELi4ELi64ELi4ELi4ELi64ELc78ELc67EKPKS2_S5_KPS2_EEvlllT_PT11_llSA_llS8_PT12_llPT13_lli.private_seg_size, 0
	.set _ZN12_GLOBAL__N_127rocblas_gemm_batched_kernelI19rocblas_complex_numIdELi16ELi16ELi64ELi64ELi4ELi64ELi4ELi4ELi64ELc78ELc67EKPKS2_S5_KPS2_EEvlllT_PT11_llSA_llS8_PT12_llPT13_lli.uses_vcc, 1
	.set _ZN12_GLOBAL__N_127rocblas_gemm_batched_kernelI19rocblas_complex_numIdELi16ELi16ELi64ELi64ELi4ELi64ELi4ELi4ELi64ELc78ELc67EKPKS2_S5_KPS2_EEvlllT_PT11_llSA_llS8_PT12_llPT13_lli.uses_flat_scratch, 1
	.set _ZN12_GLOBAL__N_127rocblas_gemm_batched_kernelI19rocblas_complex_numIdELi16ELi16ELi64ELi64ELi4ELi64ELi4ELi4ELi64ELc78ELc67EKPKS2_S5_KPS2_EEvlllT_PT11_llSA_llS8_PT12_llPT13_lli.has_dyn_sized_stack, 0
	.set _ZN12_GLOBAL__N_127rocblas_gemm_batched_kernelI19rocblas_complex_numIdELi16ELi16ELi64ELi64ELi4ELi64ELi4ELi4ELi64ELc78ELc67EKPKS2_S5_KPS2_EEvlllT_PT11_llSA_llS8_PT12_llPT13_lli.has_recursion, 0
	.set _ZN12_GLOBAL__N_127rocblas_gemm_batched_kernelI19rocblas_complex_numIdELi16ELi16ELi64ELi64ELi4ELi64ELi4ELi4ELi64ELc78ELc67EKPKS2_S5_KPS2_EEvlllT_PT11_llSA_llS8_PT12_llPT13_lli.has_indirect_call, 0
	.section	.AMDGPU.csdata,"",@progbits
; Kernel info:
; codeLenInByte = 5700
; TotalNumSgprs: 54
; NumVgprs: 154
; ScratchSize: 0
; MemoryBound: 0
; FloatMode: 240
; IeeeMode: 1
; LDSByteSize: 8192 bytes/workgroup (compile time only)
; SGPRBlocks: 0
; VGPRBlocks: 9
; NumSGPRsForWavesPerEU: 54
; NumVGPRsForWavesPerEU: 154
; NamedBarCnt: 0
; Occupancy: 6
; WaveLimiterHint : 1
; COMPUTE_PGM_RSRC2:SCRATCH_EN: 0
; COMPUTE_PGM_RSRC2:USER_SGPR: 2
; COMPUTE_PGM_RSRC2:TRAP_HANDLER: 0
; COMPUTE_PGM_RSRC2:TGID_X_EN: 1
; COMPUTE_PGM_RSRC2:TGID_Y_EN: 1
; COMPUTE_PGM_RSRC2:TGID_Z_EN: 1
; COMPUTE_PGM_RSRC2:TIDIG_COMP_CNT: 1
	.section	.text._ZN12_GLOBAL__N_127rocblas_gemm_batched_kernelI19rocblas_complex_numIdELi16ELi16ELi64ELi64ELi4ELi64ELi4ELi4ELi64ELc84ELc67EKPKS2_S5_KPS2_EEvlllT_PT11_llSA_llS8_PT12_llPT13_lli,"axG",@progbits,_ZN12_GLOBAL__N_127rocblas_gemm_batched_kernelI19rocblas_complex_numIdELi16ELi16ELi64ELi64ELi4ELi64ELi4ELi4ELi64ELc84ELc67EKPKS2_S5_KPS2_EEvlllT_PT11_llSA_llS8_PT12_llPT13_lli,comdat
	.globl	_ZN12_GLOBAL__N_127rocblas_gemm_batched_kernelI19rocblas_complex_numIdELi16ELi16ELi64ELi64ELi4ELi64ELi4ELi4ELi64ELc84ELc67EKPKS2_S5_KPS2_EEvlllT_PT11_llSA_llS8_PT12_llPT13_lli ; -- Begin function _ZN12_GLOBAL__N_127rocblas_gemm_batched_kernelI19rocblas_complex_numIdELi16ELi16ELi64ELi64ELi4ELi64ELi4ELi4ELi64ELc84ELc67EKPKS2_S5_KPS2_EEvlllT_PT11_llSA_llS8_PT12_llPT13_lli
	.p2align	8
	.type	_ZN12_GLOBAL__N_127rocblas_gemm_batched_kernelI19rocblas_complex_numIdELi16ELi16ELi64ELi64ELi4ELi64ELi4ELi4ELi64ELc84ELc67EKPKS2_S5_KPS2_EEvlllT_PT11_llSA_llS8_PT12_llPT13_lli,@function
_ZN12_GLOBAL__N_127rocblas_gemm_batched_kernelI19rocblas_complex_numIdELi16ELi16ELi64ELi64ELi4ELi64ELi4ELi4ELi64ELc84ELc67EKPKS2_S5_KPS2_EEvlllT_PT11_llSA_llS8_PT12_llPT13_lli: ; @_ZN12_GLOBAL__N_127rocblas_gemm_batched_kernelI19rocblas_complex_numIdELi16ELi16ELi64ELi64ELi4ELi64ELi4ELi4ELi64ELc84ELc67EKPKS2_S5_KPS2_EEvlllT_PT11_llSA_llS8_PT12_llPT13_lli
; %bb.0:
	s_load_b32 s26, s[0:1], 0x98
	s_bfe_u32 s2, ttmp6, 0x40014
	s_lshr_b32 s3, ttmp7, 16
	s_add_co_i32 s2, s2, 1
	s_bfe_u32 s4, ttmp6, 0x40008
	s_mul_i32 s2, s3, s2
	s_getreg_b32 s20, hwreg(HW_REG_IB_STS2, 6, 4)
	s_add_co_i32 s4, s4, s2
	s_cmp_eq_u32 s20, 0
	s_cselect_b32 s2, s3, s4
	s_mov_b32 s3, 0
	s_wait_kmcnt 0x0
	s_cmp_ge_i32 s2, s26
	s_cbranch_scc1 .LBB259_11
; %bb.1:
	v_bfe_u32 v24, v0, 10, 10
	v_and_b32_e32 v2, 0x3ff, v0
	s_bfe_u32 s22, ttmp6, 0x4000c
	s_bfe_u32 s23, ttmp6, 0x40010
	s_clause 0x1
	s_load_b512 s[4:19], s[0:1], 0x10
	s_load_b512 s[36:51], s[0:1], 0x50
	s_add_co_i32 s22, s22, 1
	s_and_b32 s24, ttmp7, 0xffff
	s_add_co_i32 s23, s23, 1
	s_and_b32 s21, ttmp6, 15
	s_mul_i32 s22, ttmp9, s22
	s_mul_i32 s23, s24, s23
	s_bfe_u32 s25, ttmp6, 0x40004
	v_lshl_add_u32 v10, v24, 4, v2
	s_add_co_i32 s21, s21, s22
	s_add_co_i32 s25, s25, s23
	s_cmp_eq_u32 s20, 0
	s_delay_alu instid0(VALU_DEP_1) | instskip(SKIP_3) | instid1(VALU_DEP_1)
	v_dual_mov_b32 v25, 0 :: v_dual_bitop2_b32 v11, 63, v10 bitop3:0x40
	s_cselect_b32 s20, ttmp9, s21
	s_cselect_b32 s22, s24, s25
	s_ashr_i32 s21, s20, 31
	v_dual_mov_b32 v5, v25 :: v_dual_lshrrev_b32 v4, 2, v10
	s_lshl_b64 s[20:21], s[20:21], 6
	s_lshl_b32 s22, s22, 6
	v_dual_mov_b32 v7, s21 :: v_dual_bitop2_b32 v6, s20, v11 bitop3:0x54
	s_mov_b32 s23, s3
	v_and_b32_e32 v3, 3, v0
	v_add_nc_u64_e32 v[8:9], s[22:23], v[4:5]
	s_wait_kmcnt 0x0
	v_cmp_eq_f64_e64 s24, s[38:39], 0
	v_mul_u64_e32 v[0:1], s[12:13], v[6:7]
	v_cmp_eq_f64_e64 s25, s[40:41], 0
	v_lshlrev_b32_e32 v104, 4, v2
	s_lshl_b64 s[12:13], s[14:15], 4
	v_lshl_add_u32 v105, v24, 6, 0x1000
	v_mad_nc_u64_u32 v[6:7], s18, v3, v[8:9]
	v_add_nc_u64_e32 v[8:9], s[22:23], v[24:25]
	s_load_b64 s[22:23], s[0:1], 0x90
	s_wait_xcnt 0x0
	v_cmp_gt_i64_e64 s0, s[4:5], 0
	s_delay_alu instid0(VALU_DEP_2) | instskip(SKIP_4) | instid1(VALU_DEP_3)
	v_mul_u64_e32 v[26:27], s[50:51], v[8:9]
	v_mul_u64_e32 v[28:29], s[44:45], v[8:9]
	v_lshrrev_b32_e32 v8, 6, v10
	v_mad_u32 v7, s19, v3, v7
	v_dual_lshlrev_b32 v5, 4, v3 :: v_dual_mov_b32 v3, v25
	v_dual_lshlrev_b32 v9, 4, v11 :: v_dual_lshlrev_b32 v24, 4, v8
	s_delay_alu instid0(VALU_DEP_2) | instskip(NEXT) | instid1(VALU_DEP_3)
	v_lshl_or_b32 v4, v4, 6, v5
	v_add_nc_u64_e32 v[30:31], s[20:21], v[2:3]
	s_delay_alu instid0(VALU_DEP_3)
	v_lshl_or_b32 v106, v8, 10, v9
	s_lshl_b64 s[20:21], s[44:45], 4
	v_lshlrev_b64_e32 v[2:3], 4, v[6:7]
	v_add_nc_u32_e32 v107, 0x1000, v4
	s_wait_kmcnt 0x0
	s_lshl_b64 s[14:15], s[22:23], 4
	s_lshl_b64 s[20:21], s[20:21], 4
	v_lshl_add_u64 v[0:1], v[0:1], 4, s[12:13]
	s_and_b32 s1, s24, s25
	v_lshl_add_u64 v[32:33], s[36:37], 4, v[2:3]
	v_cndmask_b32_e64 v2, 0, 1, s0
	s_lshl_b64 s[24:25], s[50:51], 4
	v_add_nc_u64_e32 v[34:35], v[0:1], v[24:25]
	s_lshl_b64 s[12:13], s[18:19], 6
	v_or_b32_e32 v32, 8, v32
	v_cmp_ne_u32_e64 s0, 1, v2
	s_lshl_b64 s[18:19], s[46:47], 4
	s_lshl_b64 s[22:23], s[24:25], 4
	s_branch .LBB259_3
.LBB259_2:                              ;   in Loop: Header=BB259_3 Depth=1
	s_add_co_i32 s2, s2, 0x10000
	flat_store_b64 v[4:5], v[2:3] offset:8
	s_cmp_lt_i32 s2, s26
	s_cbranch_scc0 .LBB259_11
.LBB259_3:                              ; =>This Loop Header: Depth=1
                                        ;     Child Loop BB259_5 Depth 2
	s_wait_xcnt 0x1
	v_mov_b32_e32 v0, s2
	s_and_b32 vcc_lo, exec_lo, s0
	s_clause 0x1
	global_load_b64 v[36:37], v0, s[42:43] scale_offset
	global_load_b64 v[38:39], v0, s[48:49] scale_offset
	s_cbranch_vccnz .LBB259_8
; %bb.4:                                ;   in Loop: Header=BB259_3 Depth=1
	s_lshl_b64 s[24:25], s[2:3], 3
	v_mov_b64_e32 v[90:91], 0
	s_add_nc_u64 s[28:29], s[10:11], s[24:25]
	s_add_nc_u64 s[24:25], s[16:17], s[24:25]
	s_clause 0x1
	global_load_b64 v[0:1], v25, s[28:29]
	global_load_b64 v[2:3], v25, s[24:25]
	v_mov_b64_e32 v[88:89], 0
	v_mov_b64_e32 v[10:11], 0
	v_mov_b64_e32 v[8:9], 0
	v_mov_b64_e32 v[14:15], 0
	v_mov_b64_e32 v[12:13], 0
	v_mov_b64_e32 v[18:19], 0
	v_mov_b64_e32 v[16:17], 0
	v_mov_b64_e32 v[54:55], 0
	v_mov_b64_e32 v[50:51], 0
	v_mov_b64_e32 v[62:63], 0
	v_mov_b64_e32 v[58:59], 0
	v_mov_b64_e32 v[74:75], 0
	v_mov_b64_e32 v[70:71], 0
	v_mov_b64_e32 v[82:83], 0
	v_mov_b64_e32 v[78:79], 0
	v_mov_b64_e32 v[60:61], 0
	v_mov_b64_e32 v[56:57], 0
	v_mov_b64_e32 v[72:73], 0
	v_mov_b64_e32 v[68:69], 0
	v_mov_b64_e32 v[80:81], 0
	v_mov_b64_e32 v[76:77], 0
	v_mov_b64_e32 v[86:87], 0
	v_mov_b64_e32 v[84:85], 0
	v_mov_b64_e32 v[22:23], 0
	v_mov_b64_e32 v[20:21], 0
	v_mov_b64_e32 v[46:47], 0
	v_mov_b64_e32 v[44:45], 0
	v_mov_b64_e32 v[52:53], 0
	v_mov_b64_e32 v[48:49], 0
	v_mov_b64_e32 v[66:67], 0
	v_mov_b64_e32 v[64:65], 0
	s_wait_xcnt 0x0
	s_mov_b64 s[24:25], 0
	s_wait_loadcnt 0x1
	v_add_nc_u64_e32 v[40:41], v[0:1], v[34:35]
	s_wait_loadcnt 0x0
	v_add_nc_u64_e32 v[42:43], v[2:3], v[32:33]
.LBB259_5:                              ;   Parent Loop BB259_3 Depth=1
                                        ; =>  This Inner Loop Header: Depth=2
	flat_load_b128 v[0:3], v[40:41]
	s_add_nc_u64 s[24:25], s[24:25], 4
	s_wait_xcnt 0x0
	v_add_nc_u64_e32 v[40:41], 64, v[40:41]
	v_cmp_lt_i64_e64 s27, s[24:25], s[4:5]
	s_and_b32 vcc_lo, exec_lo, s27
	s_wait_loadcnt_dscnt 0x0
	ds_store_2addr_b64 v106, v[0:1], v[2:3] offset1:1
	flat_load_b128 v[0:3], v[42:43] offset:-8
	s_wait_xcnt 0x0
	v_add_nc_u64_e32 v[42:43], s[12:13], v[42:43]
	s_wait_loadcnt_dscnt 0x0
	v_xor_b32_e32 v3, 0x80000000, v3
	ds_store_b128 v107, v[0:3]
	s_wait_dscnt 0x0
	s_barrier_signal -1
	s_barrier_wait -1
	ds_load_b128 v[92:95], v105
	ds_load_b128 v[96:99], v105 offset:16
	ds_load_b128 v[4:7], v105 offset:32
	;; [unrolled: 1-line block ×3, first 2 shown]
	ds_load_b128 v[100:103], v104
	s_wait_dscnt 0x0
	v_mul_f64_e32 v[108:109], v[94:95], v[102:103]
	v_mul_f64_e32 v[110:111], v[92:93], v[102:103]
	s_delay_alu instid0(VALU_DEP_2) | instskip(NEXT) | instid1(VALU_DEP_2)
	v_fma_f64 v[108:109], v[92:93], v[100:101], -v[108:109]
	v_fmac_f64_e32 v[110:111], v[94:95], v[100:101]
	s_delay_alu instid0(VALU_DEP_2) | instskip(NEXT) | instid1(VALU_DEP_2)
	v_add_f64_e32 v[112:113], v[64:65], v[108:109]
	v_add_f64_e32 v[114:115], v[110:111], v[66:67]
	ds_load_b128 v[64:67], v104 offset:256
	s_wait_dscnt 0x0
	v_mul_f64_e32 v[108:109], v[94:95], v[66:67]
	v_mul_f64_e32 v[110:111], v[92:93], v[66:67]
	s_delay_alu instid0(VALU_DEP_2) | instskip(NEXT) | instid1(VALU_DEP_2)
	v_fma_f64 v[108:109], v[92:93], v[64:65], -v[108:109]
	v_fmac_f64_e32 v[110:111], v[94:95], v[64:65]
	s_delay_alu instid0(VALU_DEP_2) | instskip(NEXT) | instid1(VALU_DEP_2)
	v_add_f64_e32 v[48:49], v[48:49], v[108:109]
	v_add_f64_e32 v[116:117], v[110:111], v[52:53]
	ds_load_b128 v[108:111], v104 offset:512
	;; [unrolled: 10-line block ×3, first 2 shown]
	s_wait_dscnt 0x0
	v_mul_f64_e32 v[52:53], v[94:95], v[46:47]
	s_delay_alu instid0(VALU_DEP_1) | instskip(SKIP_1) | instid1(VALU_DEP_1)
	v_fma_f64 v[52:53], v[92:93], v[44:45], -v[52:53]
	v_mul_f64_e32 v[92:93], v[92:93], v[46:47]
	v_fmac_f64_e32 v[92:93], v[94:95], v[44:45]
	s_delay_alu instid0(VALU_DEP_3) | instskip(NEXT) | instid1(VALU_DEP_2)
	v_add_f64_e32 v[94:95], v[20:21], v[52:53]
	v_add_f64_e32 v[92:93], v[92:93], v[22:23]
	ds_load_b128 v[20:23], v105 offset:1024
	s_wait_dscnt 0x0
	v_mul_f64_e32 v[52:53], v[22:23], v[102:103]
	v_mul_f64_e32 v[122:123], v[20:21], v[102:103]
	s_delay_alu instid0(VALU_DEP_2) | instskip(NEXT) | instid1(VALU_DEP_2)
	v_fma_f64 v[52:53], v[20:21], v[100:101], -v[52:53]
	v_fmac_f64_e32 v[122:123], v[22:23], v[100:101]
	s_delay_alu instid0(VALU_DEP_2) | instskip(SKIP_1) | instid1(VALU_DEP_3)
	v_add_f64_e32 v[84:85], v[84:85], v[52:53]
	v_mul_f64_e32 v[52:53], v[22:23], v[66:67]
	v_add_f64_e32 v[86:87], v[122:123], v[86:87]
	v_mul_f64_e32 v[122:123], v[20:21], v[66:67]
	s_delay_alu instid0(VALU_DEP_3) | instskip(NEXT) | instid1(VALU_DEP_2)
	v_fma_f64 v[52:53], v[20:21], v[64:65], -v[52:53]
	v_fmac_f64_e32 v[122:123], v[22:23], v[64:65]
	s_delay_alu instid0(VALU_DEP_2) | instskip(SKIP_2) | instid1(VALU_DEP_4)
	v_add_f64_e32 v[124:125], v[76:77], v[52:53]
	v_mul_f64_e32 v[52:53], v[22:23], v[110:111]
	v_mul_f64_e32 v[76:77], v[20:21], v[110:111]
	v_add_f64_e32 v[122:123], v[122:123], v[80:81]
	s_delay_alu instid0(VALU_DEP_3) | instskip(NEXT) | instid1(VALU_DEP_3)
	v_fma_f64 v[52:53], v[20:21], v[108:109], -v[52:53]
	v_fmac_f64_e32 v[76:77], v[22:23], v[108:109]
	s_delay_alu instid0(VALU_DEP_2) | instskip(SKIP_1) | instid1(VALU_DEP_3)
	v_add_f64_e32 v[126:127], v[68:69], v[52:53]
	v_mul_f64_e32 v[52:53], v[22:23], v[46:47]
	v_add_f64_e32 v[128:129], v[76:77], v[72:73]
	s_delay_alu instid0(VALU_DEP_2) | instskip(SKIP_1) | instid1(VALU_DEP_2)
	v_fma_f64 v[52:53], v[20:21], v[44:45], -v[52:53]
	v_mul_f64_e32 v[20:21], v[20:21], v[46:47]
	v_add_f64_e32 v[130:131], v[56:57], v[52:53]
	s_delay_alu instid0(VALU_DEP_2) | instskip(NEXT) | instid1(VALU_DEP_1)
	v_fmac_f64_e32 v[20:21], v[22:23], v[44:45]
	v_add_f64_e32 v[132:133], v[20:21], v[60:61]
	ds_load_b128 v[20:23], v105 offset:2048
	s_wait_dscnt 0x0
	v_mul_f64_e32 v[52:53], v[22:23], v[102:103]
	v_mul_f64_e32 v[56:57], v[20:21], v[102:103]
	s_delay_alu instid0(VALU_DEP_2) | instskip(NEXT) | instid1(VALU_DEP_2)
	v_fma_f64 v[52:53], v[20:21], v[100:101], -v[52:53]
	v_fmac_f64_e32 v[56:57], v[22:23], v[100:101]
	s_delay_alu instid0(VALU_DEP_2) | instskip(SKIP_1) | instid1(VALU_DEP_3)
	v_add_f64_e32 v[134:135], v[78:79], v[52:53]
	v_mul_f64_e32 v[52:53], v[22:23], v[66:67]
	v_add_f64_e32 v[136:137], v[56:57], v[82:83]
	v_mul_f64_e32 v[56:57], v[20:21], v[66:67]
	s_delay_alu instid0(VALU_DEP_3) | instskip(NEXT) | instid1(VALU_DEP_2)
	v_fma_f64 v[52:53], v[20:21], v[64:65], -v[52:53]
	v_fmac_f64_e32 v[56:57], v[22:23], v[64:65]
	s_delay_alu instid0(VALU_DEP_2) | instskip(SKIP_1) | instid1(VALU_DEP_3)
	v_add_f64_e32 v[138:139], v[70:71], v[52:53]
	v_mul_f64_e32 v[52:53], v[22:23], v[110:111]
	v_add_f64_e32 v[140:141], v[56:57], v[74:75]
	v_mul_f64_e32 v[56:57], v[20:21], v[110:111]
	s_delay_alu instid0(VALU_DEP_3) | instskip(NEXT) | instid1(VALU_DEP_2)
	v_fma_f64 v[52:53], v[20:21], v[108:109], -v[52:53]
	v_fmac_f64_e32 v[56:57], v[22:23], v[108:109]
	s_delay_alu instid0(VALU_DEP_2) | instskip(SKIP_1) | instid1(VALU_DEP_3)
	v_add_f64_e32 v[142:143], v[58:59], v[52:53]
	v_mul_f64_e32 v[52:53], v[22:23], v[46:47]
	v_add_f64_e32 v[144:145], v[56:57], v[62:63]
	s_delay_alu instid0(VALU_DEP_2) | instskip(SKIP_1) | instid1(VALU_DEP_2)
	v_fma_f64 v[52:53], v[20:21], v[44:45], -v[52:53]
	v_mul_f64_e32 v[20:21], v[20:21], v[46:47]
	v_add_f64_e32 v[146:147], v[50:51], v[52:53]
	s_delay_alu instid0(VALU_DEP_2) | instskip(NEXT) | instid1(VALU_DEP_1)
	v_fmac_f64_e32 v[20:21], v[22:23], v[44:45]
	v_add_f64_e32 v[148:149], v[20:21], v[54:55]
	ds_load_b128 v[20:23], v105 offset:3072
	s_wait_dscnt 0x0
	v_mul_f64_e32 v[50:51], v[22:23], v[102:103]
	v_mul_f64_e32 v[52:53], v[20:21], v[102:103]
	s_delay_alu instid0(VALU_DEP_2) | instskip(NEXT) | instid1(VALU_DEP_2)
	v_fma_f64 v[50:51], v[20:21], v[100:101], -v[50:51]
	v_fmac_f64_e32 v[52:53], v[22:23], v[100:101]
	s_delay_alu instid0(VALU_DEP_2) | instskip(NEXT) | instid1(VALU_DEP_2)
	v_add_f64_e32 v[72:73], v[16:17], v[50:51]
	v_add_f64_e32 v[74:75], v[52:53], v[18:19]
	v_mul_f64_e32 v[16:17], v[22:23], v[66:67]
	v_mul_f64_e32 v[18:19], v[20:21], v[66:67]
	s_delay_alu instid0(VALU_DEP_2) | instskip(NEXT) | instid1(VALU_DEP_2)
	v_fma_f64 v[16:17], v[20:21], v[64:65], -v[16:17]
	v_fmac_f64_e32 v[18:19], v[22:23], v[64:65]
	s_delay_alu instid0(VALU_DEP_2) | instskip(NEXT) | instid1(VALU_DEP_2)
	v_add_f64_e32 v[68:69], v[12:13], v[16:17]
	v_add_f64_e32 v[70:71], v[18:19], v[14:15]
	v_mul_f64_e32 v[12:13], v[22:23], v[110:111]
	v_mul_f64_e32 v[14:15], v[20:21], v[110:111]
	ds_load_b128 v[16:19], v104 offset:1280
	v_fma_f64 v[12:13], v[20:21], v[108:109], -v[12:13]
	v_fmac_f64_e32 v[14:15], v[22:23], v[108:109]
	s_delay_alu instid0(VALU_DEP_2) | instskip(NEXT) | instid1(VALU_DEP_2)
	v_add_f64_e32 v[64:65], v[8:9], v[12:13]
	v_add_f64_e32 v[66:67], v[14:15], v[10:11]
	v_mul_f64_e32 v[8:9], v[22:23], v[46:47]
	v_mul_f64_e32 v[10:11], v[20:21], v[46:47]
	ds_load_b128 v[12:15], v104 offset:1536
	v_fma_f64 v[8:9], v[20:21], v[44:45], -v[8:9]
	v_fmac_f64_e32 v[10:11], v[22:23], v[44:45]
	ds_load_b128 v[20:23], v104 offset:1024
	v_add_f64_e32 v[60:61], v[88:89], v[8:9]
	v_add_f64_e32 v[62:63], v[10:11], v[90:91]
	s_wait_dscnt 0x0
	v_mul_f64_e32 v[8:9], v[98:99], v[22:23]
	v_mul_f64_e32 v[10:11], v[96:97], v[22:23]
	ds_load_b128 v[88:91], v105 offset:1040
	s_wait_dscnt 0x0
	v_mul_f64_e32 v[76:77], v[90:91], v[22:23]
	v_mul_f64_e32 v[78:79], v[88:89], v[22:23]
	;; [unrolled: 1-line block ×4, first 2 shown]
	v_fma_f64 v[8:9], v[96:97], v[20:21], -v[8:9]
	v_fmac_f64_e32 v[10:11], v[98:99], v[20:21]
	v_fma_f64 v[76:77], v[88:89], v[20:21], -v[76:77]
	v_fmac_f64_e32 v[78:79], v[90:91], v[20:21]
	;; [unrolled: 2-line block ×3, first 2 shown]
	v_add_f64_e32 v[56:57], v[112:113], v[8:9]
	v_add_f64_e32 v[58:59], v[10:11], v[114:115]
	v_mul_f64_e32 v[8:9], v[98:99], v[18:19]
	v_mul_f64_e32 v[10:11], v[96:97], v[18:19]
	v_add_f64_e32 v[76:77], v[84:85], v[76:77]
	v_add_f64_e32 v[78:79], v[78:79], v[86:87]
	v_mul_f64_e32 v[84:85], v[90:91], v[14:15]
	v_mul_f64_e32 v[86:87], v[88:89], v[14:15]
	v_add_f64_e32 v[80:81], v[124:125], v[80:81]
	v_add_f64_e32 v[82:83], v[82:83], v[122:123]
	v_fma_f64 v[8:9], v[96:97], v[16:17], -v[8:9]
	v_fmac_f64_e32 v[10:11], v[98:99], v[16:17]
	v_fma_f64 v[84:85], v[88:89], v[12:13], -v[84:85]
	v_fmac_f64_e32 v[86:87], v[90:91], v[12:13]
	s_delay_alu instid0(VALU_DEP_4) | instskip(NEXT) | instid1(VALU_DEP_4)
	v_add_f64_e32 v[52:53], v[48:49], v[8:9]
	v_add_f64_e32 v[54:55], v[10:11], v[116:117]
	v_mul_f64_e32 v[8:9], v[98:99], v[14:15]
	v_mul_f64_e32 v[10:11], v[96:97], v[14:15]
	v_add_f64_e32 v[84:85], v[126:127], v[84:85]
	v_add_f64_e32 v[86:87], v[86:87], v[128:129]
	s_delay_alu instid0(VALU_DEP_4) | instskip(NEXT) | instid1(VALU_DEP_4)
	v_fma_f64 v[8:9], v[96:97], v[12:13], -v[8:9]
	v_fmac_f64_e32 v[10:11], v[98:99], v[12:13]
	s_delay_alu instid0(VALU_DEP_2) | instskip(NEXT) | instid1(VALU_DEP_2)
	v_add_f64_e32 v[48:49], v[120:121], v[8:9]
	v_add_f64_e32 v[50:51], v[10:11], v[118:119]
	ds_load_b128 v[8:11], v104 offset:1792
	s_wait_dscnt 0x0
	v_mul_f64_e32 v[44:45], v[98:99], v[10:11]
	v_mul_f64_e32 v[46:47], v[96:97], v[10:11]
	s_delay_alu instid0(VALU_DEP_2) | instskip(NEXT) | instid1(VALU_DEP_2)
	v_fma_f64 v[44:45], v[96:97], v[8:9], -v[44:45]
	v_fmac_f64_e32 v[46:47], v[98:99], v[8:9]
	s_delay_alu instid0(VALU_DEP_2) | instskip(NEXT) | instid1(VALU_DEP_2)
	v_add_f64_e32 v[44:45], v[94:95], v[44:45]
	v_add_f64_e32 v[46:47], v[46:47], v[92:93]
	v_mul_f64_e32 v[92:93], v[90:91], v[10:11]
	v_mul_f64_e32 v[94:95], v[88:89], v[10:11]
	s_delay_alu instid0(VALU_DEP_2) | instskip(NEXT) | instid1(VALU_DEP_2)
	v_fma_f64 v[92:93], v[88:89], v[8:9], -v[92:93]
	v_fmac_f64_e32 v[94:95], v[90:91], v[8:9]
	s_delay_alu instid0(VALU_DEP_2) | instskip(NEXT) | instid1(VALU_DEP_2)
	v_add_f64_e32 v[88:89], v[130:131], v[92:93]
	v_add_f64_e32 v[90:91], v[94:95], v[132:133]
	ds_load_b128 v[92:95], v105 offset:2064
	s_wait_dscnt 0x0
	v_mul_f64_e32 v[96:97], v[94:95], v[22:23]
	v_mul_f64_e32 v[100:101], v[94:95], v[18:19]
	;; [unrolled: 1-line block ×7, first 2 shown]
	v_fma_f64 v[96:97], v[92:93], v[20:21], -v[96:97]
	v_fma_f64 v[100:101], v[92:93], v[16:17], -v[100:101]
	;; [unrolled: 1-line block ×4, first 2 shown]
	v_mul_f64_e32 v[92:93], v[92:93], v[10:11]
	v_fmac_f64_e32 v[98:99], v[94:95], v[20:21]
	v_fmac_f64_e32 v[102:103], v[94:95], v[16:17]
	v_fmac_f64_e32 v[110:111], v[94:95], v[12:13]
	v_add_f64_e32 v[96:97], v[134:135], v[96:97]
	v_add_f64_e32 v[100:101], v[138:139], v[100:101]
	;; [unrolled: 1-line block ×4, first 2 shown]
	v_fmac_f64_e32 v[92:93], v[94:95], v[8:9]
	v_add_f64_e32 v[98:99], v[98:99], v[136:137]
	v_add_f64_e32 v[102:103], v[102:103], v[140:141]
	;; [unrolled: 1-line block ×3, first 2 shown]
	s_delay_alu instid0(VALU_DEP_4) | instskip(SKIP_4) | instid1(VALU_DEP_2)
	v_add_f64_e32 v[114:115], v[92:93], v[148:149]
	ds_load_b128 v[92:95], v105 offset:3088
	s_wait_dscnt 0x0
	v_mul_f64_e32 v[116:117], v[94:95], v[22:23]
	v_mul_f64_e32 v[22:23], v[92:93], v[22:23]
	v_fma_f64 v[116:117], v[92:93], v[20:21], -v[116:117]
	s_delay_alu instid0(VALU_DEP_2) | instskip(SKIP_2) | instid1(VALU_DEP_4)
	v_fmac_f64_e32 v[22:23], v[94:95], v[20:21]
	v_mul_f64_e32 v[20:21], v[94:95], v[18:19]
	v_mul_f64_e32 v[18:19], v[92:93], v[18:19]
	v_add_f64_e32 v[72:73], v[72:73], v[116:117]
	s_delay_alu instid0(VALU_DEP_4) | instskip(NEXT) | instid1(VALU_DEP_4)
	v_add_f64_e32 v[74:75], v[22:23], v[74:75]
	v_fma_f64 v[20:21], v[92:93], v[16:17], -v[20:21]
	s_delay_alu instid0(VALU_DEP_4) | instskip(SKIP_2) | instid1(VALU_DEP_4)
	v_fmac_f64_e32 v[18:19], v[94:95], v[16:17]
	v_mul_f64_e32 v[16:17], v[94:95], v[14:15]
	v_mul_f64_e32 v[14:15], v[92:93], v[14:15]
	v_add_f64_e32 v[68:69], v[68:69], v[20:21]
	s_delay_alu instid0(VALU_DEP_4) | instskip(NEXT) | instid1(VALU_DEP_4)
	v_add_f64_e32 v[70:71], v[18:19], v[70:71]
	v_fma_f64 v[16:17], v[92:93], v[12:13], -v[16:17]
	s_delay_alu instid0(VALU_DEP_4) | instskip(SKIP_2) | instid1(VALU_DEP_4)
	v_fmac_f64_e32 v[14:15], v[94:95], v[12:13]
	v_mul_f64_e32 v[12:13], v[94:95], v[10:11]
	v_mul_f64_e32 v[10:11], v[92:93], v[10:11]
	v_add_f64_e32 v[64:65], v[64:65], v[16:17]
	s_delay_alu instid0(VALU_DEP_4) | instskip(NEXT) | instid1(VALU_DEP_4)
	v_add_f64_e32 v[66:67], v[14:15], v[66:67]
	v_fma_f64 v[12:13], v[92:93], v[8:9], -v[12:13]
	s_delay_alu instid0(VALU_DEP_4) | instskip(NEXT) | instid1(VALU_DEP_2)
	v_fmac_f64_e32 v[10:11], v[94:95], v[8:9]
	v_add_f64_e32 v[60:61], v[60:61], v[12:13]
	s_delay_alu instid0(VALU_DEP_2) | instskip(SKIP_4) | instid1(VALU_DEP_2)
	v_add_f64_e32 v[62:63], v[10:11], v[62:63]
	ds_load_b128 v[8:11], v104 offset:2048
	s_wait_dscnt 0x0
	v_mul_f64_e32 v[12:13], v[6:7], v[10:11]
	v_mul_f64_e32 v[14:15], v[4:5], v[10:11]
	v_fma_f64 v[12:13], v[4:5], v[8:9], -v[12:13]
	s_delay_alu instid0(VALU_DEP_2) | instskip(NEXT) | instid1(VALU_DEP_2)
	v_fmac_f64_e32 v[14:15], v[6:7], v[8:9]
	v_add_f64_e32 v[56:57], v[56:57], v[12:13]
	s_delay_alu instid0(VALU_DEP_2) | instskip(SKIP_4) | instid1(VALU_DEP_2)
	v_add_f64_e32 v[58:59], v[14:15], v[58:59]
	ds_load_b128 v[12:15], v104 offset:2304
	s_wait_dscnt 0x0
	v_mul_f64_e32 v[16:17], v[6:7], v[14:15]
	v_mul_f64_e32 v[18:19], v[4:5], v[14:15]
	v_fma_f64 v[16:17], v[4:5], v[12:13], -v[16:17]
	s_delay_alu instid0(VALU_DEP_2) | instskip(NEXT) | instid1(VALU_DEP_2)
	;; [unrolled: 10-line block ×3, first 2 shown]
	v_fmac_f64_e32 v[22:23], v[6:7], v[16:17]
	v_add_f64_e32 v[116:117], v[48:49], v[20:21]
	s_delay_alu instid0(VALU_DEP_2) | instskip(SKIP_3) | instid1(VALU_DEP_1)
	v_add_f64_e32 v[50:51], v[22:23], v[50:51]
	ds_load_b128 v[20:23], v104 offset:2816
	s_wait_dscnt 0x0
	v_mul_f64_e32 v[48:49], v[6:7], v[22:23]
	v_fma_f64 v[48:49], v[4:5], v[20:21], -v[48:49]
	v_mul_f64_e32 v[4:5], v[4:5], v[22:23]
	s_delay_alu instid0(VALU_DEP_2) | instskip(NEXT) | instid1(VALU_DEP_2)
	v_add_f64_e32 v[118:119], v[44:45], v[48:49]
	v_fmac_f64_e32 v[4:5], v[6:7], v[20:21]
	s_delay_alu instid0(VALU_DEP_1) | instskip(SKIP_4) | instid1(VALU_DEP_2)
	v_add_f64_e32 v[120:121], v[4:5], v[46:47]
	ds_load_b128 v[4:7], v105 offset:1056
	s_wait_dscnt 0x0
	v_mul_f64_e32 v[44:45], v[6:7], v[10:11]
	v_mul_f64_e32 v[46:47], v[4:5], v[10:11]
	v_fma_f64 v[44:45], v[4:5], v[8:9], -v[44:45]
	s_delay_alu instid0(VALU_DEP_2) | instskip(NEXT) | instid1(VALU_DEP_2)
	v_fmac_f64_e32 v[46:47], v[6:7], v[8:9]
	v_add_f64_e32 v[76:77], v[76:77], v[44:45]
	v_mul_f64_e32 v[44:45], v[6:7], v[14:15]
	s_delay_alu instid0(VALU_DEP_3) | instskip(SKIP_1) | instid1(VALU_DEP_3)
	v_add_f64_e32 v[78:79], v[46:47], v[78:79]
	v_mul_f64_e32 v[46:47], v[4:5], v[14:15]
	v_fma_f64 v[44:45], v[4:5], v[12:13], -v[44:45]
	s_delay_alu instid0(VALU_DEP_2) | instskip(NEXT) | instid1(VALU_DEP_2)
	v_fmac_f64_e32 v[46:47], v[6:7], v[12:13]
	v_add_f64_e32 v[80:81], v[80:81], v[44:45]
	v_mul_f64_e32 v[44:45], v[6:7], v[18:19]
	s_delay_alu instid0(VALU_DEP_3) | instskip(SKIP_1) | instid1(VALU_DEP_3)
	v_add_f64_e32 v[82:83], v[46:47], v[82:83]
	v_mul_f64_e32 v[46:47], v[4:5], v[18:19]
	v_fma_f64 v[44:45], v[4:5], v[16:17], -v[44:45]
	s_delay_alu instid0(VALU_DEP_2) | instskip(NEXT) | instid1(VALU_DEP_2)
	v_fmac_f64_e32 v[46:47], v[6:7], v[16:17]
	v_add_f64_e32 v[122:123], v[84:85], v[44:45]
	v_mul_f64_e32 v[44:45], v[6:7], v[22:23]
	s_delay_alu instid0(VALU_DEP_3) | instskip(NEXT) | instid1(VALU_DEP_2)
	v_add_f64_e32 v[124:125], v[46:47], v[86:87]
	v_fma_f64 v[44:45], v[4:5], v[20:21], -v[44:45]
	v_mul_f64_e32 v[4:5], v[4:5], v[22:23]
	s_delay_alu instid0(VALU_DEP_2) | instskip(NEXT) | instid1(VALU_DEP_2)
	v_add_f64_e32 v[126:127], v[88:89], v[44:45]
	v_fmac_f64_e32 v[4:5], v[6:7], v[20:21]
	s_delay_alu instid0(VALU_DEP_1) | instskip(SKIP_4) | instid1(VALU_DEP_2)
	v_add_f64_e32 v[128:129], v[4:5], v[90:91]
	ds_load_b128 v[4:7], v105 offset:2080
	s_wait_dscnt 0x0
	v_mul_f64_e32 v[44:45], v[6:7], v[10:11]
	v_mul_f64_e32 v[46:47], v[4:5], v[10:11]
	v_fma_f64 v[44:45], v[4:5], v[8:9], -v[44:45]
	s_delay_alu instid0(VALU_DEP_2) | instskip(NEXT) | instid1(VALU_DEP_2)
	v_fmac_f64_e32 v[46:47], v[6:7], v[8:9]
	v_add_f64_e32 v[130:131], v[96:97], v[44:45]
	v_mul_f64_e32 v[44:45], v[6:7], v[14:15]
	s_delay_alu instid0(VALU_DEP_3) | instskip(SKIP_1) | instid1(VALU_DEP_3)
	v_add_f64_e32 v[132:133], v[46:47], v[98:99]
	v_mul_f64_e32 v[46:47], v[4:5], v[14:15]
	v_fma_f64 v[44:45], v[4:5], v[12:13], -v[44:45]
	s_delay_alu instid0(VALU_DEP_2) | instskip(NEXT) | instid1(VALU_DEP_2)
	v_fmac_f64_e32 v[46:47], v[6:7], v[12:13]
	v_add_f64_e32 v[134:135], v[100:101], v[44:45]
	v_mul_f64_e32 v[44:45], v[6:7], v[18:19]
	s_delay_alu instid0(VALU_DEP_3) | instskip(SKIP_1) | instid1(VALU_DEP_3)
	v_add_f64_e32 v[136:137], v[46:47], v[102:103]
	v_mul_f64_e32 v[46:47], v[4:5], v[18:19]
	v_fma_f64 v[44:45], v[4:5], v[16:17], -v[44:45]
	s_delay_alu instid0(VALU_DEP_2) | instskip(NEXT) | instid1(VALU_DEP_2)
	v_fmac_f64_e32 v[46:47], v[6:7], v[16:17]
	v_add_f64_e32 v[108:109], v[108:109], v[44:45]
	v_mul_f64_e32 v[44:45], v[6:7], v[22:23]
	s_delay_alu instid0(VALU_DEP_3) | instskip(NEXT) | instid1(VALU_DEP_2)
	v_add_f64_e32 v[110:111], v[46:47], v[110:111]
	v_fma_f64 v[44:45], v[4:5], v[20:21], -v[44:45]
	v_mul_f64_e32 v[4:5], v[4:5], v[22:23]
	s_delay_alu instid0(VALU_DEP_2) | instskip(NEXT) | instid1(VALU_DEP_2)
	v_add_f64_e32 v[112:113], v[112:113], v[44:45]
	v_fmac_f64_e32 v[4:5], v[6:7], v[20:21]
	s_delay_alu instid0(VALU_DEP_1) | instskip(SKIP_4) | instid1(VALU_DEP_2)
	v_add_f64_e32 v[114:115], v[4:5], v[114:115]
	ds_load_b128 v[4:7], v105 offset:3104
	s_wait_dscnt 0x0
	v_mul_f64_e32 v[44:45], v[6:7], v[10:11]
	v_mul_f64_e32 v[10:11], v[4:5], v[10:11]
	v_fma_f64 v[44:45], v[4:5], v[8:9], -v[44:45]
	s_delay_alu instid0(VALU_DEP_2) | instskip(SKIP_1) | instid1(VALU_DEP_3)
	v_fmac_f64_e32 v[10:11], v[6:7], v[8:9]
	v_mul_f64_e32 v[8:9], v[6:7], v[14:15]
	v_add_f64_e32 v[100:101], v[72:73], v[44:45]
	s_delay_alu instid0(VALU_DEP_3) | instskip(NEXT) | instid1(VALU_DEP_3)
	v_add_f64_e32 v[102:103], v[10:11], v[74:75]
	v_fma_f64 v[8:9], v[4:5], v[12:13], -v[8:9]
	v_mul_f64_e32 v[10:11], v[4:5], v[14:15]
	s_delay_alu instid0(VALU_DEP_2) | instskip(SKIP_1) | instid1(VALU_DEP_3)
	v_add_f64_e32 v[96:97], v[68:69], v[8:9]
	v_mul_f64_e32 v[8:9], v[6:7], v[18:19]
	v_fmac_f64_e32 v[10:11], v[6:7], v[12:13]
	ds_load_b128 v[12:15], v104 offset:3328
	v_fma_f64 v[8:9], v[4:5], v[16:17], -v[8:9]
	v_add_f64_e32 v[98:99], v[10:11], v[70:71]
	v_mul_f64_e32 v[10:11], v[4:5], v[18:19]
	s_delay_alu instid0(VALU_DEP_3) | instskip(SKIP_1) | instid1(VALU_DEP_3)
	v_add_f64_e32 v[92:93], v[64:65], v[8:9]
	v_mul_f64_e32 v[8:9], v[6:7], v[22:23]
	v_fmac_f64_e32 v[10:11], v[6:7], v[16:17]
	ds_load_b128 v[16:19], v104 offset:3072
	v_fma_f64 v[8:9], v[4:5], v[20:21], -v[8:9]
	v_mul_f64_e32 v[4:5], v[4:5], v[22:23]
	v_add_f64_e32 v[94:95], v[10:11], v[66:67]
	s_delay_alu instid0(VALU_DEP_3) | instskip(NEXT) | instid1(VALU_DEP_3)
	v_add_f64_e32 v[88:89], v[60:61], v[8:9]
	v_fmac_f64_e32 v[4:5], v[6:7], v[20:21]
	s_wait_dscnt 0x0
	v_mul_f64_e32 v[6:7], v[0:1], v[18:19]
	ds_load_b128 v[8:11], v104 offset:3584
	v_add_f64_e32 v[90:91], v[4:5], v[62:63]
	v_mul_f64_e32 v[4:5], v[2:3], v[18:19]
	v_fmac_f64_e32 v[6:7], v[2:3], v[16:17]
	s_delay_alu instid0(VALU_DEP_2) | instskip(NEXT) | instid1(VALU_DEP_2)
	v_fma_f64 v[4:5], v[0:1], v[16:17], -v[4:5]
	v_add_f64_e32 v[66:67], v[6:7], v[58:59]
	v_mul_f64_e32 v[6:7], v[0:1], v[14:15]
	s_delay_alu instid0(VALU_DEP_3) | instskip(SKIP_1) | instid1(VALU_DEP_3)
	v_add_f64_e32 v[64:65], v[56:57], v[4:5]
	v_mul_f64_e32 v[4:5], v[2:3], v[14:15]
	v_fmac_f64_e32 v[6:7], v[2:3], v[12:13]
	s_delay_alu instid0(VALU_DEP_2) | instskip(NEXT) | instid1(VALU_DEP_1)
	v_fma_f64 v[4:5], v[0:1], v[12:13], -v[4:5]
	v_add_f64_e32 v[48:49], v[52:53], v[4:5]
	s_delay_alu instid0(VALU_DEP_3) | instskip(SKIP_3) | instid1(VALU_DEP_2)
	v_add_f64_e32 v[52:53], v[6:7], v[54:55]
	s_wait_dscnt 0x0
	v_mul_f64_e32 v[4:5], v[2:3], v[10:11]
	v_mul_f64_e32 v[6:7], v[0:1], v[10:11]
	v_fma_f64 v[4:5], v[0:1], v[8:9], -v[4:5]
	s_delay_alu instid0(VALU_DEP_2) | instskip(NEXT) | instid1(VALU_DEP_2)
	v_fmac_f64_e32 v[6:7], v[2:3], v[8:9]
	v_add_f64_e32 v[44:45], v[116:117], v[4:5]
	s_delay_alu instid0(VALU_DEP_2) | instskip(SKIP_3) | instid1(VALU_DEP_1)
	v_add_f64_e32 v[46:47], v[6:7], v[50:51]
	ds_load_b128 v[4:7], v104 offset:3840
	s_wait_dscnt 0x0
	v_mul_f64_e32 v[20:21], v[2:3], v[6:7]
	v_fma_f64 v[20:21], v[0:1], v[4:5], -v[20:21]
	v_mul_f64_e32 v[0:1], v[0:1], v[6:7]
	s_delay_alu instid0(VALU_DEP_2) | instskip(NEXT) | instid1(VALU_DEP_2)
	v_add_f64_e32 v[20:21], v[118:119], v[20:21]
	v_fmac_f64_e32 v[0:1], v[2:3], v[4:5]
	s_delay_alu instid0(VALU_DEP_1) | instskip(SKIP_4) | instid1(VALU_DEP_2)
	v_add_f64_e32 v[22:23], v[0:1], v[120:121]
	ds_load_b128 v[0:3], v105 offset:1072
	s_wait_dscnt 0x0
	v_mul_f64_e32 v[50:51], v[2:3], v[18:19]
	v_mul_f64_e32 v[54:55], v[0:1], v[18:19]
	v_fma_f64 v[50:51], v[0:1], v[16:17], -v[50:51]
	s_delay_alu instid0(VALU_DEP_2) | instskip(NEXT) | instid1(VALU_DEP_2)
	v_fmac_f64_e32 v[54:55], v[2:3], v[16:17]
	v_add_f64_e32 v[84:85], v[76:77], v[50:51]
	v_mul_f64_e32 v[50:51], v[2:3], v[14:15]
	s_delay_alu instid0(VALU_DEP_3) | instskip(SKIP_1) | instid1(VALU_DEP_3)
	v_add_f64_e32 v[86:87], v[54:55], v[78:79]
	v_mul_f64_e32 v[54:55], v[0:1], v[14:15]
	v_fma_f64 v[50:51], v[0:1], v[12:13], -v[50:51]
	s_delay_alu instid0(VALU_DEP_2) | instskip(NEXT) | instid1(VALU_DEP_2)
	v_fmac_f64_e32 v[54:55], v[2:3], v[12:13]
	v_add_f64_e32 v[76:77], v[80:81], v[50:51]
	v_mul_f64_e32 v[50:51], v[2:3], v[10:11]
	s_delay_alu instid0(VALU_DEP_3) | instskip(SKIP_1) | instid1(VALU_DEP_3)
	v_add_f64_e32 v[80:81], v[54:55], v[82:83]
	v_mul_f64_e32 v[54:55], v[0:1], v[10:11]
	v_fma_f64 v[50:51], v[0:1], v[8:9], -v[50:51]
	s_delay_alu instid0(VALU_DEP_2) | instskip(NEXT) | instid1(VALU_DEP_2)
	v_fmac_f64_e32 v[54:55], v[2:3], v[8:9]
	v_add_f64_e32 v[68:69], v[122:123], v[50:51]
	v_mul_f64_e32 v[50:51], v[2:3], v[6:7]
	s_delay_alu instid0(VALU_DEP_3) | instskip(NEXT) | instid1(VALU_DEP_2)
	v_add_f64_e32 v[72:73], v[54:55], v[124:125]
	v_fma_f64 v[50:51], v[0:1], v[4:5], -v[50:51]
	v_mul_f64_e32 v[0:1], v[0:1], v[6:7]
	s_delay_alu instid0(VALU_DEP_2) | instskip(NEXT) | instid1(VALU_DEP_2)
	v_add_f64_e32 v[56:57], v[126:127], v[50:51]
	v_fmac_f64_e32 v[0:1], v[2:3], v[4:5]
	s_delay_alu instid0(VALU_DEP_1) | instskip(SKIP_4) | instid1(VALU_DEP_2)
	v_add_f64_e32 v[60:61], v[0:1], v[128:129]
	ds_load_b128 v[0:3], v105 offset:2096
	s_wait_dscnt 0x0
	v_mul_f64_e32 v[50:51], v[2:3], v[18:19]
	v_mul_f64_e32 v[54:55], v[0:1], v[18:19]
	v_fma_f64 v[50:51], v[0:1], v[16:17], -v[50:51]
	s_delay_alu instid0(VALU_DEP_2) | instskip(NEXT) | instid1(VALU_DEP_2)
	v_fmac_f64_e32 v[54:55], v[2:3], v[16:17]
	v_add_f64_e32 v[78:79], v[130:131], v[50:51]
	v_mul_f64_e32 v[50:51], v[2:3], v[14:15]
	s_delay_alu instid0(VALU_DEP_3) | instskip(SKIP_1) | instid1(VALU_DEP_3)
	v_add_f64_e32 v[82:83], v[54:55], v[132:133]
	v_mul_f64_e32 v[54:55], v[0:1], v[14:15]
	v_fma_f64 v[50:51], v[0:1], v[12:13], -v[50:51]
	s_delay_alu instid0(VALU_DEP_2) | instskip(NEXT) | instid1(VALU_DEP_2)
	v_fmac_f64_e32 v[54:55], v[2:3], v[12:13]
	v_add_f64_e32 v[70:71], v[134:135], v[50:51]
	v_mul_f64_e32 v[50:51], v[2:3], v[10:11]
	s_delay_alu instid0(VALU_DEP_3) | instskip(SKIP_1) | instid1(VALU_DEP_3)
	v_add_f64_e32 v[74:75], v[54:55], v[136:137]
	v_mul_f64_e32 v[54:55], v[0:1], v[10:11]
	v_fma_f64 v[50:51], v[0:1], v[8:9], -v[50:51]
	s_delay_alu instid0(VALU_DEP_2) | instskip(NEXT) | instid1(VALU_DEP_2)
	v_fmac_f64_e32 v[54:55], v[2:3], v[8:9]
	v_add_f64_e32 v[58:59], v[108:109], v[50:51]
	v_mul_f64_e32 v[50:51], v[2:3], v[6:7]
	s_delay_alu instid0(VALU_DEP_3) | instskip(NEXT) | instid1(VALU_DEP_2)
	v_add_f64_e32 v[62:63], v[54:55], v[110:111]
	v_fma_f64 v[50:51], v[0:1], v[4:5], -v[50:51]
	v_mul_f64_e32 v[0:1], v[0:1], v[6:7]
	s_delay_alu instid0(VALU_DEP_2) | instskip(NEXT) | instid1(VALU_DEP_2)
	v_add_f64_e32 v[50:51], v[112:113], v[50:51]
	v_fmac_f64_e32 v[0:1], v[2:3], v[4:5]
	s_delay_alu instid0(VALU_DEP_1)
	v_add_f64_e32 v[54:55], v[0:1], v[114:115]
	ds_load_b128 v[0:3], v105 offset:3120
	s_wait_dscnt 0x0
	s_barrier_signal -1
	s_barrier_wait -1
	v_mul_f64_e32 v[108:109], v[2:3], v[18:19]
	v_mul_f64_e32 v[18:19], v[0:1], v[18:19]
	s_delay_alu instid0(VALU_DEP_2) | instskip(NEXT) | instid1(VALU_DEP_2)
	v_fma_f64 v[108:109], v[0:1], v[16:17], -v[108:109]
	v_fmac_f64_e32 v[18:19], v[2:3], v[16:17]
	s_delay_alu instid0(VALU_DEP_2) | instskip(SKIP_2) | instid1(VALU_DEP_4)
	v_add_f64_e32 v[16:17], v[100:101], v[108:109]
	v_mul_f64_e32 v[100:101], v[2:3], v[14:15]
	v_mul_f64_e32 v[14:15], v[0:1], v[14:15]
	v_add_f64_e32 v[18:19], v[18:19], v[102:103]
	s_delay_alu instid0(VALU_DEP_3) | instskip(NEXT) | instid1(VALU_DEP_3)
	v_fma_f64 v[100:101], v[0:1], v[12:13], -v[100:101]
	v_fmac_f64_e32 v[14:15], v[2:3], v[12:13]
	s_delay_alu instid0(VALU_DEP_2) | instskip(SKIP_2) | instid1(VALU_DEP_4)
	v_add_f64_e32 v[12:13], v[96:97], v[100:101]
	v_mul_f64_e32 v[96:97], v[2:3], v[10:11]
	v_mul_f64_e32 v[10:11], v[0:1], v[10:11]
	v_add_f64_e32 v[14:15], v[14:15], v[98:99]
	s_delay_alu instid0(VALU_DEP_3) | instskip(NEXT) | instid1(VALU_DEP_3)
	v_fma_f64 v[96:97], v[0:1], v[8:9], -v[96:97]
	v_fmac_f64_e32 v[10:11], v[2:3], v[8:9]
	s_delay_alu instid0(VALU_DEP_2) | instskip(SKIP_1) | instid1(VALU_DEP_3)
	v_add_f64_e32 v[8:9], v[92:93], v[96:97]
	v_mul_f64_e32 v[92:93], v[2:3], v[6:7]
	v_add_f64_e32 v[10:11], v[10:11], v[94:95]
	s_delay_alu instid0(VALU_DEP_2) | instskip(SKIP_1) | instid1(VALU_DEP_2)
	v_fma_f64 v[92:93], v[0:1], v[4:5], -v[92:93]
	v_mul_f64_e32 v[0:1], v[0:1], v[6:7]
	v_add_f64_e32 v[88:89], v[88:89], v[92:93]
	s_delay_alu instid0(VALU_DEP_2) | instskip(NEXT) | instid1(VALU_DEP_1)
	v_fmac_f64_e32 v[0:1], v[2:3], v[4:5]
	v_add_f64_e32 v[90:91], v[0:1], v[90:91]
	s_cbranch_vccnz .LBB259_5
; %bb.6:                                ;   in Loop: Header=BB259_3 Depth=1
	v_add_nc_u64_e32 v[0:1], s[14:15], v[38:39]
	s_and_not1_b32 vcc_lo, exec_lo, s1
	s_mov_b32 s24, -1
                                        ; implicit-def: $vgpr2_vgpr3
                                        ; implicit-def: $vgpr4_vgpr5
	s_cbranch_vccnz .LBB259_9
.LBB259_7:                              ;   in Loop: Header=BB259_3 Depth=1
	v_mul_f64_e32 v[2:3], s[8:9], v[66:67]
	v_mul_f64_e32 v[42:43], s[8:9], v[46:47]
	;; [unrolled: 1-line block ×30, first 2 shown]
	v_lshlrev_b64_e32 v[148:149], 4, v[30:31]
	v_lshl_add_u64 v[150:151], v[26:27], 4, v[0:1]
	v_fma_f64 v[4:5], s[6:7], v[64:65], -v[2:3]
	v_mul_f64_e32 v[2:3], s[6:7], v[90:91]
	v_fma_f64 v[92:93], s[6:7], v[44:45], -v[42:43]
	v_mul_f64_e32 v[42:43], s[8:9], v[90:91]
	v_fmac_f64_e32 v[6:7], s[8:9], v[64:65]
	v_fma_f64 v[38:39], s[6:7], v[48:49], -v[38:39]
	v_fmac_f64_e32 v[40:41], s[8:9], v[48:49]
	v_add_nc_u64_e32 v[152:153], v[150:151], v[148:149]
	v_add_nc_u64_e32 v[150:151], s[22:23], v[150:151]
	v_fma_f64 v[100:101], s[6:7], v[84:85], -v[100:101]
	v_fma_f64 v[128:129], s[6:7], v[58:59], -v[128:129]
	v_fmac_f64_e32 v[94:95], s[8:9], v[44:45]
	v_fma_f64 v[144:145], s[6:7], v[8:9], -v[144:145]
	v_fmac_f64_e32 v[102:103], s[8:9], v[84:85]
	v_fmac_f64_e32 v[130:131], s[8:9], v[58:59]
	;; [unrolled: 1-line block ×3, first 2 shown]
	v_fma_f64 v[96:97], s[6:7], v[20:21], -v[96:97]
	v_fma_f64 v[108:109], s[6:7], v[76:77], -v[108:109]
	;; [unrolled: 1-line block ×3, first 2 shown]
	v_fmac_f64_e32 v[98:99], s[8:9], v[20:21]
	v_fmac_f64_e32 v[110:111], s[8:9], v[76:77]
	v_fmac_f64_e32 v[134:135], s[8:9], v[50:51]
	v_fma_f64 v[112:113], s[6:7], v[68:69], -v[112:113]
	v_fma_f64 v[136:137], s[6:7], v[16:17], -v[136:137]
	v_fmac_f64_e32 v[114:115], s[8:9], v[68:69]
	v_fmac_f64_e32 v[138:139], s[8:9], v[16:17]
	v_fma_f64 v[116:117], s[6:7], v[56:57], -v[116:117]
	v_fma_f64 v[140:141], s[6:7], v[12:13], -v[140:141]
	v_fmac_f64_e32 v[118:119], s[8:9], v[56:57]
	v_fmac_f64_e32 v[142:143], s[8:9], v[12:13]
	v_fma_f64 v[120:121], s[6:7], v[78:79], -v[120:121]
	v_fmac_f64_e32 v[122:123], s[8:9], v[78:79]
	v_fma_f64 v[124:125], s[6:7], v[70:71], -v[124:125]
	v_fmac_f64_e32 v[2:3], s[8:9], v[88:89]
	v_fmac_f64_e32 v[126:127], s[8:9], v[70:71]
	v_fma_f64 v[42:43], s[6:7], v[88:89], -v[42:43]
	flat_store_b128 v[152:153], v[4:7]
	s_wait_xcnt 0x0
	v_add_nc_u64_e32 v[4:5], s[22:23], v[150:151]
	v_add_nc_u64_e32 v[150:151], v[150:151], v[148:149]
	flat_store_b128 v[152:153], v[38:41] offset:256
	s_clause 0x1
	flat_store_b128 v[152:153], v[92:95] offset:512
	flat_store_b128 v[152:153], v[96:99] offset:768
	v_add_nc_u64_e32 v[6:7], s[22:23], v[4:5]
	s_wait_xcnt 0x2
	v_add_nc_u64_e32 v[38:39], v[4:5], v[148:149]
	s_clause 0x5
	flat_store_b128 v[150:151], v[100:103]
	flat_store_b128 v[150:151], v[108:111] offset:256
	flat_store_b128 v[150:151], v[112:115] offset:512
	flat_store_b128 v[150:151], v[116:119] offset:768
	flat_store_b128 v[38:39], v[120:123]
	flat_store_b128 v[38:39], v[124:127] offset:256
	v_add_nc_u64_e32 v[6:7], v[6:7], v[148:149]
	s_clause 0x5
	flat_store_b128 v[38:39], v[128:131] offset:512
	flat_store_b128 v[38:39], v[132:135] offset:768
	flat_store_b128 v[6:7], v[136:139]
	flat_store_b128 v[6:7], v[140:143] offset:256
	flat_store_b128 v[6:7], v[144:147] offset:512
	flat_store_b64 v[6:7], v[42:43] offset:768
	v_add_nc_u64_e32 v[4:5], 0x300, v[6:7]
	s_cbranch_execnz .LBB259_2
	s_branch .LBB259_10
.LBB259_8:                              ;   in Loop: Header=BB259_3 Depth=1
	v_mov_b64_e32 v[64:65], 0
	v_mov_b64_e32 v[66:67], 0
	;; [unrolled: 1-line block ×32, first 2 shown]
	s_wait_loadcnt 0x0
	s_wait_xcnt 0x0
	v_add_nc_u64_e32 v[0:1], s[14:15], v[38:39]
	s_and_not1_b32 vcc_lo, exec_lo, s1
	s_mov_b32 s24, -1
                                        ; implicit-def: $vgpr2_vgpr3
                                        ; implicit-def: $vgpr4_vgpr5
	s_cbranch_vccz .LBB259_7
.LBB259_9:                              ;   in Loop: Header=BB259_3 Depth=1
	s_and_not1_b32 vcc_lo, exec_lo, s24
	s_cbranch_vccnz .LBB259_2
.LBB259_10:                             ;   in Loop: Header=BB259_3 Depth=1
	v_add_nc_u64_e32 v[2:3], s[18:19], v[36:37]
	s_wait_xcnt 0x0
	v_lshlrev_b64_e32 v[6:7], 4, v[30:31]
	v_mul_f64_e32 v[40:41], s[8:9], v[66:67]
	v_mul_f64_e32 v[42:43], s[6:7], v[66:67]
	s_delay_alu instid0(VALU_DEP_4) | instskip(NEXT) | instid1(VALU_DEP_1)
	v_lshl_add_u64 v[36:37], v[28:29], 4, v[2:3]
	v_add_nc_u64_e32 v[38:39], v[36:37], v[6:7]
	flat_load_b128 v[2:5], v[38:39]
	v_fma_f64 v[40:41], s[6:7], v[64:65], -v[40:41]
	v_fmac_f64_e32 v[42:43], s[8:9], v[64:65]
	s_wait_loadcnt_dscnt 0x0
	v_mul_f64_e32 v[66:67], s[40:41], v[4:5]
	v_mul_f64_e32 v[4:5], s[38:39], v[4:5]
	s_delay_alu instid0(VALU_DEP_2) | instskip(NEXT) | instid1(VALU_DEP_2)
	v_fma_f64 v[64:65], s[38:39], v[2:3], -v[66:67]
	v_fmac_f64_e32 v[4:5], s[40:41], v[2:3]
	s_delay_alu instid0(VALU_DEP_2) | instskip(NEXT) | instid1(VALU_DEP_2)
	v_add_f64_e32 v[2:3], v[40:41], v[64:65]
	v_add_f64_e32 v[4:5], v[42:43], v[4:5]
	v_lshl_add_u64 v[40:41], v[26:27], 4, v[0:1]
	s_delay_alu instid0(VALU_DEP_1) | instskip(SKIP_4) | instid1(VALU_DEP_2)
	v_add_nc_u64_e32 v[42:43], v[40:41], v[6:7]
	flat_store_b128 v[42:43], v[2:5]
	flat_load_b128 v[0:3], v[38:39] offset:256
	v_mul_f64_e32 v[4:5], s[8:9], v[52:53]
	v_mul_f64_e32 v[52:53], s[6:7], v[52:53]
	v_fma_f64 v[4:5], s[6:7], v[48:49], -v[4:5]
	s_delay_alu instid0(VALU_DEP_2) | instskip(SKIP_3) | instid1(VALU_DEP_2)
	v_fmac_f64_e32 v[52:53], s[8:9], v[48:49]
	s_wait_loadcnt_dscnt 0x0
	v_mul_f64_e32 v[64:65], s[40:41], v[2:3]
	v_mul_f64_e32 v[2:3], s[38:39], v[2:3]
	v_fma_f64 v[48:49], s[38:39], v[0:1], -v[64:65]
	s_delay_alu instid0(VALU_DEP_2) | instskip(NEXT) | instid1(VALU_DEP_2)
	v_fmac_f64_e32 v[2:3], s[40:41], v[0:1]
	v_add_f64_e32 v[0:1], v[4:5], v[48:49]
	s_delay_alu instid0(VALU_DEP_2)
	v_add_f64_e32 v[2:3], v[52:53], v[2:3]
	v_mul_f64_e32 v[4:5], s[8:9], v[46:47]
	v_mul_f64_e32 v[46:47], s[6:7], v[46:47]
	flat_store_b128 v[42:43], v[0:3] offset:256
	flat_load_b128 v[0:3], v[38:39] offset:512
	v_fma_f64 v[4:5], s[6:7], v[44:45], -v[4:5]
	v_fmac_f64_e32 v[46:47], s[8:9], v[44:45]
	s_wait_loadcnt_dscnt 0x0
	v_mul_f64_e32 v[48:49], s[40:41], v[2:3]
	v_mul_f64_e32 v[2:3], s[38:39], v[2:3]
	s_delay_alu instid0(VALU_DEP_2) | instskip(NEXT) | instid1(VALU_DEP_2)
	v_fma_f64 v[44:45], s[38:39], v[0:1], -v[48:49]
	v_fmac_f64_e32 v[2:3], s[40:41], v[0:1]
	s_delay_alu instid0(VALU_DEP_2) | instskip(NEXT) | instid1(VALU_DEP_2)
	v_add_f64_e32 v[0:1], v[4:5], v[44:45]
	v_add_f64_e32 v[2:3], v[46:47], v[2:3]
	v_mul_f64_e32 v[4:5], s[8:9], v[22:23]
	v_mul_f64_e32 v[22:23], s[6:7], v[22:23]
	flat_store_b128 v[42:43], v[0:3] offset:512
	flat_load_b128 v[0:3], v[38:39] offset:768
	v_fma_f64 v[4:5], s[6:7], v[20:21], -v[4:5]
	v_fmac_f64_e32 v[22:23], s[8:9], v[20:21]
	s_wait_loadcnt_dscnt 0x0
	s_wait_xcnt 0x0
	v_mul_f64_e32 v[38:39], s[40:41], v[2:3]
	v_mul_f64_e32 v[2:3], s[38:39], v[2:3]
	s_delay_alu instid0(VALU_DEP_2) | instskip(NEXT) | instid1(VALU_DEP_2)
	v_fma_f64 v[20:21], s[38:39], v[0:1], -v[38:39]
	v_fmac_f64_e32 v[2:3], s[40:41], v[0:1]
	s_delay_alu instid0(VALU_DEP_2) | instskip(NEXT) | instid1(VALU_DEP_2)
	v_add_f64_e32 v[0:1], v[4:5], v[20:21]
	v_add_f64_e32 v[2:3], v[22:23], v[2:3]
	v_add_nc_u64_e32 v[4:5], s[20:21], v[36:37]
	v_mul_f64_e32 v[22:23], s[8:9], v[86:87]
	v_mul_f64_e32 v[36:37], s[6:7], v[86:87]
	s_delay_alu instid0(VALU_DEP_3)
	v_add_nc_u64_e32 v[20:21], v[4:5], v[6:7]
	v_add_nc_u64_e32 v[4:5], s[20:21], v[4:5]
	flat_store_b128 v[42:43], v[0:3] offset:768
	flat_load_b128 v[0:3], v[20:21]
	v_fma_f64 v[22:23], s[6:7], v[84:85], -v[22:23]
	v_fmac_f64_e32 v[36:37], s[8:9], v[84:85]
	s_wait_loadcnt_dscnt 0x0
	v_mul_f64_e32 v[38:39], s[40:41], v[2:3]
	v_mul_f64_e32 v[2:3], s[38:39], v[2:3]
	s_delay_alu instid0(VALU_DEP_2) | instskip(NEXT) | instid1(VALU_DEP_2)
	v_fma_f64 v[38:39], s[38:39], v[0:1], -v[38:39]
	v_fmac_f64_e32 v[2:3], s[40:41], v[0:1]
	s_delay_alu instid0(VALU_DEP_2) | instskip(NEXT) | instid1(VALU_DEP_2)
	v_add_f64_e32 v[0:1], v[22:23], v[38:39]
	v_add_f64_e32 v[2:3], v[36:37], v[2:3]
	v_add_nc_u64_e32 v[22:23], s[22:23], v[40:41]
	v_mul_f64_e32 v[38:39], s[8:9], v[80:81]
	v_mul_f64_e32 v[40:41], s[6:7], v[80:81]
	s_delay_alu instid0(VALU_DEP_3)
	v_add_nc_u64_e32 v[36:37], v[22:23], v[6:7]
	v_add_nc_u64_e32 v[22:23], s[22:23], v[22:23]
	flat_store_b128 v[36:37], v[0:3]
	flat_load_b128 v[0:3], v[20:21] offset:256
	v_fma_f64 v[38:39], s[6:7], v[76:77], -v[38:39]
	v_fmac_f64_e32 v[40:41], s[8:9], v[76:77]
	s_wait_loadcnt_dscnt 0x0
	v_mul_f64_e32 v[42:43], s[40:41], v[2:3]
	v_mul_f64_e32 v[2:3], s[38:39], v[2:3]
	s_delay_alu instid0(VALU_DEP_2) | instskip(NEXT) | instid1(VALU_DEP_2)
	v_fma_f64 v[42:43], s[38:39], v[0:1], -v[42:43]
	v_fmac_f64_e32 v[2:3], s[40:41], v[0:1]
	s_delay_alu instid0(VALU_DEP_2) | instskip(NEXT) | instid1(VALU_DEP_2)
	v_add_f64_e32 v[0:1], v[38:39], v[42:43]
	v_add_f64_e32 v[2:3], v[40:41], v[2:3]
	v_mul_f64_e32 v[38:39], s[8:9], v[72:73]
	v_mul_f64_e32 v[40:41], s[6:7], v[72:73]
	flat_store_b128 v[36:37], v[0:3] offset:256
	flat_load_b128 v[0:3], v[20:21] offset:512
	v_fma_f64 v[38:39], s[6:7], v[68:69], -v[38:39]
	v_fmac_f64_e32 v[40:41], s[8:9], v[68:69]
	s_wait_loadcnt_dscnt 0x0
	v_mul_f64_e32 v[42:43], s[40:41], v[2:3]
	v_mul_f64_e32 v[2:3], s[38:39], v[2:3]
	s_delay_alu instid0(VALU_DEP_2) | instskip(NEXT) | instid1(VALU_DEP_2)
	v_fma_f64 v[42:43], s[38:39], v[0:1], -v[42:43]
	v_fmac_f64_e32 v[2:3], s[40:41], v[0:1]
	s_delay_alu instid0(VALU_DEP_2) | instskip(NEXT) | instid1(VALU_DEP_2)
	v_add_f64_e32 v[0:1], v[38:39], v[42:43]
	v_add_f64_e32 v[2:3], v[40:41], v[2:3]
	v_mul_f64_e32 v[38:39], s[6:7], v[60:61]
	flat_store_b128 v[36:37], v[0:3] offset:512
	flat_load_b128 v[0:3], v[20:21] offset:768
	s_wait_xcnt 0x0
	v_mul_f64_e32 v[20:21], s[8:9], v[60:61]
	v_fmac_f64_e32 v[38:39], s[8:9], v[56:57]
	s_delay_alu instid0(VALU_DEP_2) | instskip(SKIP_3) | instid1(VALU_DEP_2)
	v_fma_f64 v[20:21], s[6:7], v[56:57], -v[20:21]
	s_wait_loadcnt_dscnt 0x0
	v_mul_f64_e32 v[40:41], s[40:41], v[2:3]
	v_mul_f64_e32 v[2:3], s[38:39], v[2:3]
	v_fma_f64 v[40:41], s[38:39], v[0:1], -v[40:41]
	s_delay_alu instid0(VALU_DEP_2) | instskip(NEXT) | instid1(VALU_DEP_2)
	v_fmac_f64_e32 v[2:3], s[40:41], v[0:1]
	v_add_f64_e32 v[0:1], v[20:21], v[40:41]
	s_delay_alu instid0(VALU_DEP_2) | instskip(SKIP_3) | instid1(VALU_DEP_1)
	v_add_f64_e32 v[2:3], v[38:39], v[2:3]
	v_add_nc_u64_e32 v[20:21], v[4:5], v[6:7]
	v_mul_f64_e32 v[38:39], s[6:7], v[82:83]
	v_add_nc_u64_e32 v[4:5], s[20:21], v[4:5]
	v_add_nc_u64_e32 v[4:5], v[4:5], v[6:7]
	flat_store_b128 v[36:37], v[0:3] offset:768
	flat_load_b128 v[0:3], v[20:21]
	v_mul_f64_e32 v[36:37], s[8:9], v[82:83]
	v_fmac_f64_e32 v[38:39], s[8:9], v[78:79]
	s_delay_alu instid0(VALU_DEP_2) | instskip(SKIP_3) | instid1(VALU_DEP_2)
	v_fma_f64 v[36:37], s[6:7], v[78:79], -v[36:37]
	s_wait_loadcnt_dscnt 0x0
	v_mul_f64_e32 v[40:41], s[40:41], v[2:3]
	v_mul_f64_e32 v[2:3], s[38:39], v[2:3]
	v_fma_f64 v[40:41], s[38:39], v[0:1], -v[40:41]
	s_delay_alu instid0(VALU_DEP_2) | instskip(NEXT) | instid1(VALU_DEP_2)
	v_fmac_f64_e32 v[2:3], s[40:41], v[0:1]
	v_add_f64_e32 v[0:1], v[36:37], v[40:41]
	s_delay_alu instid0(VALU_DEP_2)
	v_add_f64_e32 v[2:3], v[38:39], v[2:3]
	v_add_nc_u64_e32 v[36:37], v[22:23], v[6:7]
	v_mul_f64_e32 v[38:39], s[8:9], v[74:75]
	v_mul_f64_e32 v[40:41], s[6:7], v[74:75]
	flat_store_b128 v[36:37], v[0:3]
	flat_load_b128 v[0:3], v[20:21] offset:256
	v_fma_f64 v[38:39], s[6:7], v[70:71], -v[38:39]
	v_fmac_f64_e32 v[40:41], s[8:9], v[70:71]
	s_wait_loadcnt_dscnt 0x0
	v_mul_f64_e32 v[42:43], s[40:41], v[2:3]
	v_mul_f64_e32 v[2:3], s[38:39], v[2:3]
	s_delay_alu instid0(VALU_DEP_2) | instskip(NEXT) | instid1(VALU_DEP_2)
	v_fma_f64 v[42:43], s[38:39], v[0:1], -v[42:43]
	v_fmac_f64_e32 v[2:3], s[40:41], v[0:1]
	s_delay_alu instid0(VALU_DEP_2) | instskip(NEXT) | instid1(VALU_DEP_2)
	v_add_f64_e32 v[0:1], v[38:39], v[42:43]
	v_add_f64_e32 v[2:3], v[40:41], v[2:3]
	v_mul_f64_e32 v[38:39], s[8:9], v[62:63]
	v_mul_f64_e32 v[40:41], s[6:7], v[62:63]
	flat_store_b128 v[36:37], v[0:3] offset:256
	flat_load_b128 v[0:3], v[20:21] offset:512
	v_fma_f64 v[38:39], s[6:7], v[58:59], -v[38:39]
	v_fmac_f64_e32 v[40:41], s[8:9], v[58:59]
	s_wait_loadcnt_dscnt 0x0
	v_mul_f64_e32 v[42:43], s[40:41], v[2:3]
	v_mul_f64_e32 v[2:3], s[38:39], v[2:3]
	s_delay_alu instid0(VALU_DEP_2) | instskip(NEXT) | instid1(VALU_DEP_2)
	v_fma_f64 v[42:43], s[38:39], v[0:1], -v[42:43]
	v_fmac_f64_e32 v[2:3], s[40:41], v[0:1]
	s_delay_alu instid0(VALU_DEP_2) | instskip(NEXT) | instid1(VALU_DEP_2)
	v_add_f64_e32 v[0:1], v[38:39], v[42:43]
	v_add_f64_e32 v[2:3], v[40:41], v[2:3]
	v_mul_f64_e32 v[38:39], s[6:7], v[54:55]
	flat_store_b128 v[36:37], v[0:3] offset:512
	flat_load_b128 v[0:3], v[20:21] offset:768
	s_wait_xcnt 0x0
	v_mul_f64_e32 v[20:21], s[8:9], v[54:55]
	v_fmac_f64_e32 v[38:39], s[8:9], v[50:51]
	s_delay_alu instid0(VALU_DEP_2) | instskip(SKIP_3) | instid1(VALU_DEP_2)
	v_fma_f64 v[20:21], s[6:7], v[50:51], -v[20:21]
	s_wait_loadcnt_dscnt 0x0
	v_mul_f64_e32 v[40:41], s[40:41], v[2:3]
	v_mul_f64_e32 v[2:3], s[38:39], v[2:3]
	v_fma_f64 v[40:41], s[38:39], v[0:1], -v[40:41]
	s_delay_alu instid0(VALU_DEP_2) | instskip(NEXT) | instid1(VALU_DEP_2)
	v_fmac_f64_e32 v[2:3], s[40:41], v[0:1]
	v_add_f64_e32 v[0:1], v[20:21], v[40:41]
	s_delay_alu instid0(VALU_DEP_2)
	v_add_f64_e32 v[2:3], v[38:39], v[2:3]
	v_mul_f64_e32 v[20:21], s[8:9], v[18:19]
	v_mul_f64_e32 v[18:19], s[6:7], v[18:19]
	flat_store_b128 v[36:37], v[0:3] offset:768
	flat_load_b128 v[0:3], v[4:5]
	v_fma_f64 v[20:21], s[6:7], v[16:17], -v[20:21]
	v_fmac_f64_e32 v[18:19], s[8:9], v[16:17]
	s_wait_loadcnt_dscnt 0x0
	v_mul_f64_e32 v[36:37], s[40:41], v[2:3]
	v_mul_f64_e32 v[2:3], s[38:39], v[2:3]
	s_delay_alu instid0(VALU_DEP_2) | instskip(NEXT) | instid1(VALU_DEP_2)
	v_fma_f64 v[16:17], s[38:39], v[0:1], -v[36:37]
	v_fmac_f64_e32 v[2:3], s[40:41], v[0:1]
	s_delay_alu instid0(VALU_DEP_2) | instskip(NEXT) | instid1(VALU_DEP_2)
	v_add_f64_e32 v[0:1], v[20:21], v[16:17]
	v_add_f64_e32 v[2:3], v[18:19], v[2:3]
	v_add_nc_u64_e32 v[16:17], s[22:23], v[22:23]
	s_delay_alu instid0(VALU_DEP_1)
	v_add_nc_u64_e32 v[6:7], v[16:17], v[6:7]
	v_mul_f64_e32 v[16:17], s[8:9], v[14:15]
	v_mul_f64_e32 v[14:15], s[6:7], v[14:15]
	flat_store_b128 v[6:7], v[0:3]
	flat_load_b128 v[0:3], v[4:5] offset:256
	v_fma_f64 v[16:17], s[6:7], v[12:13], -v[16:17]
	v_fmac_f64_e32 v[14:15], s[8:9], v[12:13]
	s_wait_loadcnt_dscnt 0x0
	v_mul_f64_e32 v[18:19], s[40:41], v[2:3]
	v_mul_f64_e32 v[2:3], s[38:39], v[2:3]
	s_delay_alu instid0(VALU_DEP_2) | instskip(NEXT) | instid1(VALU_DEP_2)
	v_fma_f64 v[12:13], s[38:39], v[0:1], -v[18:19]
	v_fmac_f64_e32 v[2:3], s[40:41], v[0:1]
	s_delay_alu instid0(VALU_DEP_2) | instskip(NEXT) | instid1(VALU_DEP_2)
	v_add_f64_e32 v[0:1], v[16:17], v[12:13]
	v_add_f64_e32 v[2:3], v[14:15], v[2:3]
	v_mul_f64_e32 v[12:13], s[8:9], v[10:11]
	v_mul_f64_e32 v[10:11], s[6:7], v[10:11]
	flat_store_b128 v[6:7], v[0:3] offset:256
	flat_load_b128 v[0:3], v[4:5] offset:512
	v_fma_f64 v[12:13], s[6:7], v[8:9], -v[12:13]
	v_fmac_f64_e32 v[10:11], s[8:9], v[8:9]
	s_wait_loadcnt_dscnt 0x0
	v_mul_f64_e32 v[14:15], s[40:41], v[2:3]
	v_mul_f64_e32 v[2:3], s[38:39], v[2:3]
	s_delay_alu instid0(VALU_DEP_2) | instskip(NEXT) | instid1(VALU_DEP_2)
	v_fma_f64 v[8:9], s[38:39], v[0:1], -v[14:15]
	v_fmac_f64_e32 v[2:3], s[40:41], v[0:1]
	s_delay_alu instid0(VALU_DEP_2) | instskip(NEXT) | instid1(VALU_DEP_2)
	v_add_f64_e32 v[0:1], v[12:13], v[8:9]
	v_add_f64_e32 v[2:3], v[10:11], v[2:3]
	v_mul_f64_e32 v[8:9], s[6:7], v[90:91]
	flat_store_b128 v[6:7], v[0:3] offset:512
	flat_load_b128 v[0:3], v[4:5] offset:768
	s_wait_xcnt 0x0
	v_mul_f64_e32 v[4:5], s[8:9], v[90:91]
	v_fmac_f64_e32 v[8:9], s[8:9], v[88:89]
	s_delay_alu instid0(VALU_DEP_2) | instskip(SKIP_3) | instid1(VALU_DEP_2)
	v_fma_f64 v[4:5], s[6:7], v[88:89], -v[4:5]
	s_wait_loadcnt_dscnt 0x0
	v_mul_f64_e32 v[10:11], s[40:41], v[2:3]
	v_mul_f64_e32 v[2:3], s[38:39], v[2:3]
	v_fma_f64 v[10:11], s[38:39], v[0:1], -v[10:11]
	s_delay_alu instid0(VALU_DEP_2) | instskip(NEXT) | instid1(VALU_DEP_2)
	v_fmac_f64_e32 v[2:3], s[40:41], v[0:1]
	v_add_f64_e32 v[0:1], v[4:5], v[10:11]
	s_delay_alu instid0(VALU_DEP_2)
	v_add_f64_e32 v[2:3], v[8:9], v[2:3]
	v_add_nc_u64_e32 v[4:5], 0x300, v[6:7]
	flat_store_b64 v[6:7], v[0:1] offset:768
	s_branch .LBB259_2
.LBB259_11:
	s_sendmsg sendmsg(MSG_DEALLOC_VGPRS)
	s_endpgm
	.section	.rodata,"a",@progbits
	.p2align	6, 0x0
	.amdhsa_kernel _ZN12_GLOBAL__N_127rocblas_gemm_batched_kernelI19rocblas_complex_numIdELi16ELi16ELi64ELi64ELi4ELi64ELi4ELi4ELi64ELc84ELc67EKPKS2_S5_KPS2_EEvlllT_PT11_llSA_llS8_PT12_llPT13_lli
		.amdhsa_group_segment_fixed_size 8192
		.amdhsa_private_segment_fixed_size 0
		.amdhsa_kernarg_size 156
		.amdhsa_user_sgpr_count 2
		.amdhsa_user_sgpr_dispatch_ptr 0
		.amdhsa_user_sgpr_queue_ptr 0
		.amdhsa_user_sgpr_kernarg_segment_ptr 1
		.amdhsa_user_sgpr_dispatch_id 0
		.amdhsa_user_sgpr_kernarg_preload_length 0
		.amdhsa_user_sgpr_kernarg_preload_offset 0
		.amdhsa_user_sgpr_private_segment_size 0
		.amdhsa_wavefront_size32 1
		.amdhsa_uses_dynamic_stack 0
		.amdhsa_enable_private_segment 0
		.amdhsa_system_sgpr_workgroup_id_x 1
		.amdhsa_system_sgpr_workgroup_id_y 1
		.amdhsa_system_sgpr_workgroup_id_z 1
		.amdhsa_system_sgpr_workgroup_info 0
		.amdhsa_system_vgpr_workitem_id 1
		.amdhsa_next_free_vgpr 154
		.amdhsa_next_free_sgpr 52
		.amdhsa_named_barrier_count 0
		.amdhsa_reserve_vcc 1
		.amdhsa_float_round_mode_32 0
		.amdhsa_float_round_mode_16_64 0
		.amdhsa_float_denorm_mode_32 3
		.amdhsa_float_denorm_mode_16_64 3
		.amdhsa_fp16_overflow 0
		.amdhsa_memory_ordered 1
		.amdhsa_forward_progress 1
		.amdhsa_inst_pref_size 45
		.amdhsa_round_robin_scheduling 0
		.amdhsa_exception_fp_ieee_invalid_op 0
		.amdhsa_exception_fp_denorm_src 0
		.amdhsa_exception_fp_ieee_div_zero 0
		.amdhsa_exception_fp_ieee_overflow 0
		.amdhsa_exception_fp_ieee_underflow 0
		.amdhsa_exception_fp_ieee_inexact 0
		.amdhsa_exception_int_div_zero 0
	.end_amdhsa_kernel
	.section	.text._ZN12_GLOBAL__N_127rocblas_gemm_batched_kernelI19rocblas_complex_numIdELi16ELi16ELi64ELi64ELi4ELi64ELi4ELi4ELi64ELc84ELc67EKPKS2_S5_KPS2_EEvlllT_PT11_llSA_llS8_PT12_llPT13_lli,"axG",@progbits,_ZN12_GLOBAL__N_127rocblas_gemm_batched_kernelI19rocblas_complex_numIdELi16ELi16ELi64ELi64ELi4ELi64ELi4ELi4ELi64ELc84ELc67EKPKS2_S5_KPS2_EEvlllT_PT11_llSA_llS8_PT12_llPT13_lli,comdat
.Lfunc_end259:
	.size	_ZN12_GLOBAL__N_127rocblas_gemm_batched_kernelI19rocblas_complex_numIdELi16ELi16ELi64ELi64ELi4ELi64ELi4ELi4ELi64ELc84ELc67EKPKS2_S5_KPS2_EEvlllT_PT11_llSA_llS8_PT12_llPT13_lli, .Lfunc_end259-_ZN12_GLOBAL__N_127rocblas_gemm_batched_kernelI19rocblas_complex_numIdELi16ELi16ELi64ELi64ELi4ELi64ELi4ELi4ELi64ELc84ELc67EKPKS2_S5_KPS2_EEvlllT_PT11_llSA_llS8_PT12_llPT13_lli
                                        ; -- End function
	.set _ZN12_GLOBAL__N_127rocblas_gemm_batched_kernelI19rocblas_complex_numIdELi16ELi16ELi64ELi64ELi4ELi64ELi4ELi4ELi64ELc84ELc67EKPKS2_S5_KPS2_EEvlllT_PT11_llSA_llS8_PT12_llPT13_lli.num_vgpr, 154
	.set _ZN12_GLOBAL__N_127rocblas_gemm_batched_kernelI19rocblas_complex_numIdELi16ELi16ELi64ELi64ELi4ELi64ELi4ELi4ELi64ELc84ELc67EKPKS2_S5_KPS2_EEvlllT_PT11_llSA_llS8_PT12_llPT13_lli.num_agpr, 0
	.set _ZN12_GLOBAL__N_127rocblas_gemm_batched_kernelI19rocblas_complex_numIdELi16ELi16ELi64ELi64ELi4ELi64ELi4ELi4ELi64ELc84ELc67EKPKS2_S5_KPS2_EEvlllT_PT11_llSA_llS8_PT12_llPT13_lli.numbered_sgpr, 52
	.set _ZN12_GLOBAL__N_127rocblas_gemm_batched_kernelI19rocblas_complex_numIdELi16ELi16ELi64ELi64ELi4ELi64ELi4ELi4ELi64ELc84ELc67EKPKS2_S5_KPS2_EEvlllT_PT11_llSA_llS8_PT12_llPT13_lli.num_named_barrier, 0
	.set _ZN12_GLOBAL__N_127rocblas_gemm_batched_kernelI19rocblas_complex_numIdELi16ELi16ELi64ELi64ELi4ELi64ELi4ELi4ELi64ELc84ELc67EKPKS2_S5_KPS2_EEvlllT_PT11_llSA_llS8_PT12_llPT13_lli.private_seg_size, 0
	.set _ZN12_GLOBAL__N_127rocblas_gemm_batched_kernelI19rocblas_complex_numIdELi16ELi16ELi64ELi64ELi4ELi64ELi4ELi4ELi64ELc84ELc67EKPKS2_S5_KPS2_EEvlllT_PT11_llSA_llS8_PT12_llPT13_lli.uses_vcc, 1
	.set _ZN12_GLOBAL__N_127rocblas_gemm_batched_kernelI19rocblas_complex_numIdELi16ELi16ELi64ELi64ELi4ELi64ELi4ELi4ELi64ELc84ELc67EKPKS2_S5_KPS2_EEvlllT_PT11_llSA_llS8_PT12_llPT13_lli.uses_flat_scratch, 1
	.set _ZN12_GLOBAL__N_127rocblas_gemm_batched_kernelI19rocblas_complex_numIdELi16ELi16ELi64ELi64ELi4ELi64ELi4ELi4ELi64ELc84ELc67EKPKS2_S5_KPS2_EEvlllT_PT11_llSA_llS8_PT12_llPT13_lli.has_dyn_sized_stack, 0
	.set _ZN12_GLOBAL__N_127rocblas_gemm_batched_kernelI19rocblas_complex_numIdELi16ELi16ELi64ELi64ELi4ELi64ELi4ELi4ELi64ELc84ELc67EKPKS2_S5_KPS2_EEvlllT_PT11_llSA_llS8_PT12_llPT13_lli.has_recursion, 0
	.set _ZN12_GLOBAL__N_127rocblas_gemm_batched_kernelI19rocblas_complex_numIdELi16ELi16ELi64ELi64ELi4ELi64ELi4ELi4ELi64ELc84ELc67EKPKS2_S5_KPS2_EEvlllT_PT11_llSA_llS8_PT12_llPT13_lli.has_indirect_call, 0
	.section	.AMDGPU.csdata,"",@progbits
; Kernel info:
; codeLenInByte = 5704
; TotalNumSgprs: 54
; NumVgprs: 154
; ScratchSize: 0
; MemoryBound: 0
; FloatMode: 240
; IeeeMode: 1
; LDSByteSize: 8192 bytes/workgroup (compile time only)
; SGPRBlocks: 0
; VGPRBlocks: 9
; NumSGPRsForWavesPerEU: 54
; NumVGPRsForWavesPerEU: 154
; NamedBarCnt: 0
; Occupancy: 6
; WaveLimiterHint : 1
; COMPUTE_PGM_RSRC2:SCRATCH_EN: 0
; COMPUTE_PGM_RSRC2:USER_SGPR: 2
; COMPUTE_PGM_RSRC2:TRAP_HANDLER: 0
; COMPUTE_PGM_RSRC2:TGID_X_EN: 1
; COMPUTE_PGM_RSRC2:TGID_Y_EN: 1
; COMPUTE_PGM_RSRC2:TGID_Z_EN: 1
; COMPUTE_PGM_RSRC2:TIDIG_COMP_CNT: 1
	.section	.text._ZN12_GLOBAL__N_127rocblas_gemm_batched_kernelI19rocblas_complex_numIdELi16ELi16ELi32ELi32ELi8ELi32ELi8ELi8ELi32ELc78ELc78EKPKS2_S5_KPS2_EEvlllT_PT11_llSA_llS8_PT12_llPT13_lli,"axG",@progbits,_ZN12_GLOBAL__N_127rocblas_gemm_batched_kernelI19rocblas_complex_numIdELi16ELi16ELi32ELi32ELi8ELi32ELi8ELi8ELi32ELc78ELc78EKPKS2_S5_KPS2_EEvlllT_PT11_llSA_llS8_PT12_llPT13_lli,comdat
	.globl	_ZN12_GLOBAL__N_127rocblas_gemm_batched_kernelI19rocblas_complex_numIdELi16ELi16ELi32ELi32ELi8ELi32ELi8ELi8ELi32ELc78ELc78EKPKS2_S5_KPS2_EEvlllT_PT11_llSA_llS8_PT12_llPT13_lli ; -- Begin function _ZN12_GLOBAL__N_127rocblas_gemm_batched_kernelI19rocblas_complex_numIdELi16ELi16ELi32ELi32ELi8ELi32ELi8ELi8ELi32ELc78ELc78EKPKS2_S5_KPS2_EEvlllT_PT11_llSA_llS8_PT12_llPT13_lli
	.p2align	8
	.type	_ZN12_GLOBAL__N_127rocblas_gemm_batched_kernelI19rocblas_complex_numIdELi16ELi16ELi32ELi32ELi8ELi32ELi8ELi8ELi32ELc78ELc78EKPKS2_S5_KPS2_EEvlllT_PT11_llSA_llS8_PT12_llPT13_lli,@function
_ZN12_GLOBAL__N_127rocblas_gemm_batched_kernelI19rocblas_complex_numIdELi16ELi16ELi32ELi32ELi8ELi32ELi8ELi8ELi32ELc78ELc78EKPKS2_S5_KPS2_EEvlllT_PT11_llSA_llS8_PT12_llPT13_lli: ; @_ZN12_GLOBAL__N_127rocblas_gemm_batched_kernelI19rocblas_complex_numIdELi16ELi16ELi32ELi32ELi8ELi32ELi8ELi8ELi32ELc78ELc78EKPKS2_S5_KPS2_EEvlllT_PT11_llSA_llS8_PT12_llPT13_lli
; %bb.0:
	s_load_b32 s26, s[0:1], 0x98
	s_bfe_u32 s2, ttmp6, 0x40014
	s_lshr_b32 s3, ttmp7, 16
	s_add_co_i32 s2, s2, 1
	s_bfe_u32 s4, ttmp6, 0x40008
	s_mul_i32 s2, s3, s2
	s_getreg_b32 s20, hwreg(HW_REG_IB_STS2, 6, 4)
	s_add_co_i32 s4, s4, s2
	s_cmp_eq_u32 s20, 0
	s_cselect_b32 s2, s3, s4
	s_mov_b32 s3, 0
	s_wait_kmcnt 0x0
	s_cmp_ge_i32 s2, s26
	s_cbranch_scc1 .LBB260_11
; %bb.1:
	v_bfe_u32 v56, v0, 10, 10
	v_and_b32_e32 v2, 0x3ff, v0
	s_bfe_u32 s22, ttmp6, 0x4000c
	s_bfe_u32 s23, ttmp6, 0x40010
	s_clause 0x1
	s_load_b512 s[4:19], s[0:1], 0x10
	s_load_b512 s[36:51], s[0:1], 0x50
	s_add_co_i32 s22, s22, 1
	s_and_b32 s24, ttmp7, 0xffff
	s_add_co_i32 s23, s23, 1
	v_lshl_add_u32 v1, v56, 4, v2
	v_mov_b32_e32 v57, 0
	s_and_b32 s21, ttmp6, 15
	s_mul_i32 s22, ttmp9, s22
	s_mul_i32 s23, s24, s23
	s_bfe_u32 s25, ttmp6, 0x40004
	s_add_co_i32 s21, s21, s22
	s_add_co_i32 s25, s25, s23
	s_cmp_eq_u32 s20, 0
	v_dual_mov_b32 v5, v57 :: v_dual_lshrrev_b32 v4, 3, v1
	v_lshlrev_b32_e32 v3, 4, v0
	s_cselect_b32 s22, s24, s25
	s_cselect_b32 s20, ttmp9, s21
	s_lshl_b32 s22, s22, 5
	s_mov_b32 s23, s3
	s_ashr_i32 s21, s20, 31
	v_add_nc_u64_e32 v[6:7], s[22:23], v[4:5]
	v_dual_lshrrev_b32 v5, 5, v1 :: v_dual_bitop2_b32 v0, 31, v1 bitop3:0x40
	s_lshl_b64 s[20:21], s[20:21], 5
	v_add_nc_u64_e32 v[10:11], s[22:23], v[56:57]
	s_wait_kmcnt 0x0
	v_cmp_eq_f64_e64 s24, s[38:39], 0
	v_mad_nc_u64_u32 v[8:9], s12, v5, s[20:21]
	v_mul_u64_e32 v[6:7], s[18:19], v[6:7]
	v_cmp_eq_f64_e64 s25, s[40:41], 0
	v_mov_b32_e32 v1, v57
	s_load_b64 s[22:23], s[0:1], 0x90
	v_mul_u64_e32 v[58:59], s[50:51], v[10:11]
	v_mul_u64_e32 v[60:61], s[44:45], v[10:11]
	v_and_b32_e32 v10, 0x70, v3
	v_dual_mov_b32 v3, v57 :: v_dual_lshlrev_b32 v11, 4, v0
	v_lshlrev_b32_e32 v92, 4, v2
	v_mad_u32 v9, s13, v5, v9
	s_delay_alu instid0(VALU_DEP_4)
	v_lshl_or_b32 v4, v4, 7, v10
	s_wait_xcnt 0x0
	v_cmp_gt_i64_e64 s0, s[4:5], 0
	s_lshl_b64 s[18:19], s[36:37], 4
	v_add_nc_u64_e32 v[62:63], s[20:21], v[2:3]
	v_lshl_or_b32 v93, v5, 9, v11
	v_dual_mov_b32 v11, v57 :: v_dual_add_nc_u32 v94, 0x1000, v4
	v_lshl_add_u32 v56, v56, 7, 0x1000
	v_cndmask_b32_e64 v4, 0, 1, s0
	s_lshl_b64 s[20:21], s[44:45], 4
	v_add_nc_u64_e32 v[0:1], v[8:9], v[0:1]
	s_lshl_b64 s[12:13], s[12:13], 7
	s_delay_alu instid0(VALU_DEP_2) | instskip(NEXT) | instid1(VALU_DEP_2)
	v_cmp_ne_u32_e64 s0, 1, v4
	v_lshlrev_b64_e32 v[0:1], 4, v[0:1]
	v_lshl_add_u64 v[2:3], v[6:7], 4, s[18:19]
	s_and_b32 s1, s24, s25
	s_lshl_b64 s[18:19], s[50:51], 4
	s_delay_alu instid0(VALU_DEP_2)
	v_lshl_add_u64 v[66:67], s[14:15], 4, v[0:1]
	s_wait_kmcnt 0x0
	s_lshl_b64 s[14:15], s[22:23], 4
	v_add_nc_u64_e32 v[64:65], v[2:3], v[10:11]
	s_lshl_b64 s[22:23], s[46:47], 4
	s_branch .LBB260_3
.LBB260_2:                              ;   in Loop: Header=BB260_3 Depth=1
	s_add_co_i32 s2, s2, 0x10000
	flat_store_b64 v[4:5], v[2:3] offset:8
	s_cmp_lt_i32 s2, s26
	s_cbranch_scc0 .LBB260_11
.LBB260_3:                              ; =>This Loop Header: Depth=1
                                        ;     Child Loop BB260_5 Depth 2
	s_wait_xcnt 0x1
	v_mov_b32_e32 v0, s2
	s_and_b32 vcc_lo, exec_lo, s0
	s_clause 0x1
	global_load_b64 v[68:69], v0, s[42:43] scale_offset
	global_load_b64 v[74:75], v0, s[48:49] scale_offset
	s_cbranch_vccnz .LBB260_8
; %bb.4:                                ;   in Loop: Header=BB260_3 Depth=1
	s_lshl_b64 s[24:25], s[2:3], 3
	v_mov_b64_e32 v[72:73], 0
	s_add_nc_u64 s[28:29], s[10:11], s[24:25]
	s_add_nc_u64 s[24:25], s[16:17], s[24:25]
	s_clause 0x1
	global_load_b64 v[0:1], v57, s[28:29]
	global_load_b64 v[2:3], v57, s[24:25]
	v_mov_b64_e32 v[70:71], 0
	v_mov_b64_e32 v[78:79], 0
	;; [unrolled: 1-line block ×7, first 2 shown]
	s_wait_xcnt 0x0
	s_mov_b64 s[24:25], 0
	s_wait_loadcnt 0x1
	v_add_nc_u64_e32 v[86:87], v[0:1], v[66:67]
	s_wait_loadcnt 0x0
	v_add_nc_u64_e32 v[88:89], v[2:3], v[64:65]
.LBB260_5:                              ;   Parent Loop BB260_3 Depth=1
                                        ; =>  This Inner Loop Header: Depth=2
	flat_load_b128 v[0:3], v[86:87]
	flat_load_b128 v[4:7], v[88:89]
	s_add_nc_u64 s[24:25], s[24:25], 8
	s_wait_xcnt 0x1
	v_add_nc_u64_e32 v[86:87], s[12:13], v[86:87]
	v_cmp_lt_i64_e64 s27, s[24:25], s[4:5]
	s_wait_xcnt 0x0
	v_add_nc_u64_e32 v[88:89], 0x80, v[88:89]
	s_wait_loadcnt_dscnt 0x101
	ds_store_2addr_b64 v93, v[0:1], v[2:3] offset1:1
	s_wait_loadcnt_dscnt 0x1
	ds_store_2addr_b64 v94, v[4:5], v[6:7] offset1:1
	s_wait_dscnt 0x0
	s_barrier_signal -1
	s_barrier_wait -1
	ds_load_b128 v[0:3], v92
	ds_load_b128 v[8:11], v92 offset:256
	ds_load_b128 v[12:15], v56
	ds_load_b128 v[4:7], v56 offset:16
	ds_load_b128 v[16:19], v56 offset:2048
	;; [unrolled: 1-line block ×28, first 2 shown]
	s_wait_dscnt 0x1c
	v_mul_f64_e32 v[164:165], v[14:15], v[2:3]
	v_mul_f64_e32 v[166:167], v[12:13], v[2:3]
	;; [unrolled: 1-line block ×4, first 2 shown]
	s_wait_dscnt 0x1a
	v_mul_f64_e32 v[172:173], v[18:19], v[2:3]
	v_mul_f64_e32 v[2:3], v[16:17], v[2:3]
	;; [unrolled: 1-line block ×4, first 2 shown]
	s_wait_dscnt 0x18
	v_mul_f64_e32 v[176:177], v[6:7], v[26:27]
	v_mul_f64_e32 v[178:179], v[4:5], v[26:27]
	s_wait_dscnt 0x17
	v_mul_f64_e32 v[180:181], v[6:7], v[34:35]
	v_mul_f64_e32 v[182:183], v[4:5], v[34:35]
	;; [unrolled: 1-line block ×6, first 2 shown]
	s_wait_dscnt 0x14
	v_mul_f64_e32 v[188:189], v[38:39], v[42:43]
	v_mul_f64_e32 v[190:191], v[36:37], v[42:43]
	s_wait_dscnt 0x13
	v_mul_f64_e32 v[192:193], v[38:39], v[46:47]
	v_mul_f64_e32 v[194:195], v[36:37], v[46:47]
	s_and_b32 vcc_lo, exec_lo, s27
	v_fma_f64 v[164:165], v[12:13], v[0:1], -v[164:165]
	v_fmac_f64_e32 v[166:167], v[14:15], v[0:1]
	v_fma_f64 v[12:13], v[12:13], v[8:9], -v[168:169]
	v_fmac_f64_e32 v[170:171], v[14:15], v[8:9]
	v_fma_f64 v[168:169], v[16:17], v[0:1], -v[172:173]
	v_fmac_f64_e32 v[2:3], v[18:19], v[0:1]
	v_fma_f64 v[16:17], v[16:17], v[8:9], -v[174:175]
	v_fmac_f64_e32 v[10:11], v[18:19], v[8:9]
	s_wait_dscnt 0x12
	v_mul_f64_e32 v[14:15], v[50:51], v[42:43]
	v_mul_f64_e32 v[42:43], v[48:49], v[42:43]
	;; [unrolled: 1-line block ×4, first 2 shown]
	v_fma_f64 v[176:177], v[4:5], v[24:25], -v[176:177]
	v_fmac_f64_e32 v[178:179], v[6:7], v[24:25]
	v_fma_f64 v[4:5], v[4:5], v[32:33], -v[180:181]
	v_fmac_f64_e32 v[182:183], v[6:7], v[32:33]
	;; [unrolled: 2-line block ×4, first 2 shown]
	s_wait_dscnt 0x10
	v_mul_f64_e32 v[8:9], v[30:31], v[98:99]
	v_mul_f64_e32 v[18:19], v[28:29], v[98:99]
	s_wait_dscnt 0xf
	v_mul_f64_e32 v[172:173], v[30:31], v[102:103]
	v_mul_f64_e32 v[174:175], v[28:29], v[102:103]
	;; [unrolled: 1-line block ×6, first 2 shown]
	v_fmac_f64_e32 v[190:191], v[38:39], v[40:41]
	v_fmac_f64_e32 v[194:195], v[38:39], v[44:45]
	v_add_f64_e32 v[22:23], v[84:85], v[164:165]
	v_add_f64_e32 v[32:33], v[166:167], v[90:91]
	;; [unrolled: 1-line block ×8, first 2 shown]
	s_wait_dscnt 0xc
	v_mul_f64_e32 v[70:71], v[114:115], v[106:107]
	v_mul_f64_e32 v[72:73], v[112:113], v[106:107]
	s_wait_dscnt 0xa
	v_mul_f64_e32 v[84:85], v[122:123], v[106:107]
	v_mul_f64_e32 v[90:91], v[120:121], v[106:107]
	v_fma_f64 v[106:107], v[36:37], v[40:41], -v[188:189]
	v_fma_f64 v[36:37], v[36:37], v[44:45], -v[192:193]
	;; [unrolled: 1-line block ×3, first 2 shown]
	v_fmac_f64_e32 v[42:43], v[50:51], v[40:41]
	v_fma_f64 v[0:1], v[48:49], v[44:45], -v[0:1]
	v_fmac_f64_e32 v[46:47], v[50:51], v[44:45]
	v_mul_f64_e32 v[78:79], v[114:115], v[110:111]
	v_mul_f64_e32 v[82:83], v[112:113], v[110:111]
	v_fma_f64 v[8:9], v[28:29], v[96:97], -v[8:9]
	v_fmac_f64_e32 v[18:19], v[30:31], v[96:97]
	v_fma_f64 v[28:29], v[28:29], v[100:101], -v[172:173]
	v_fmac_f64_e32 v[174:175], v[30:31], v[100:101]
	;; [unrolled: 2-line block ×4, first 2 shown]
	s_wait_dscnt 0x8
	v_mul_f64_e32 v[40:41], v[116:117], v[130:131]
	s_wait_dscnt 0x7
	v_mul_f64_e32 v[44:45], v[118:119], v[134:135]
	v_mul_f64_e32 v[48:49], v[116:117], v[134:135]
	v_add_f64_e32 v[22:23], v[22:23], v[176:177]
	v_add_f64_e32 v[32:33], v[178:179], v[32:33]
	;; [unrolled: 1-line block ×8, first 2 shown]
	v_mul_f64_e32 v[20:21], v[122:123], v[110:111]
	v_mul_f64_e32 v[26:27], v[120:121], v[110:111]
	;; [unrolled: 1-line block ×3, first 2 shown]
	v_fma_f64 v[50:51], v[112:113], v[104:105], -v[70:71]
	v_fmac_f64_e32 v[72:73], v[114:115], v[104:105]
	v_fma_f64 v[54:55], v[120:121], v[104:105], -v[84:85]
	v_fmac_f64_e32 v[90:91], v[122:123], v[104:105]
	s_wait_dscnt 0x1
	v_mul_f64_e32 v[70:71], v[156:157], v[142:143]
	s_wait_dscnt 0x0
	v_mul_f64_e32 v[76:77], v[162:163], v[154:155]
	v_fma_f64 v[52:53], v[112:113], v[108:109], -v[78:79]
	v_fmac_f64_e32 v[82:83], v[114:115], v[108:109]
	v_mul_f64_e32 v[78:79], v[160:161], v[154:155]
	v_fmac_f64_e32 v[40:41], v[118:119], v[128:129]
	v_fma_f64 v[44:45], v[116:117], v[132:133], -v[44:45]
	v_fmac_f64_e32 v[48:49], v[118:119], v[132:133]
	v_add_f64_e32 v[22:23], v[22:23], v[106:107]
	v_add_f64_e32 v[30:31], v[190:191], v[32:33]
	;; [unrolled: 1-line block ×8, first 2 shown]
	v_mul_f64_e32 v[16:17], v[126:127], v[130:131]
	v_mul_f64_e32 v[32:33], v[124:125], v[130:131]
	;; [unrolled: 1-line block ×4, first 2 shown]
	v_fma_f64 v[20:21], v[120:121], v[108:109], -v[20:21]
	v_fmac_f64_e32 v[26:27], v[122:123], v[108:109]
	v_mul_f64_e32 v[42:43], v[146:147], v[138:139]
	v_mul_f64_e32 v[46:47], v[144:145], v[138:139]
	v_fma_f64 v[34:35], v[116:117], v[128:129], -v[34:35]
	v_fmac_f64_e32 v[70:71], v[158:159], v[140:141]
	v_fmac_f64_e32 v[78:79], v[162:163], v[152:153]
	v_add_f64_e32 v[8:9], v[22:23], v[8:9]
	v_add_f64_e32 v[18:19], v[18:19], v[30:31]
	;; [unrolled: 1-line block ×8, first 2 shown]
	v_mul_f64_e32 v[14:15], v[146:147], v[142:143]
	v_mul_f64_e32 v[22:23], v[144:145], v[142:143]
	;; [unrolled: 1-line block ×5, first 2 shown]
	v_fma_f64 v[16:17], v[124:125], v[128:129], -v[16:17]
	v_fmac_f64_e32 v[32:33], v[126:127], v[128:129]
	v_fma_f64 v[36:37], v[124:125], v[132:133], -v[36:37]
	v_fmac_f64_e32 v[38:39], v[126:127], v[132:133]
	;; [unrolled: 2-line block ×3, first 2 shown]
	v_add_f64_e32 v[8:9], v[8:9], v[50:51]
	v_add_f64_e32 v[18:19], v[72:73], v[18:19]
	;; [unrolled: 1-line block ×8, first 2 shown]
	ds_load_b128 v[0:3], v92 offset:3840
	v_mul_f64_e32 v[26:27], v[150:151], v[154:155]
	v_mul_f64_e32 v[52:53], v[148:149], v[154:155]
	v_fma_f64 v[14:15], v[144:145], v[140:141], -v[14:15]
	v_fmac_f64_e32 v[22:23], v[146:147], v[140:141]
	v_fma_f64 v[24:25], v[156:157], v[136:137], -v[24:25]
	v_fmac_f64_e32 v[28:29], v[158:159], v[136:137]
	v_fma_f64 v[30:31], v[156:157], v[140:141], -v[30:31]
	s_wait_dscnt 0x0
	s_barrier_signal -1
	s_barrier_wait -1
	v_mul_f64_e32 v[54:55], v[150:151], v[2:3]
	v_mul_f64_e32 v[72:73], v[148:149], v[2:3]
	;; [unrolled: 1-line block ×4, first 2 shown]
	v_add_f64_e32 v[8:9], v[8:9], v[34:35]
	v_add_f64_e32 v[18:19], v[40:41], v[18:19]
	;; [unrolled: 1-line block ×8, first 2 shown]
	v_fma_f64 v[34:35], v[160:161], v[152:153], -v[76:77]
	v_fma_f64 v[26:27], v[148:149], v[152:153], -v[26:27]
	v_fmac_f64_e32 v[52:53], v[150:151], v[152:153]
	v_fma_f64 v[32:33], v[148:149], v[0:1], -v[54:55]
	v_fmac_f64_e32 v[72:73], v[150:151], v[0:1]
	;; [unrolled: 2-line block ×3, first 2 shown]
	v_add_f64_e32 v[0:1], v[8:9], v[42:43]
	v_add_f64_e32 v[8:9], v[46:47], v[18:19]
	;; [unrolled: 1-line block ×16, first 2 shown]
	s_cbranch_vccnz .LBB260_5
; %bb.6:                                ;   in Loop: Header=BB260_3 Depth=1
	v_add_nc_u64_e32 v[0:1], s[14:15], v[74:75]
	s_and_not1_b32 vcc_lo, exec_lo, s1
	s_mov_b32 s24, -1
                                        ; implicit-def: $vgpr2_vgpr3
                                        ; implicit-def: $vgpr4_vgpr5
	s_cbranch_vccnz .LBB260_9
.LBB260_7:                              ;   in Loop: Header=BB260_3 Depth=1
	v_mul_f64_e32 v[4:5], s[8:9], v[90:91]
	v_mul_f64_e32 v[8:9], s[6:7], v[90:91]
	s_delay_alu instid0(VALU_DEP_4)
	v_mul_f64_e32 v[2:3], s[6:7], v[72:73]
	v_mul_f64_e32 v[10:11], s[8:9], v[82:83]
	;; [unrolled: 1-line block ×6, first 2 shown]
	v_lshlrev_b64_e32 v[20:21], 4, v[62:63]
	v_fma_f64 v[6:7], s[6:7], v[84:85], -v[4:5]
	v_fmac_f64_e32 v[8:9], s[8:9], v[84:85]
	v_fmac_f64_e32 v[2:3], s[8:9], v[70:71]
	v_fma_f64 v[10:11], s[6:7], v[80:81], -v[10:11]
	v_fmac_f64_e32 v[12:13], s[8:9], v[80:81]
	v_fma_f64 v[14:15], s[6:7], v[76:77], -v[14:15]
	;; [unrolled: 2-line block ×3, first 2 shown]
	v_lshl_add_u64 v[4:5], v[58:59], 4, v[0:1]
	s_delay_alu instid0(VALU_DEP_1) | instskip(NEXT) | instid1(VALU_DEP_1)
	v_lshl_add_u64 v[22:23], s[18:19], 4, v[4:5]
	v_add_nc_u64_e32 v[22:23], v[22:23], v[20:21]
	v_add_nc_u64_e32 v[20:21], v[4:5], v[20:21]
	s_clause 0x3
	flat_store_b128 v[20:21], v[6:9]
	flat_store_b128 v[20:21], v[10:13] offset:256
	flat_store_b128 v[22:23], v[14:17]
	flat_store_b64 v[22:23], v[18:19] offset:256
	v_add_nc_u64_e32 v[4:5], 0x100, v[22:23]
	s_cbranch_execnz .LBB260_2
	s_branch .LBB260_10
.LBB260_8:                              ;   in Loop: Header=BB260_3 Depth=1
	v_mov_b64_e32 v[84:85], 0
	v_mov_b64_e32 v[90:91], 0
	;; [unrolled: 1-line block ×8, first 2 shown]
	s_wait_loadcnt 0x0
	s_wait_xcnt 0x0
	v_add_nc_u64_e32 v[0:1], s[14:15], v[74:75]
	s_and_not1_b32 vcc_lo, exec_lo, s1
	s_mov_b32 s24, -1
                                        ; implicit-def: $vgpr2_vgpr3
                                        ; implicit-def: $vgpr4_vgpr5
	s_cbranch_vccz .LBB260_7
.LBB260_9:                              ;   in Loop: Header=BB260_3 Depth=1
	s_and_not1_b32 vcc_lo, exec_lo, s24
	s_cbranch_vccnz .LBB260_2
.LBB260_10:                             ;   in Loop: Header=BB260_3 Depth=1
	v_add_nc_u64_e32 v[2:3], s[22:23], v[68:69]
	s_wait_xcnt 0x3
	v_lshlrev_b64_e32 v[6:7], 4, v[62:63]
	s_wait_xcnt 0x2
	v_mul_f64_e32 v[12:13], s[8:9], v[90:91]
	s_wait_xcnt 0x1
	v_mul_f64_e32 v[14:15], s[6:7], v[90:91]
	v_lshl_add_u64 v[8:9], v[60:61], 4, v[2:3]
	s_delay_alu instid0(VALU_DEP_1)
	v_add_nc_u64_e32 v[10:11], v[8:9], v[6:7]
	flat_load_b128 v[2:5], v[10:11]
	v_fma_f64 v[12:13], s[6:7], v[84:85], -v[12:13]
	v_fmac_f64_e32 v[14:15], s[8:9], v[84:85]
	s_wait_loadcnt_dscnt 0x0
	v_mul_f64_e32 v[16:17], s[40:41], v[4:5]
	v_mul_f64_e32 v[4:5], s[38:39], v[4:5]
	s_delay_alu instid0(VALU_DEP_2) | instskip(NEXT) | instid1(VALU_DEP_2)
	v_fma_f64 v[16:17], s[38:39], v[2:3], -v[16:17]
	v_fmac_f64_e32 v[4:5], s[40:41], v[2:3]
	s_delay_alu instid0(VALU_DEP_2) | instskip(NEXT) | instid1(VALU_DEP_2)
	v_add_f64_e32 v[2:3], v[12:13], v[16:17]
	v_add_f64_e32 v[4:5], v[14:15], v[4:5]
	v_lshl_add_u64 v[12:13], v[58:59], 4, v[0:1]
	s_delay_alu instid0(VALU_DEP_1)
	v_add_nc_u64_e32 v[14:15], v[12:13], v[6:7]
	flat_store_b128 v[14:15], v[2:5]
	flat_load_b128 v[0:3], v[10:11] offset:256
	v_mul_f64_e32 v[4:5], s[8:9], v[82:83]
	s_wait_xcnt 0x0
	v_mul_f64_e32 v[10:11], s[6:7], v[82:83]
	s_delay_alu instid0(VALU_DEP_2) | instskip(NEXT) | instid1(VALU_DEP_2)
	v_fma_f64 v[4:5], s[6:7], v[80:81], -v[4:5]
	v_fmac_f64_e32 v[10:11], s[8:9], v[80:81]
	s_wait_loadcnt_dscnt 0x0
	v_mul_f64_e32 v[16:17], s[40:41], v[2:3]
	v_mul_f64_e32 v[2:3], s[38:39], v[2:3]
	s_delay_alu instid0(VALU_DEP_2) | instskip(NEXT) | instid1(VALU_DEP_2)
	v_fma_f64 v[16:17], s[38:39], v[0:1], -v[16:17]
	v_fmac_f64_e32 v[2:3], s[40:41], v[0:1]
	s_delay_alu instid0(VALU_DEP_2) | instskip(NEXT) | instid1(VALU_DEP_2)
	v_add_f64_e32 v[0:1], v[4:5], v[16:17]
	v_add_f64_e32 v[2:3], v[10:11], v[2:3]
	v_lshl_add_u64 v[4:5], s[20:21], 4, v[8:9]
	v_mul_f64_e32 v[8:9], s[8:9], v[78:79]
	v_mul_f64_e32 v[10:11], s[6:7], v[78:79]
	s_delay_alu instid0(VALU_DEP_3)
	v_add_nc_u64_e32 v[4:5], v[4:5], v[6:7]
	flat_store_b128 v[14:15], v[0:3] offset:256
	flat_load_b128 v[0:3], v[4:5]
	v_fma_f64 v[8:9], s[6:7], v[76:77], -v[8:9]
	v_fmac_f64_e32 v[10:11], s[8:9], v[76:77]
	s_wait_loadcnt_dscnt 0x0
	v_mul_f64_e32 v[14:15], s[40:41], v[2:3]
	v_mul_f64_e32 v[2:3], s[38:39], v[2:3]
	s_delay_alu instid0(VALU_DEP_2) | instskip(NEXT) | instid1(VALU_DEP_2)
	v_fma_f64 v[14:15], s[38:39], v[0:1], -v[14:15]
	v_fmac_f64_e32 v[2:3], s[40:41], v[0:1]
	s_delay_alu instid0(VALU_DEP_2) | instskip(NEXT) | instid1(VALU_DEP_2)
	v_add_f64_e32 v[0:1], v[8:9], v[14:15]
	v_add_f64_e32 v[2:3], v[10:11], v[2:3]
	v_lshl_add_u64 v[8:9], s[18:19], 4, v[12:13]
	s_delay_alu instid0(VALU_DEP_1)
	v_add_nc_u64_e32 v[6:7], v[8:9], v[6:7]
	v_mul_f64_e32 v[8:9], s[6:7], v[72:73]
	flat_store_b128 v[6:7], v[0:3]
	flat_load_b128 v[0:3], v[4:5] offset:256
	s_wait_xcnt 0x0
	v_mul_f64_e32 v[4:5], s[8:9], v[72:73]
	v_fmac_f64_e32 v[8:9], s[8:9], v[70:71]
	s_delay_alu instid0(VALU_DEP_2) | instskip(SKIP_3) | instid1(VALU_DEP_2)
	v_fma_f64 v[4:5], s[6:7], v[70:71], -v[4:5]
	s_wait_loadcnt_dscnt 0x0
	v_mul_f64_e32 v[10:11], s[40:41], v[2:3]
	v_mul_f64_e32 v[2:3], s[38:39], v[2:3]
	v_fma_f64 v[10:11], s[38:39], v[0:1], -v[10:11]
	s_delay_alu instid0(VALU_DEP_2) | instskip(NEXT) | instid1(VALU_DEP_2)
	v_fmac_f64_e32 v[2:3], s[40:41], v[0:1]
	v_add_f64_e32 v[0:1], v[4:5], v[10:11]
	s_delay_alu instid0(VALU_DEP_2)
	v_add_f64_e32 v[2:3], v[8:9], v[2:3]
	v_add_nc_u64_e32 v[4:5], 0x100, v[6:7]
	flat_store_b64 v[6:7], v[0:1] offset:256
	s_branch .LBB260_2
.LBB260_11:
	s_sendmsg sendmsg(MSG_DEALLOC_VGPRS)
	s_endpgm
	.section	.rodata,"a",@progbits
	.p2align	6, 0x0
	.amdhsa_kernel _ZN12_GLOBAL__N_127rocblas_gemm_batched_kernelI19rocblas_complex_numIdELi16ELi16ELi32ELi32ELi8ELi32ELi8ELi8ELi32ELc78ELc78EKPKS2_S5_KPS2_EEvlllT_PT11_llSA_llS8_PT12_llPT13_lli
		.amdhsa_group_segment_fixed_size 8192
		.amdhsa_private_segment_fixed_size 0
		.amdhsa_kernarg_size 156
		.amdhsa_user_sgpr_count 2
		.amdhsa_user_sgpr_dispatch_ptr 0
		.amdhsa_user_sgpr_queue_ptr 0
		.amdhsa_user_sgpr_kernarg_segment_ptr 1
		.amdhsa_user_sgpr_dispatch_id 0
		.amdhsa_user_sgpr_kernarg_preload_length 0
		.amdhsa_user_sgpr_kernarg_preload_offset 0
		.amdhsa_user_sgpr_private_segment_size 0
		.amdhsa_wavefront_size32 1
		.amdhsa_uses_dynamic_stack 0
		.amdhsa_enable_private_segment 0
		.amdhsa_system_sgpr_workgroup_id_x 1
		.amdhsa_system_sgpr_workgroup_id_y 1
		.amdhsa_system_sgpr_workgroup_id_z 1
		.amdhsa_system_sgpr_workgroup_info 0
		.amdhsa_system_vgpr_workitem_id 1
		.amdhsa_next_free_vgpr 196
		.amdhsa_next_free_sgpr 52
		.amdhsa_named_barrier_count 0
		.amdhsa_reserve_vcc 1
		.amdhsa_float_round_mode_32 0
		.amdhsa_float_round_mode_16_64 0
		.amdhsa_float_denorm_mode_32 3
		.amdhsa_float_denorm_mode_16_64 3
		.amdhsa_fp16_overflow 0
		.amdhsa_memory_ordered 1
		.amdhsa_forward_progress 1
		.amdhsa_inst_pref_size 21
		.amdhsa_round_robin_scheduling 0
		.amdhsa_exception_fp_ieee_invalid_op 0
		.amdhsa_exception_fp_denorm_src 0
		.amdhsa_exception_fp_ieee_div_zero 0
		.amdhsa_exception_fp_ieee_overflow 0
		.amdhsa_exception_fp_ieee_underflow 0
		.amdhsa_exception_fp_ieee_inexact 0
		.amdhsa_exception_int_div_zero 0
	.end_amdhsa_kernel
	.section	.text._ZN12_GLOBAL__N_127rocblas_gemm_batched_kernelI19rocblas_complex_numIdELi16ELi16ELi32ELi32ELi8ELi32ELi8ELi8ELi32ELc78ELc78EKPKS2_S5_KPS2_EEvlllT_PT11_llSA_llS8_PT12_llPT13_lli,"axG",@progbits,_ZN12_GLOBAL__N_127rocblas_gemm_batched_kernelI19rocblas_complex_numIdELi16ELi16ELi32ELi32ELi8ELi32ELi8ELi8ELi32ELc78ELc78EKPKS2_S5_KPS2_EEvlllT_PT11_llSA_llS8_PT12_llPT13_lli,comdat
.Lfunc_end260:
	.size	_ZN12_GLOBAL__N_127rocblas_gemm_batched_kernelI19rocblas_complex_numIdELi16ELi16ELi32ELi32ELi8ELi32ELi8ELi8ELi32ELc78ELc78EKPKS2_S5_KPS2_EEvlllT_PT11_llSA_llS8_PT12_llPT13_lli, .Lfunc_end260-_ZN12_GLOBAL__N_127rocblas_gemm_batched_kernelI19rocblas_complex_numIdELi16ELi16ELi32ELi32ELi8ELi32ELi8ELi8ELi32ELc78ELc78EKPKS2_S5_KPS2_EEvlllT_PT11_llSA_llS8_PT12_llPT13_lli
                                        ; -- End function
	.set _ZN12_GLOBAL__N_127rocblas_gemm_batched_kernelI19rocblas_complex_numIdELi16ELi16ELi32ELi32ELi8ELi32ELi8ELi8ELi32ELc78ELc78EKPKS2_S5_KPS2_EEvlllT_PT11_llSA_llS8_PT12_llPT13_lli.num_vgpr, 196
	.set _ZN12_GLOBAL__N_127rocblas_gemm_batched_kernelI19rocblas_complex_numIdELi16ELi16ELi32ELi32ELi8ELi32ELi8ELi8ELi32ELc78ELc78EKPKS2_S5_KPS2_EEvlllT_PT11_llSA_llS8_PT12_llPT13_lli.num_agpr, 0
	.set _ZN12_GLOBAL__N_127rocblas_gemm_batched_kernelI19rocblas_complex_numIdELi16ELi16ELi32ELi32ELi8ELi32ELi8ELi8ELi32ELc78ELc78EKPKS2_S5_KPS2_EEvlllT_PT11_llSA_llS8_PT12_llPT13_lli.numbered_sgpr, 52
	.set _ZN12_GLOBAL__N_127rocblas_gemm_batched_kernelI19rocblas_complex_numIdELi16ELi16ELi32ELi32ELi8ELi32ELi8ELi8ELi32ELc78ELc78EKPKS2_S5_KPS2_EEvlllT_PT11_llSA_llS8_PT12_llPT13_lli.num_named_barrier, 0
	.set _ZN12_GLOBAL__N_127rocblas_gemm_batched_kernelI19rocblas_complex_numIdELi16ELi16ELi32ELi32ELi8ELi32ELi8ELi8ELi32ELc78ELc78EKPKS2_S5_KPS2_EEvlllT_PT11_llSA_llS8_PT12_llPT13_lli.private_seg_size, 0
	.set _ZN12_GLOBAL__N_127rocblas_gemm_batched_kernelI19rocblas_complex_numIdELi16ELi16ELi32ELi32ELi8ELi32ELi8ELi8ELi32ELc78ELc78EKPKS2_S5_KPS2_EEvlllT_PT11_llSA_llS8_PT12_llPT13_lli.uses_vcc, 1
	.set _ZN12_GLOBAL__N_127rocblas_gemm_batched_kernelI19rocblas_complex_numIdELi16ELi16ELi32ELi32ELi8ELi32ELi8ELi8ELi32ELc78ELc78EKPKS2_S5_KPS2_EEvlllT_PT11_llSA_llS8_PT12_llPT13_lli.uses_flat_scratch, 1
	.set _ZN12_GLOBAL__N_127rocblas_gemm_batched_kernelI19rocblas_complex_numIdELi16ELi16ELi32ELi32ELi8ELi32ELi8ELi8ELi32ELc78ELc78EKPKS2_S5_KPS2_EEvlllT_PT11_llSA_llS8_PT12_llPT13_lli.has_dyn_sized_stack, 0
	.set _ZN12_GLOBAL__N_127rocblas_gemm_batched_kernelI19rocblas_complex_numIdELi16ELi16ELi32ELi32ELi8ELi32ELi8ELi8ELi32ELc78ELc78EKPKS2_S5_KPS2_EEvlllT_PT11_llSA_llS8_PT12_llPT13_lli.has_recursion, 0
	.set _ZN12_GLOBAL__N_127rocblas_gemm_batched_kernelI19rocblas_complex_numIdELi16ELi16ELi32ELi32ELi8ELi32ELi8ELi8ELi32ELc78ELc78EKPKS2_S5_KPS2_EEvlllT_PT11_llSA_llS8_PT12_llPT13_lli.has_indirect_call, 0
	.section	.AMDGPU.csdata,"",@progbits
; Kernel info:
; codeLenInByte = 2680
; TotalNumSgprs: 54
; NumVgprs: 196
; ScratchSize: 0
; MemoryBound: 0
; FloatMode: 240
; IeeeMode: 1
; LDSByteSize: 8192 bytes/workgroup (compile time only)
; SGPRBlocks: 0
; VGPRBlocks: 12
; NumSGPRsForWavesPerEU: 54
; NumVGPRsForWavesPerEU: 196
; NamedBarCnt: 0
; Occupancy: 4
; WaveLimiterHint : 1
; COMPUTE_PGM_RSRC2:SCRATCH_EN: 0
; COMPUTE_PGM_RSRC2:USER_SGPR: 2
; COMPUTE_PGM_RSRC2:TRAP_HANDLER: 0
; COMPUTE_PGM_RSRC2:TGID_X_EN: 1
; COMPUTE_PGM_RSRC2:TGID_Y_EN: 1
; COMPUTE_PGM_RSRC2:TGID_Z_EN: 1
; COMPUTE_PGM_RSRC2:TIDIG_COMP_CNT: 1
	.section	.text._ZN12_GLOBAL__N_127rocblas_gemm_batched_kernelI19rocblas_complex_numIdELi16ELi16ELi32ELi32ELi8ELi32ELi8ELi8ELi32ELc84ELc78EKPKS2_S5_KPS2_EEvlllT_PT11_llSA_llS8_PT12_llPT13_lli,"axG",@progbits,_ZN12_GLOBAL__N_127rocblas_gemm_batched_kernelI19rocblas_complex_numIdELi16ELi16ELi32ELi32ELi8ELi32ELi8ELi8ELi32ELc84ELc78EKPKS2_S5_KPS2_EEvlllT_PT11_llSA_llS8_PT12_llPT13_lli,comdat
	.globl	_ZN12_GLOBAL__N_127rocblas_gemm_batched_kernelI19rocblas_complex_numIdELi16ELi16ELi32ELi32ELi8ELi32ELi8ELi8ELi32ELc84ELc78EKPKS2_S5_KPS2_EEvlllT_PT11_llSA_llS8_PT12_llPT13_lli ; -- Begin function _ZN12_GLOBAL__N_127rocblas_gemm_batched_kernelI19rocblas_complex_numIdELi16ELi16ELi32ELi32ELi8ELi32ELi8ELi8ELi32ELc84ELc78EKPKS2_S5_KPS2_EEvlllT_PT11_llSA_llS8_PT12_llPT13_lli
	.p2align	8
	.type	_ZN12_GLOBAL__N_127rocblas_gemm_batched_kernelI19rocblas_complex_numIdELi16ELi16ELi32ELi32ELi8ELi32ELi8ELi8ELi32ELc84ELc78EKPKS2_S5_KPS2_EEvlllT_PT11_llSA_llS8_PT12_llPT13_lli,@function
_ZN12_GLOBAL__N_127rocblas_gemm_batched_kernelI19rocblas_complex_numIdELi16ELi16ELi32ELi32ELi8ELi32ELi8ELi8ELi32ELc84ELc78EKPKS2_S5_KPS2_EEvlllT_PT11_llSA_llS8_PT12_llPT13_lli: ; @_ZN12_GLOBAL__N_127rocblas_gemm_batched_kernelI19rocblas_complex_numIdELi16ELi16ELi32ELi32ELi8ELi32ELi8ELi8ELi32ELc84ELc78EKPKS2_S5_KPS2_EEvlllT_PT11_llSA_llS8_PT12_llPT13_lli
; %bb.0:
	s_load_b32 s24, s[0:1], 0x98
	s_bfe_u32 s2, ttmp6, 0x40014
	s_lshr_b32 s3, ttmp7, 16
	s_add_co_i32 s2, s2, 1
	s_bfe_u32 s4, ttmp6, 0x40008
	s_mul_i32 s2, s3, s2
	s_getreg_b32 s20, hwreg(HW_REG_IB_STS2, 6, 4)
	s_add_co_i32 s4, s4, s2
	s_cmp_eq_u32 s20, 0
	s_cselect_b32 s2, s3, s4
	s_mov_b32 s3, 0
	s_wait_kmcnt 0x0
	s_cmp_ge_i32 s2, s24
	s_cbranch_scc1 .LBB261_11
; %bb.1:
	v_bfe_u32 v56, v0, 10, 10
	v_and_b32_e32 v2, 0x3ff, v0
	s_bfe_u32 s21, ttmp6, 0x4000c
	s_bfe_u32 s23, ttmp6, 0x40010
	s_clause 0x1
	s_load_b512 s[4:19], s[0:1], 0x10
	s_load_b512 s[36:51], s[0:1], 0x50
	s_add_co_i32 s21, s21, 1
	s_and_b32 s25, ttmp7, 0xffff
	s_add_co_i32 s23, s23, 1
	v_lshl_add_u32 v1, v56, 4, v2
	v_mov_b32_e32 v57, 0
	s_and_b32 s22, ttmp6, 15
	s_mul_i32 s21, ttmp9, s21
	s_mul_i32 s23, s25, s23
	s_bfe_u32 s26, ttmp6, 0x40004
	s_add_co_i32 s22, s22, s21
	s_add_co_i32 s26, s26, s23
	s_cmp_eq_u32 s20, 0
	v_dual_lshrrev_b32 v4, 3, v1 :: v_dual_bitop2_b32 v12, 31, v1 bitop3:0x40
	v_mov_b32_e32 v5, v57
	s_cselect_b32 s20, ttmp9, s22
	s_cselect_b32 s22, s25, s26
	s_ashr_i32 s21, s20, 31
	s_lshl_b32 s22, s22, 5
	s_mov_b32 s23, s3
	s_lshl_b64 s[20:21], s[20:21], 5
	v_add_nc_u64_e32 v[6:7], s[22:23], v[4:5]
	v_dual_mov_b32 v9, s21 :: v_dual_bitop2_b32 v8, s20, v12 bitop3:0x54
	v_add_nc_u64_e32 v[10:11], s[22:23], v[56:57]
	s_wait_kmcnt 0x0
	v_cmp_eq_f64_e64 s25, s[38:39], 0
	v_cmp_eq_f64_e64 s26, s[40:41], 0
	v_dual_mov_b32 v3, v57 :: v_dual_lshlrev_b32 v0, 4, v0
	v_mul_u64_e32 v[8:9], s[12:13], v[8:9]
	v_mul_u64_e32 v[6:7], s[18:19], v[6:7]
	;; [unrolled: 1-line block ×4, first 2 shown]
	v_and_b32_e32 v0, 0x70, v0
	s_load_b64 s[18:19], s[0:1], 0x90
	v_dual_lshrrev_b32 v1, 5, v1 :: v_dual_lshlrev_b32 v5, 4, v12
	s_wait_xcnt 0x0
	v_cmp_gt_i64_e64 s0, s[4:5], 0
	v_lshl_or_b32 v4, v4, 7, v0
	s_lshl_b64 s[12:13], s[14:15], 4
	s_lshl_b64 s[14:15], s[36:37], 4
	v_lshlrev_b32_e32 v92, 4, v2
	v_lshl_add_u32 v93, v56, 7, 0x1000
	v_lshlrev_b32_e32 v56, 4, v1
	v_lshl_or_b32 v94, v1, 9, v5
	v_add_nc_u32_e32 v95, 0x1000, v4
	v_mov_b32_e32 v1, v57
	v_add_nc_u64_e32 v[62:63], s[20:21], v[2:3]
	s_lshl_b64 s[20:21], s[46:47], 4
	s_wait_kmcnt 0x0
	s_lshl_b64 s[18:19], s[18:19], 4
	s_and_b32 s1, s25, s26
	v_lshl_add_u64 v[4:5], v[8:9], 4, s[12:13]
	v_lshl_add_u64 v[6:7], v[6:7], 4, s[14:15]
	v_cndmask_b32_e64 v8, 0, 1, s0
	s_lshl_b64 s[12:13], s[50:51], 4
	s_lshl_b64 s[14:15], s[44:45], 4
	v_add_nc_u64_e32 v[64:65], v[4:5], v[56:57]
	v_add_nc_u64_e32 v[66:67], v[6:7], v[0:1]
	v_cmp_ne_u32_e64 s0, 1, v8
	s_branch .LBB261_3
.LBB261_2:                              ;   in Loop: Header=BB261_3 Depth=1
	s_add_co_i32 s2, s2, 0x10000
	flat_store_b64 v[4:5], v[2:3] offset:8
	s_cmp_lt_i32 s2, s24
	s_cbranch_scc0 .LBB261_11
.LBB261_3:                              ; =>This Loop Header: Depth=1
                                        ;     Child Loop BB261_5 Depth 2
	s_wait_xcnt 0x1
	v_mov_b32_e32 v0, s2
	s_delay_alu instid0(VALU_DEP_2)
	s_and_b32 vcc_lo, exec_lo, s0
	s_clause 0x1
	global_load_b64 v[68:69], v0, s[42:43] scale_offset
	global_load_b64 v[74:75], v0, s[48:49] scale_offset
	s_cbranch_vccnz .LBB261_8
; %bb.4:                                ;   in Loop: Header=BB261_3 Depth=1
	s_lshl_b64 s[22:23], s[2:3], 3
	v_mov_b64_e32 v[72:73], 0
	s_add_nc_u64 s[26:27], s[10:11], s[22:23]
	s_add_nc_u64 s[22:23], s[16:17], s[22:23]
	s_clause 0x1
	global_load_b64 v[0:1], v57, s[26:27]
	global_load_b64 v[2:3], v57, s[22:23]
	v_mov_b64_e32 v[70:71], 0
	v_mov_b64_e32 v[78:79], 0
	;; [unrolled: 1-line block ×7, first 2 shown]
	s_wait_xcnt 0x0
	s_mov_b64 s[22:23], 0
	s_wait_loadcnt 0x1
	v_add_nc_u64_e32 v[86:87], v[0:1], v[64:65]
	s_wait_loadcnt 0x0
	v_add_nc_u64_e32 v[88:89], v[2:3], v[66:67]
.LBB261_5:                              ;   Parent Loop BB261_3 Depth=1
                                        ; =>  This Inner Loop Header: Depth=2
	flat_load_b128 v[0:3], v[86:87]
	flat_load_b128 v[4:7], v[88:89]
	s_add_nc_u64 s[22:23], s[22:23], 8
	s_wait_xcnt 0x1
	v_add_nc_u64_e32 v[86:87], 0x80, v[86:87]
	v_cmp_lt_i64_e64 s25, s[22:23], s[4:5]
	s_wait_xcnt 0x0
	v_add_nc_u64_e32 v[88:89], 0x80, v[88:89]
	s_wait_loadcnt_dscnt 0x101
	ds_store_2addr_b64 v94, v[0:1], v[2:3] offset1:1
	s_wait_loadcnt_dscnt 0x1
	ds_store_2addr_b64 v95, v[4:5], v[6:7] offset1:1
	s_wait_dscnt 0x0
	s_barrier_signal -1
	s_barrier_wait -1
	ds_load_b128 v[0:3], v92
	ds_load_b128 v[8:11], v92 offset:256
	ds_load_b128 v[12:15], v93
	ds_load_b128 v[4:7], v93 offset:16
	ds_load_b128 v[16:19], v93 offset:2048
	;; [unrolled: 1-line block ×28, first 2 shown]
	s_wait_dscnt 0x1c
	v_mul_f64_e32 v[164:165], v[14:15], v[2:3]
	v_mul_f64_e32 v[166:167], v[12:13], v[2:3]
	;; [unrolled: 1-line block ×4, first 2 shown]
	s_wait_dscnt 0x1a
	v_mul_f64_e32 v[172:173], v[18:19], v[2:3]
	v_mul_f64_e32 v[2:3], v[16:17], v[2:3]
	;; [unrolled: 1-line block ×4, first 2 shown]
	s_wait_dscnt 0x18
	v_mul_f64_e32 v[176:177], v[6:7], v[26:27]
	v_mul_f64_e32 v[178:179], v[4:5], v[26:27]
	s_wait_dscnt 0x17
	v_mul_f64_e32 v[180:181], v[6:7], v[34:35]
	v_mul_f64_e32 v[182:183], v[4:5], v[34:35]
	;; [unrolled: 1-line block ×6, first 2 shown]
	s_wait_dscnt 0x14
	v_mul_f64_e32 v[188:189], v[38:39], v[42:43]
	v_mul_f64_e32 v[190:191], v[36:37], v[42:43]
	s_wait_dscnt 0x13
	v_mul_f64_e32 v[192:193], v[38:39], v[46:47]
	v_mul_f64_e32 v[194:195], v[36:37], v[46:47]
	s_and_b32 vcc_lo, exec_lo, s25
	v_fma_f64 v[164:165], v[12:13], v[0:1], -v[164:165]
	v_fmac_f64_e32 v[166:167], v[14:15], v[0:1]
	v_fma_f64 v[12:13], v[12:13], v[8:9], -v[168:169]
	v_fmac_f64_e32 v[170:171], v[14:15], v[8:9]
	;; [unrolled: 2-line block ×4, first 2 shown]
	s_wait_dscnt 0x12
	v_mul_f64_e32 v[14:15], v[50:51], v[42:43]
	v_mul_f64_e32 v[42:43], v[48:49], v[42:43]
	;; [unrolled: 1-line block ×4, first 2 shown]
	v_fma_f64 v[176:177], v[4:5], v[24:25], -v[176:177]
	v_fmac_f64_e32 v[178:179], v[6:7], v[24:25]
	v_fma_f64 v[4:5], v[4:5], v[32:33], -v[180:181]
	v_fmac_f64_e32 v[182:183], v[6:7], v[32:33]
	;; [unrolled: 2-line block ×4, first 2 shown]
	s_wait_dscnt 0x10
	v_mul_f64_e32 v[8:9], v[30:31], v[98:99]
	v_mul_f64_e32 v[18:19], v[28:29], v[98:99]
	s_wait_dscnt 0xf
	v_mul_f64_e32 v[172:173], v[30:31], v[102:103]
	v_mul_f64_e32 v[174:175], v[28:29], v[102:103]
	;; [unrolled: 1-line block ×6, first 2 shown]
	v_fmac_f64_e32 v[190:191], v[38:39], v[40:41]
	v_fmac_f64_e32 v[194:195], v[38:39], v[44:45]
	v_add_f64_e32 v[22:23], v[84:85], v[164:165]
	v_add_f64_e32 v[32:33], v[166:167], v[90:91]
	;; [unrolled: 1-line block ×8, first 2 shown]
	s_wait_dscnt 0xc
	v_mul_f64_e32 v[70:71], v[114:115], v[106:107]
	v_mul_f64_e32 v[72:73], v[112:113], v[106:107]
	s_wait_dscnt 0xa
	v_mul_f64_e32 v[84:85], v[122:123], v[106:107]
	v_mul_f64_e32 v[90:91], v[120:121], v[106:107]
	v_fma_f64 v[106:107], v[36:37], v[40:41], -v[188:189]
	v_fma_f64 v[36:37], v[36:37], v[44:45], -v[192:193]
	v_fma_f64 v[14:15], v[48:49], v[40:41], -v[14:15]
	v_fmac_f64_e32 v[42:43], v[50:51], v[40:41]
	v_fma_f64 v[0:1], v[48:49], v[44:45], -v[0:1]
	v_fmac_f64_e32 v[46:47], v[50:51], v[44:45]
	v_mul_f64_e32 v[78:79], v[114:115], v[110:111]
	v_mul_f64_e32 v[82:83], v[112:113], v[110:111]
	v_fma_f64 v[8:9], v[28:29], v[96:97], -v[8:9]
	v_fmac_f64_e32 v[18:19], v[30:31], v[96:97]
	v_fma_f64 v[28:29], v[28:29], v[100:101], -v[172:173]
	v_fmac_f64_e32 v[174:175], v[30:31], v[100:101]
	;; [unrolled: 2-line block ×4, first 2 shown]
	s_wait_dscnt 0x8
	v_mul_f64_e32 v[40:41], v[116:117], v[130:131]
	s_wait_dscnt 0x7
	v_mul_f64_e32 v[44:45], v[118:119], v[134:135]
	v_mul_f64_e32 v[48:49], v[116:117], v[134:135]
	v_add_f64_e32 v[22:23], v[22:23], v[176:177]
	v_add_f64_e32 v[32:33], v[178:179], v[32:33]
	v_add_f64_e32 v[4:5], v[12:13], v[4:5]
	v_add_f64_e32 v[12:13], v[182:183], v[80:81]
	v_add_f64_e32 v[38:39], v[76:77], v[180:181]
	v_add_f64_e32 v[2:3], v[26:27], v[2:3]
	v_add_f64_e32 v[16:17], v[16:17], v[20:21]
	v_add_f64_e32 v[10:11], v[34:35], v[10:11]
	v_mul_f64_e32 v[20:21], v[122:123], v[110:111]
	v_mul_f64_e32 v[26:27], v[120:121], v[110:111]
	;; [unrolled: 1-line block ×3, first 2 shown]
	v_fma_f64 v[50:51], v[112:113], v[104:105], -v[70:71]
	v_fmac_f64_e32 v[72:73], v[114:115], v[104:105]
	v_fma_f64 v[54:55], v[120:121], v[104:105], -v[84:85]
	v_fmac_f64_e32 v[90:91], v[122:123], v[104:105]
	s_wait_dscnt 0x1
	v_mul_f64_e32 v[70:71], v[156:157], v[142:143]
	s_wait_dscnt 0x0
	v_mul_f64_e32 v[76:77], v[162:163], v[154:155]
	v_fma_f64 v[52:53], v[112:113], v[108:109], -v[78:79]
	v_fmac_f64_e32 v[82:83], v[114:115], v[108:109]
	v_mul_f64_e32 v[78:79], v[160:161], v[154:155]
	v_fmac_f64_e32 v[40:41], v[118:119], v[128:129]
	v_fma_f64 v[44:45], v[116:117], v[132:133], -v[44:45]
	v_fmac_f64_e32 v[48:49], v[118:119], v[132:133]
	v_add_f64_e32 v[22:23], v[22:23], v[106:107]
	v_add_f64_e32 v[30:31], v[190:191], v[32:33]
	;; [unrolled: 1-line block ×8, first 2 shown]
	v_mul_f64_e32 v[16:17], v[126:127], v[130:131]
	v_mul_f64_e32 v[32:33], v[124:125], v[130:131]
	;; [unrolled: 1-line block ×4, first 2 shown]
	v_fma_f64 v[20:21], v[120:121], v[108:109], -v[20:21]
	v_fmac_f64_e32 v[26:27], v[122:123], v[108:109]
	v_mul_f64_e32 v[42:43], v[146:147], v[138:139]
	v_mul_f64_e32 v[46:47], v[144:145], v[138:139]
	v_fma_f64 v[34:35], v[116:117], v[128:129], -v[34:35]
	v_fmac_f64_e32 v[70:71], v[158:159], v[140:141]
	v_fmac_f64_e32 v[78:79], v[162:163], v[152:153]
	v_add_f64_e32 v[8:9], v[22:23], v[8:9]
	v_add_f64_e32 v[18:19], v[18:19], v[30:31]
	;; [unrolled: 1-line block ×8, first 2 shown]
	v_mul_f64_e32 v[14:15], v[146:147], v[142:143]
	v_mul_f64_e32 v[22:23], v[144:145], v[142:143]
	;; [unrolled: 1-line block ×5, first 2 shown]
	v_fma_f64 v[16:17], v[124:125], v[128:129], -v[16:17]
	v_fmac_f64_e32 v[32:33], v[126:127], v[128:129]
	v_fma_f64 v[36:37], v[124:125], v[132:133], -v[36:37]
	v_fmac_f64_e32 v[38:39], v[126:127], v[132:133]
	;; [unrolled: 2-line block ×3, first 2 shown]
	v_add_f64_e32 v[8:9], v[8:9], v[50:51]
	v_add_f64_e32 v[18:19], v[72:73], v[18:19]
	;; [unrolled: 1-line block ×8, first 2 shown]
	ds_load_b128 v[0:3], v92 offset:3840
	v_mul_f64_e32 v[26:27], v[150:151], v[154:155]
	v_mul_f64_e32 v[52:53], v[148:149], v[154:155]
	v_fma_f64 v[14:15], v[144:145], v[140:141], -v[14:15]
	v_fmac_f64_e32 v[22:23], v[146:147], v[140:141]
	v_fma_f64 v[24:25], v[156:157], v[136:137], -v[24:25]
	v_fmac_f64_e32 v[28:29], v[158:159], v[136:137]
	v_fma_f64 v[30:31], v[156:157], v[140:141], -v[30:31]
	s_wait_dscnt 0x0
	s_barrier_signal -1
	s_barrier_wait -1
	v_mul_f64_e32 v[54:55], v[150:151], v[2:3]
	v_mul_f64_e32 v[72:73], v[148:149], v[2:3]
	v_mul_f64_e32 v[80:81], v[162:163], v[2:3]
	v_mul_f64_e32 v[2:3], v[160:161], v[2:3]
	v_add_f64_e32 v[8:9], v[8:9], v[34:35]
	v_add_f64_e32 v[18:19], v[40:41], v[18:19]
	;; [unrolled: 1-line block ×8, first 2 shown]
	v_fma_f64 v[34:35], v[160:161], v[152:153], -v[76:77]
	v_fma_f64 v[26:27], v[148:149], v[152:153], -v[26:27]
	v_fmac_f64_e32 v[52:53], v[150:151], v[152:153]
	v_fma_f64 v[32:33], v[148:149], v[0:1], -v[54:55]
	v_fmac_f64_e32 v[72:73], v[150:151], v[0:1]
	;; [unrolled: 2-line block ×3, first 2 shown]
	v_add_f64_e32 v[0:1], v[8:9], v[42:43]
	v_add_f64_e32 v[8:9], v[46:47], v[18:19]
	;; [unrolled: 1-line block ×16, first 2 shown]
	s_cbranch_vccnz .LBB261_5
; %bb.6:                                ;   in Loop: Header=BB261_3 Depth=1
	v_add_nc_u64_e32 v[0:1], s[18:19], v[74:75]
	s_and_not1_b32 vcc_lo, exec_lo, s1
	s_mov_b32 s22, -1
                                        ; implicit-def: $vgpr2_vgpr3
                                        ; implicit-def: $vgpr4_vgpr5
	s_cbranch_vccnz .LBB261_9
.LBB261_7:                              ;   in Loop: Header=BB261_3 Depth=1
	v_mul_f64_e32 v[4:5], s[8:9], v[90:91]
	v_mul_f64_e32 v[8:9], s[6:7], v[90:91]
	s_delay_alu instid0(VALU_DEP_4)
	v_mul_f64_e32 v[2:3], s[6:7], v[72:73]
	v_mul_f64_e32 v[10:11], s[8:9], v[82:83]
	v_mul_f64_e32 v[12:13], s[6:7], v[82:83]
	v_mul_f64_e32 v[14:15], s[8:9], v[78:79]
	v_mul_f64_e32 v[16:17], s[6:7], v[78:79]
	v_mul_f64_e32 v[18:19], s[8:9], v[72:73]
	v_lshlrev_b64_e32 v[20:21], 4, v[62:63]
	v_fma_f64 v[6:7], s[6:7], v[84:85], -v[4:5]
	v_fmac_f64_e32 v[8:9], s[8:9], v[84:85]
	v_fmac_f64_e32 v[2:3], s[8:9], v[70:71]
	v_fma_f64 v[10:11], s[6:7], v[80:81], -v[10:11]
	v_fmac_f64_e32 v[12:13], s[8:9], v[80:81]
	v_fma_f64 v[14:15], s[6:7], v[76:77], -v[14:15]
	;; [unrolled: 2-line block ×3, first 2 shown]
	v_lshl_add_u64 v[4:5], v[58:59], 4, v[0:1]
	s_delay_alu instid0(VALU_DEP_1) | instskip(NEXT) | instid1(VALU_DEP_1)
	v_lshl_add_u64 v[22:23], s[12:13], 4, v[4:5]
	v_add_nc_u64_e32 v[22:23], v[22:23], v[20:21]
	v_add_nc_u64_e32 v[20:21], v[4:5], v[20:21]
	s_clause 0x3
	flat_store_b128 v[20:21], v[6:9]
	flat_store_b128 v[20:21], v[10:13] offset:256
	flat_store_b128 v[22:23], v[14:17]
	flat_store_b64 v[22:23], v[18:19] offset:256
	v_add_nc_u64_e32 v[4:5], 0x100, v[22:23]
	s_cbranch_execnz .LBB261_2
	s_branch .LBB261_10
.LBB261_8:                              ;   in Loop: Header=BB261_3 Depth=1
	v_mov_b64_e32 v[84:85], 0
	v_mov_b64_e32 v[90:91], 0
	;; [unrolled: 1-line block ×8, first 2 shown]
	s_wait_loadcnt 0x0
	s_wait_xcnt 0x0
	v_add_nc_u64_e32 v[0:1], s[18:19], v[74:75]
	s_and_not1_b32 vcc_lo, exec_lo, s1
	s_mov_b32 s22, -1
                                        ; implicit-def: $vgpr2_vgpr3
                                        ; implicit-def: $vgpr4_vgpr5
	s_cbranch_vccz .LBB261_7
.LBB261_9:                              ;   in Loop: Header=BB261_3 Depth=1
	s_and_not1_b32 vcc_lo, exec_lo, s22
	s_cbranch_vccnz .LBB261_2
.LBB261_10:                             ;   in Loop: Header=BB261_3 Depth=1
	v_add_nc_u64_e32 v[2:3], s[20:21], v[68:69]
	s_wait_xcnt 0x3
	v_lshlrev_b64_e32 v[6:7], 4, v[62:63]
	s_wait_xcnt 0x2
	v_mul_f64_e32 v[12:13], s[8:9], v[90:91]
	s_wait_xcnt 0x1
	v_mul_f64_e32 v[14:15], s[6:7], v[90:91]
	v_lshl_add_u64 v[8:9], v[60:61], 4, v[2:3]
	s_delay_alu instid0(VALU_DEP_1)
	v_add_nc_u64_e32 v[10:11], v[8:9], v[6:7]
	flat_load_b128 v[2:5], v[10:11]
	v_fma_f64 v[12:13], s[6:7], v[84:85], -v[12:13]
	v_fmac_f64_e32 v[14:15], s[8:9], v[84:85]
	s_wait_loadcnt_dscnt 0x0
	v_mul_f64_e32 v[16:17], s[40:41], v[4:5]
	v_mul_f64_e32 v[4:5], s[38:39], v[4:5]
	s_delay_alu instid0(VALU_DEP_2) | instskip(NEXT) | instid1(VALU_DEP_2)
	v_fma_f64 v[16:17], s[38:39], v[2:3], -v[16:17]
	v_fmac_f64_e32 v[4:5], s[40:41], v[2:3]
	s_delay_alu instid0(VALU_DEP_2) | instskip(NEXT) | instid1(VALU_DEP_2)
	v_add_f64_e32 v[2:3], v[12:13], v[16:17]
	v_add_f64_e32 v[4:5], v[14:15], v[4:5]
	v_lshl_add_u64 v[12:13], v[58:59], 4, v[0:1]
	s_delay_alu instid0(VALU_DEP_1)
	v_add_nc_u64_e32 v[14:15], v[12:13], v[6:7]
	flat_store_b128 v[14:15], v[2:5]
	flat_load_b128 v[0:3], v[10:11] offset:256
	v_mul_f64_e32 v[4:5], s[8:9], v[82:83]
	s_wait_xcnt 0x0
	v_mul_f64_e32 v[10:11], s[6:7], v[82:83]
	s_delay_alu instid0(VALU_DEP_2) | instskip(NEXT) | instid1(VALU_DEP_2)
	v_fma_f64 v[4:5], s[6:7], v[80:81], -v[4:5]
	v_fmac_f64_e32 v[10:11], s[8:9], v[80:81]
	s_wait_loadcnt_dscnt 0x0
	v_mul_f64_e32 v[16:17], s[40:41], v[2:3]
	v_mul_f64_e32 v[2:3], s[38:39], v[2:3]
	s_delay_alu instid0(VALU_DEP_2) | instskip(NEXT) | instid1(VALU_DEP_2)
	v_fma_f64 v[16:17], s[38:39], v[0:1], -v[16:17]
	v_fmac_f64_e32 v[2:3], s[40:41], v[0:1]
	s_delay_alu instid0(VALU_DEP_2) | instskip(NEXT) | instid1(VALU_DEP_2)
	v_add_f64_e32 v[0:1], v[4:5], v[16:17]
	v_add_f64_e32 v[2:3], v[10:11], v[2:3]
	v_lshl_add_u64 v[4:5], s[14:15], 4, v[8:9]
	v_mul_f64_e32 v[8:9], s[8:9], v[78:79]
	v_mul_f64_e32 v[10:11], s[6:7], v[78:79]
	s_delay_alu instid0(VALU_DEP_3)
	v_add_nc_u64_e32 v[4:5], v[4:5], v[6:7]
	flat_store_b128 v[14:15], v[0:3] offset:256
	flat_load_b128 v[0:3], v[4:5]
	v_fma_f64 v[8:9], s[6:7], v[76:77], -v[8:9]
	v_fmac_f64_e32 v[10:11], s[8:9], v[76:77]
	s_wait_loadcnt_dscnt 0x0
	v_mul_f64_e32 v[14:15], s[40:41], v[2:3]
	v_mul_f64_e32 v[2:3], s[38:39], v[2:3]
	s_delay_alu instid0(VALU_DEP_2) | instskip(NEXT) | instid1(VALU_DEP_2)
	v_fma_f64 v[14:15], s[38:39], v[0:1], -v[14:15]
	v_fmac_f64_e32 v[2:3], s[40:41], v[0:1]
	s_delay_alu instid0(VALU_DEP_2) | instskip(NEXT) | instid1(VALU_DEP_2)
	v_add_f64_e32 v[0:1], v[8:9], v[14:15]
	v_add_f64_e32 v[2:3], v[10:11], v[2:3]
	v_lshl_add_u64 v[8:9], s[12:13], 4, v[12:13]
	s_delay_alu instid0(VALU_DEP_1)
	v_add_nc_u64_e32 v[6:7], v[8:9], v[6:7]
	v_mul_f64_e32 v[8:9], s[6:7], v[72:73]
	flat_store_b128 v[6:7], v[0:3]
	flat_load_b128 v[0:3], v[4:5] offset:256
	s_wait_xcnt 0x0
	v_mul_f64_e32 v[4:5], s[8:9], v[72:73]
	v_fmac_f64_e32 v[8:9], s[8:9], v[70:71]
	s_delay_alu instid0(VALU_DEP_2) | instskip(SKIP_3) | instid1(VALU_DEP_2)
	v_fma_f64 v[4:5], s[6:7], v[70:71], -v[4:5]
	s_wait_loadcnt_dscnt 0x0
	v_mul_f64_e32 v[10:11], s[40:41], v[2:3]
	v_mul_f64_e32 v[2:3], s[38:39], v[2:3]
	v_fma_f64 v[10:11], s[38:39], v[0:1], -v[10:11]
	s_delay_alu instid0(VALU_DEP_2) | instskip(NEXT) | instid1(VALU_DEP_2)
	v_fmac_f64_e32 v[2:3], s[40:41], v[0:1]
	v_add_f64_e32 v[0:1], v[4:5], v[10:11]
	s_delay_alu instid0(VALU_DEP_2)
	v_add_f64_e32 v[2:3], v[8:9], v[2:3]
	v_add_nc_u64_e32 v[4:5], 0x100, v[6:7]
	flat_store_b64 v[6:7], v[0:1] offset:256
	s_branch .LBB261_2
.LBB261_11:
	s_sendmsg sendmsg(MSG_DEALLOC_VGPRS)
	s_endpgm
	.section	.rodata,"a",@progbits
	.p2align	6, 0x0
	.amdhsa_kernel _ZN12_GLOBAL__N_127rocblas_gemm_batched_kernelI19rocblas_complex_numIdELi16ELi16ELi32ELi32ELi8ELi32ELi8ELi8ELi32ELc84ELc78EKPKS2_S5_KPS2_EEvlllT_PT11_llSA_llS8_PT12_llPT13_lli
		.amdhsa_group_segment_fixed_size 8192
		.amdhsa_private_segment_fixed_size 0
		.amdhsa_kernarg_size 156
		.amdhsa_user_sgpr_count 2
		.amdhsa_user_sgpr_dispatch_ptr 0
		.amdhsa_user_sgpr_queue_ptr 0
		.amdhsa_user_sgpr_kernarg_segment_ptr 1
		.amdhsa_user_sgpr_dispatch_id 0
		.amdhsa_user_sgpr_kernarg_preload_length 0
		.amdhsa_user_sgpr_kernarg_preload_offset 0
		.amdhsa_user_sgpr_private_segment_size 0
		.amdhsa_wavefront_size32 1
		.amdhsa_uses_dynamic_stack 0
		.amdhsa_enable_private_segment 0
		.amdhsa_system_sgpr_workgroup_id_x 1
		.amdhsa_system_sgpr_workgroup_id_y 1
		.amdhsa_system_sgpr_workgroup_id_z 1
		.amdhsa_system_sgpr_workgroup_info 0
		.amdhsa_system_vgpr_workitem_id 1
		.amdhsa_next_free_vgpr 196
		.amdhsa_next_free_sgpr 52
		.amdhsa_named_barrier_count 0
		.amdhsa_reserve_vcc 1
		.amdhsa_float_round_mode_32 0
		.amdhsa_float_round_mode_16_64 0
		.amdhsa_float_denorm_mode_32 3
		.amdhsa_float_denorm_mode_16_64 3
		.amdhsa_fp16_overflow 0
		.amdhsa_memory_ordered 1
		.amdhsa_forward_progress 1
		.amdhsa_inst_pref_size 21
		.amdhsa_round_robin_scheduling 0
		.amdhsa_exception_fp_ieee_invalid_op 0
		.amdhsa_exception_fp_denorm_src 0
		.amdhsa_exception_fp_ieee_div_zero 0
		.amdhsa_exception_fp_ieee_overflow 0
		.amdhsa_exception_fp_ieee_underflow 0
		.amdhsa_exception_fp_ieee_inexact 0
		.amdhsa_exception_int_div_zero 0
	.end_amdhsa_kernel
	.section	.text._ZN12_GLOBAL__N_127rocblas_gemm_batched_kernelI19rocblas_complex_numIdELi16ELi16ELi32ELi32ELi8ELi32ELi8ELi8ELi32ELc84ELc78EKPKS2_S5_KPS2_EEvlllT_PT11_llSA_llS8_PT12_llPT13_lli,"axG",@progbits,_ZN12_GLOBAL__N_127rocblas_gemm_batched_kernelI19rocblas_complex_numIdELi16ELi16ELi32ELi32ELi8ELi32ELi8ELi8ELi32ELc84ELc78EKPKS2_S5_KPS2_EEvlllT_PT11_llSA_llS8_PT12_llPT13_lli,comdat
.Lfunc_end261:
	.size	_ZN12_GLOBAL__N_127rocblas_gemm_batched_kernelI19rocblas_complex_numIdELi16ELi16ELi32ELi32ELi8ELi32ELi8ELi8ELi32ELc84ELc78EKPKS2_S5_KPS2_EEvlllT_PT11_llSA_llS8_PT12_llPT13_lli, .Lfunc_end261-_ZN12_GLOBAL__N_127rocblas_gemm_batched_kernelI19rocblas_complex_numIdELi16ELi16ELi32ELi32ELi8ELi32ELi8ELi8ELi32ELc84ELc78EKPKS2_S5_KPS2_EEvlllT_PT11_llSA_llS8_PT12_llPT13_lli
                                        ; -- End function
	.set _ZN12_GLOBAL__N_127rocblas_gemm_batched_kernelI19rocblas_complex_numIdELi16ELi16ELi32ELi32ELi8ELi32ELi8ELi8ELi32ELc84ELc78EKPKS2_S5_KPS2_EEvlllT_PT11_llSA_llS8_PT12_llPT13_lli.num_vgpr, 196
	.set _ZN12_GLOBAL__N_127rocblas_gemm_batched_kernelI19rocblas_complex_numIdELi16ELi16ELi32ELi32ELi8ELi32ELi8ELi8ELi32ELc84ELc78EKPKS2_S5_KPS2_EEvlllT_PT11_llSA_llS8_PT12_llPT13_lli.num_agpr, 0
	.set _ZN12_GLOBAL__N_127rocblas_gemm_batched_kernelI19rocblas_complex_numIdELi16ELi16ELi32ELi32ELi8ELi32ELi8ELi8ELi32ELc84ELc78EKPKS2_S5_KPS2_EEvlllT_PT11_llSA_llS8_PT12_llPT13_lli.numbered_sgpr, 52
	.set _ZN12_GLOBAL__N_127rocblas_gemm_batched_kernelI19rocblas_complex_numIdELi16ELi16ELi32ELi32ELi8ELi32ELi8ELi8ELi32ELc84ELc78EKPKS2_S5_KPS2_EEvlllT_PT11_llSA_llS8_PT12_llPT13_lli.num_named_barrier, 0
	.set _ZN12_GLOBAL__N_127rocblas_gemm_batched_kernelI19rocblas_complex_numIdELi16ELi16ELi32ELi32ELi8ELi32ELi8ELi8ELi32ELc84ELc78EKPKS2_S5_KPS2_EEvlllT_PT11_llSA_llS8_PT12_llPT13_lli.private_seg_size, 0
	.set _ZN12_GLOBAL__N_127rocblas_gemm_batched_kernelI19rocblas_complex_numIdELi16ELi16ELi32ELi32ELi8ELi32ELi8ELi8ELi32ELc84ELc78EKPKS2_S5_KPS2_EEvlllT_PT11_llSA_llS8_PT12_llPT13_lli.uses_vcc, 1
	.set _ZN12_GLOBAL__N_127rocblas_gemm_batched_kernelI19rocblas_complex_numIdELi16ELi16ELi32ELi32ELi8ELi32ELi8ELi8ELi32ELc84ELc78EKPKS2_S5_KPS2_EEvlllT_PT11_llSA_llS8_PT12_llPT13_lli.uses_flat_scratch, 1
	.set _ZN12_GLOBAL__N_127rocblas_gemm_batched_kernelI19rocblas_complex_numIdELi16ELi16ELi32ELi32ELi8ELi32ELi8ELi8ELi32ELc84ELc78EKPKS2_S5_KPS2_EEvlllT_PT11_llSA_llS8_PT12_llPT13_lli.has_dyn_sized_stack, 0
	.set _ZN12_GLOBAL__N_127rocblas_gemm_batched_kernelI19rocblas_complex_numIdELi16ELi16ELi32ELi32ELi8ELi32ELi8ELi8ELi32ELc84ELc78EKPKS2_S5_KPS2_EEvlllT_PT11_llSA_llS8_PT12_llPT13_lli.has_recursion, 0
	.set _ZN12_GLOBAL__N_127rocblas_gemm_batched_kernelI19rocblas_complex_numIdELi16ELi16ELi32ELi32ELi8ELi32ELi8ELi8ELi32ELc84ELc78EKPKS2_S5_KPS2_EEvlllT_PT11_llSA_llS8_PT12_llPT13_lli.has_indirect_call, 0
	.section	.AMDGPU.csdata,"",@progbits
; Kernel info:
; codeLenInByte = 2672
; TotalNumSgprs: 54
; NumVgprs: 196
; ScratchSize: 0
; MemoryBound: 0
; FloatMode: 240
; IeeeMode: 1
; LDSByteSize: 8192 bytes/workgroup (compile time only)
; SGPRBlocks: 0
; VGPRBlocks: 12
; NumSGPRsForWavesPerEU: 54
; NumVGPRsForWavesPerEU: 196
; NamedBarCnt: 0
; Occupancy: 4
; WaveLimiterHint : 1
; COMPUTE_PGM_RSRC2:SCRATCH_EN: 0
; COMPUTE_PGM_RSRC2:USER_SGPR: 2
; COMPUTE_PGM_RSRC2:TRAP_HANDLER: 0
; COMPUTE_PGM_RSRC2:TGID_X_EN: 1
; COMPUTE_PGM_RSRC2:TGID_Y_EN: 1
; COMPUTE_PGM_RSRC2:TGID_Z_EN: 1
; COMPUTE_PGM_RSRC2:TIDIG_COMP_CNT: 1
	.section	.text._ZN12_GLOBAL__N_127rocblas_gemm_batched_kernelI19rocblas_complex_numIdELi16ELi16ELi32ELi32ELi8ELi32ELi8ELi8ELi32ELc78ELc84EKPKS2_S5_KPS2_EEvlllT_PT11_llSA_llS8_PT12_llPT13_lli,"axG",@progbits,_ZN12_GLOBAL__N_127rocblas_gemm_batched_kernelI19rocblas_complex_numIdELi16ELi16ELi32ELi32ELi8ELi32ELi8ELi8ELi32ELc78ELc84EKPKS2_S5_KPS2_EEvlllT_PT11_llSA_llS8_PT12_llPT13_lli,comdat
	.globl	_ZN12_GLOBAL__N_127rocblas_gemm_batched_kernelI19rocblas_complex_numIdELi16ELi16ELi32ELi32ELi8ELi32ELi8ELi8ELi32ELc78ELc84EKPKS2_S5_KPS2_EEvlllT_PT11_llSA_llS8_PT12_llPT13_lli ; -- Begin function _ZN12_GLOBAL__N_127rocblas_gemm_batched_kernelI19rocblas_complex_numIdELi16ELi16ELi32ELi32ELi8ELi32ELi8ELi8ELi32ELc78ELc84EKPKS2_S5_KPS2_EEvlllT_PT11_llSA_llS8_PT12_llPT13_lli
	.p2align	8
	.type	_ZN12_GLOBAL__N_127rocblas_gemm_batched_kernelI19rocblas_complex_numIdELi16ELi16ELi32ELi32ELi8ELi32ELi8ELi8ELi32ELc78ELc84EKPKS2_S5_KPS2_EEvlllT_PT11_llSA_llS8_PT12_llPT13_lli,@function
_ZN12_GLOBAL__N_127rocblas_gemm_batched_kernelI19rocblas_complex_numIdELi16ELi16ELi32ELi32ELi8ELi32ELi8ELi8ELi32ELc78ELc84EKPKS2_S5_KPS2_EEvlllT_PT11_llSA_llS8_PT12_llPT13_lli: ; @_ZN12_GLOBAL__N_127rocblas_gemm_batched_kernelI19rocblas_complex_numIdELi16ELi16ELi32ELi32ELi8ELi32ELi8ELi8ELi32ELc78ELc84EKPKS2_S5_KPS2_EEvlllT_PT11_llSA_llS8_PT12_llPT13_lli
; %bb.0:
	s_load_b32 s28, s[0:1], 0x98
	s_bfe_u32 s2, ttmp6, 0x40014
	s_lshr_b32 s3, ttmp7, 16
	s_add_co_i32 s2, s2, 1
	s_bfe_u32 s4, ttmp6, 0x40008
	s_mul_i32 s2, s3, s2
	s_getreg_b32 s20, hwreg(HW_REG_IB_STS2, 6, 4)
	s_add_co_i32 s4, s4, s2
	s_cmp_eq_u32 s20, 0
	s_cselect_b32 s2, s3, s4
	s_mov_b32 s3, 0
	s_wait_kmcnt 0x0
	s_cmp_ge_i32 s2, s28
	s_cbranch_scc1 .LBB262_11
; %bb.1:
	s_clause 0x1
	s_load_b512 s[4:19], s[0:1], 0x10
	s_load_b512 s[36:51], s[0:1], 0x50
	v_bfe_u32 v56, v0, 10, 10
	v_and_b32_e32 v2, 0x3ff, v0
	s_bfe_u32 s22, ttmp6, 0x4000c
	s_bfe_u32 s23, ttmp6, 0x40010
	s_add_co_i32 s22, s22, 1
	s_and_b32 s24, ttmp7, 0xffff
	s_add_co_i32 s23, s23, 1
	s_and_b32 s21, ttmp6, 15
	s_mul_i32 s22, ttmp9, s22
	s_mul_i32 s23, s24, s23
	s_bfe_u32 s25, ttmp6, 0x40004
	v_lshl_add_u32 v3, v56, 4, v2
	v_mov_b32_e32 v57, 0
	s_add_co_i32 s21, s21, s22
	s_add_co_i32 s25, s25, s23
	s_cmp_eq_u32 s20, 0
	v_lshrrev_b32_e32 v12, 5, v3
	s_cselect_b32 s20, ttmp9, s21
	v_dual_mov_b32 v5, v57 :: v_dual_lshrrev_b32 v4, 3, v3
	s_cselect_b32 s22, s24, s25
	s_ashr_i32 s21, s20, 31
	s_lshl_b32 s22, s22, 5
	s_lshl_b64 s[20:21], s[20:21], 5
	s_mov_b32 s23, s3
	s_wait_kmcnt 0x0
	v_mad_nc_u64_u32 v[6:7], s12, v12, s[20:21]
	v_add_nc_u64_e32 v[8:9], s[22:23], v[4:5]
	v_add_nc_u64_e32 v[10:11], s[22:23], v[56:57]
	v_and_b32_e32 v5, 7, v0
	v_cmp_eq_f64_e64 s26, s[38:39], 0
	v_cmp_eq_f64_e64 s27, s[40:41], 0
	s_load_b64 s[24:25], s[0:1], 0x90
	s_wait_xcnt 0x0
	v_cmp_gt_i64_e64 s0, s[4:5], 0
	v_mad_nc_u64_u32 v[0:1], s18, v5, v[8:9]
	v_mul_u64_e32 v[58:59], s[50:51], v[10:11]
	v_mul_u64_e32 v[60:61], s[44:45], v[10:11]
	v_mad_u32 v7, s13, v12, v7
	v_dual_mov_b32 v9, v57 :: v_dual_bitop2_b32 v8, 31, v3 bitop3:0x40
	v_dual_mov_b32 v3, v57 :: v_dual_lshlrev_b32 v10, 4, v5
	v_lshlrev_b32_e32 v92, 4, v2
	v_lshl_add_u32 v56, v56, 7, 0x1000
	s_lshl_b64 s[22:23], s[44:45], 4
	v_mad_u32 v1, s19, v5, v1
	v_lshl_or_b32 v4, v4, 7, v10
	v_lshlrev_b32_e32 v5, 4, v8
	v_add_nc_u64_e32 v[6:7], v[6:7], v[8:9]
	v_add_nc_u64_e32 v[62:63], s[20:21], v[2:3]
	s_lshl_b64 s[20:21], s[50:51], 4
	v_add_nc_u32_e32 v94, 0x1000, v4
	v_cndmask_b32_e64 v4, 0, 1, s0
	v_lshl_or_b32 v93, v12, 9, v5
	s_lshl_b64 s[12:13], s[12:13], 7
	v_lshlrev_b64_e32 v[2:3], 4, v[6:7]
	v_lshlrev_b64_e32 v[0:1], 4, v[0:1]
	v_cmp_ne_u32_e64 s0, 1, v4
	s_delay_alu instid0(VALU_DEP_3) | instskip(NEXT) | instid1(VALU_DEP_3)
	v_lshl_add_u64 v[64:65], s[14:15], 4, v[2:3]
	v_lshl_add_u64 v[66:67], s[36:37], 4, v[0:1]
	s_and_b32 s1, s26, s27
	s_lshl_b64 s[14:15], s[18:19], 7
	s_wait_kmcnt 0x0
	s_lshl_b64 s[18:19], s[24:25], 4
	s_lshl_b64 s[24:25], s[46:47], 4
	s_branch .LBB262_3
.LBB262_2:                              ;   in Loop: Header=BB262_3 Depth=1
	s_add_co_i32 s2, s2, 0x10000
	flat_store_b64 v[4:5], v[2:3] offset:8
	s_cmp_lt_i32 s2, s28
	s_cbranch_scc0 .LBB262_11
.LBB262_3:                              ; =>This Loop Header: Depth=1
                                        ;     Child Loop BB262_5 Depth 2
	s_wait_xcnt 0x1
	v_mov_b32_e32 v0, s2
	s_and_b32 vcc_lo, exec_lo, s0
	s_clause 0x1
	global_load_b64 v[68:69], v0, s[42:43] scale_offset
	global_load_b64 v[74:75], v0, s[48:49] scale_offset
	s_cbranch_vccnz .LBB262_8
; %bb.4:                                ;   in Loop: Header=BB262_3 Depth=1
	s_lshl_b64 s[26:27], s[2:3], 3
	v_mov_b64_e32 v[72:73], 0
	s_add_nc_u64 s[30:31], s[10:11], s[26:27]
	s_add_nc_u64 s[26:27], s[16:17], s[26:27]
	s_clause 0x1
	global_load_b64 v[0:1], v57, s[30:31]
	global_load_b64 v[2:3], v57, s[26:27]
	v_mov_b64_e32 v[70:71], 0
	v_mov_b64_e32 v[78:79], 0
	;; [unrolled: 1-line block ×7, first 2 shown]
	s_wait_xcnt 0x0
	s_mov_b64 s[26:27], 0
	s_wait_loadcnt 0x1
	v_add_nc_u64_e32 v[86:87], v[0:1], v[64:65]
	s_wait_loadcnt 0x0
	v_add_nc_u64_e32 v[88:89], v[2:3], v[66:67]
.LBB262_5:                              ;   Parent Loop BB262_3 Depth=1
                                        ; =>  This Inner Loop Header: Depth=2
	flat_load_b128 v[0:3], v[86:87]
	flat_load_b128 v[4:7], v[88:89]
	s_add_nc_u64 s[26:27], s[26:27], 8
	s_wait_xcnt 0x1
	v_add_nc_u64_e32 v[86:87], s[12:13], v[86:87]
	v_cmp_lt_i64_e64 s29, s[26:27], s[4:5]
	s_wait_xcnt 0x0
	v_add_nc_u64_e32 v[88:89], s[14:15], v[88:89]
	s_wait_loadcnt_dscnt 0x101
	ds_store_2addr_b64 v93, v[0:1], v[2:3] offset1:1
	s_wait_loadcnt_dscnt 0x1
	ds_store_2addr_b64 v94, v[4:5], v[6:7] offset1:1
	s_wait_dscnt 0x0
	s_barrier_signal -1
	s_barrier_wait -1
	ds_load_b128 v[0:3], v92
	ds_load_b128 v[8:11], v92 offset:256
	ds_load_b128 v[12:15], v56
	ds_load_b128 v[4:7], v56 offset:16
	ds_load_b128 v[16:19], v56 offset:2048
	;; [unrolled: 1-line block ×28, first 2 shown]
	s_wait_dscnt 0x1c
	v_mul_f64_e32 v[164:165], v[14:15], v[2:3]
	v_mul_f64_e32 v[166:167], v[12:13], v[2:3]
	;; [unrolled: 1-line block ×4, first 2 shown]
	s_wait_dscnt 0x1a
	v_mul_f64_e32 v[172:173], v[18:19], v[2:3]
	v_mul_f64_e32 v[2:3], v[16:17], v[2:3]
	;; [unrolled: 1-line block ×4, first 2 shown]
	s_wait_dscnt 0x18
	v_mul_f64_e32 v[176:177], v[6:7], v[26:27]
	v_mul_f64_e32 v[178:179], v[4:5], v[26:27]
	s_wait_dscnt 0x17
	v_mul_f64_e32 v[180:181], v[6:7], v[34:35]
	v_mul_f64_e32 v[182:183], v[4:5], v[34:35]
	;; [unrolled: 1-line block ×6, first 2 shown]
	s_wait_dscnt 0x14
	v_mul_f64_e32 v[188:189], v[38:39], v[42:43]
	v_mul_f64_e32 v[190:191], v[36:37], v[42:43]
	s_wait_dscnt 0x13
	v_mul_f64_e32 v[192:193], v[38:39], v[46:47]
	v_mul_f64_e32 v[194:195], v[36:37], v[46:47]
	s_and_b32 vcc_lo, exec_lo, s29
	v_fma_f64 v[164:165], v[12:13], v[0:1], -v[164:165]
	v_fmac_f64_e32 v[166:167], v[14:15], v[0:1]
	v_fma_f64 v[12:13], v[12:13], v[8:9], -v[168:169]
	v_fmac_f64_e32 v[170:171], v[14:15], v[8:9]
	;; [unrolled: 2-line block ×4, first 2 shown]
	s_wait_dscnt 0x12
	v_mul_f64_e32 v[14:15], v[50:51], v[42:43]
	v_mul_f64_e32 v[42:43], v[48:49], v[42:43]
	;; [unrolled: 1-line block ×4, first 2 shown]
	v_fma_f64 v[176:177], v[4:5], v[24:25], -v[176:177]
	v_fmac_f64_e32 v[178:179], v[6:7], v[24:25]
	v_fma_f64 v[4:5], v[4:5], v[32:33], -v[180:181]
	v_fmac_f64_e32 v[182:183], v[6:7], v[32:33]
	v_fma_f64 v[180:181], v[20:21], v[24:25], -v[184:185]
	v_fmac_f64_e32 v[26:27], v[22:23], v[24:25]
	v_fma_f64 v[20:21], v[20:21], v[32:33], -v[186:187]
	v_fmac_f64_e32 v[34:35], v[22:23], v[32:33]
	s_wait_dscnt 0x10
	v_mul_f64_e32 v[8:9], v[30:31], v[98:99]
	v_mul_f64_e32 v[18:19], v[28:29], v[98:99]
	s_wait_dscnt 0xf
	v_mul_f64_e32 v[172:173], v[30:31], v[102:103]
	v_mul_f64_e32 v[174:175], v[28:29], v[102:103]
	;; [unrolled: 1-line block ×6, first 2 shown]
	v_fmac_f64_e32 v[190:191], v[38:39], v[40:41]
	v_fmac_f64_e32 v[194:195], v[38:39], v[44:45]
	v_add_f64_e32 v[22:23], v[84:85], v[164:165]
	v_add_f64_e32 v[32:33], v[166:167], v[90:91]
	;; [unrolled: 1-line block ×8, first 2 shown]
	s_wait_dscnt 0xc
	v_mul_f64_e32 v[70:71], v[114:115], v[106:107]
	v_mul_f64_e32 v[72:73], v[112:113], v[106:107]
	s_wait_dscnt 0xa
	v_mul_f64_e32 v[84:85], v[122:123], v[106:107]
	v_mul_f64_e32 v[90:91], v[120:121], v[106:107]
	v_fma_f64 v[106:107], v[36:37], v[40:41], -v[188:189]
	v_fma_f64 v[36:37], v[36:37], v[44:45], -v[192:193]
	;; [unrolled: 1-line block ×3, first 2 shown]
	v_fmac_f64_e32 v[42:43], v[50:51], v[40:41]
	v_fma_f64 v[0:1], v[48:49], v[44:45], -v[0:1]
	v_fmac_f64_e32 v[46:47], v[50:51], v[44:45]
	v_mul_f64_e32 v[78:79], v[114:115], v[110:111]
	v_mul_f64_e32 v[82:83], v[112:113], v[110:111]
	v_fma_f64 v[8:9], v[28:29], v[96:97], -v[8:9]
	v_fmac_f64_e32 v[18:19], v[30:31], v[96:97]
	v_fma_f64 v[28:29], v[28:29], v[100:101], -v[172:173]
	v_fmac_f64_e32 v[174:175], v[30:31], v[100:101]
	;; [unrolled: 2-line block ×4, first 2 shown]
	s_wait_dscnt 0x8
	v_mul_f64_e32 v[40:41], v[116:117], v[130:131]
	s_wait_dscnt 0x7
	v_mul_f64_e32 v[44:45], v[118:119], v[134:135]
	v_mul_f64_e32 v[48:49], v[116:117], v[134:135]
	v_add_f64_e32 v[22:23], v[22:23], v[176:177]
	v_add_f64_e32 v[32:33], v[178:179], v[32:33]
	;; [unrolled: 1-line block ×8, first 2 shown]
	v_mul_f64_e32 v[20:21], v[122:123], v[110:111]
	v_mul_f64_e32 v[26:27], v[120:121], v[110:111]
	;; [unrolled: 1-line block ×3, first 2 shown]
	v_fma_f64 v[50:51], v[112:113], v[104:105], -v[70:71]
	v_fmac_f64_e32 v[72:73], v[114:115], v[104:105]
	v_fma_f64 v[54:55], v[120:121], v[104:105], -v[84:85]
	v_fmac_f64_e32 v[90:91], v[122:123], v[104:105]
	s_wait_dscnt 0x1
	v_mul_f64_e32 v[70:71], v[156:157], v[142:143]
	s_wait_dscnt 0x0
	v_mul_f64_e32 v[76:77], v[162:163], v[154:155]
	v_fma_f64 v[52:53], v[112:113], v[108:109], -v[78:79]
	v_fmac_f64_e32 v[82:83], v[114:115], v[108:109]
	v_mul_f64_e32 v[78:79], v[160:161], v[154:155]
	v_fmac_f64_e32 v[40:41], v[118:119], v[128:129]
	v_fma_f64 v[44:45], v[116:117], v[132:133], -v[44:45]
	v_fmac_f64_e32 v[48:49], v[118:119], v[132:133]
	v_add_f64_e32 v[22:23], v[22:23], v[106:107]
	v_add_f64_e32 v[30:31], v[190:191], v[32:33]
	;; [unrolled: 1-line block ×8, first 2 shown]
	v_mul_f64_e32 v[16:17], v[126:127], v[130:131]
	v_mul_f64_e32 v[32:33], v[124:125], v[130:131]
	;; [unrolled: 1-line block ×4, first 2 shown]
	v_fma_f64 v[20:21], v[120:121], v[108:109], -v[20:21]
	v_fmac_f64_e32 v[26:27], v[122:123], v[108:109]
	v_mul_f64_e32 v[42:43], v[146:147], v[138:139]
	v_mul_f64_e32 v[46:47], v[144:145], v[138:139]
	v_fma_f64 v[34:35], v[116:117], v[128:129], -v[34:35]
	v_fmac_f64_e32 v[70:71], v[158:159], v[140:141]
	v_fmac_f64_e32 v[78:79], v[162:163], v[152:153]
	v_add_f64_e32 v[8:9], v[22:23], v[8:9]
	v_add_f64_e32 v[18:19], v[18:19], v[30:31]
	;; [unrolled: 1-line block ×8, first 2 shown]
	v_mul_f64_e32 v[14:15], v[146:147], v[142:143]
	v_mul_f64_e32 v[22:23], v[144:145], v[142:143]
	;; [unrolled: 1-line block ×5, first 2 shown]
	v_fma_f64 v[16:17], v[124:125], v[128:129], -v[16:17]
	v_fmac_f64_e32 v[32:33], v[126:127], v[128:129]
	v_fma_f64 v[36:37], v[124:125], v[132:133], -v[36:37]
	v_fmac_f64_e32 v[38:39], v[126:127], v[132:133]
	;; [unrolled: 2-line block ×3, first 2 shown]
	v_add_f64_e32 v[8:9], v[8:9], v[50:51]
	v_add_f64_e32 v[18:19], v[72:73], v[18:19]
	;; [unrolled: 1-line block ×8, first 2 shown]
	ds_load_b128 v[0:3], v92 offset:3840
	v_mul_f64_e32 v[26:27], v[150:151], v[154:155]
	v_mul_f64_e32 v[52:53], v[148:149], v[154:155]
	v_fma_f64 v[14:15], v[144:145], v[140:141], -v[14:15]
	v_fmac_f64_e32 v[22:23], v[146:147], v[140:141]
	v_fma_f64 v[24:25], v[156:157], v[136:137], -v[24:25]
	v_fmac_f64_e32 v[28:29], v[158:159], v[136:137]
	v_fma_f64 v[30:31], v[156:157], v[140:141], -v[30:31]
	s_wait_dscnt 0x0
	s_barrier_signal -1
	s_barrier_wait -1
	v_mul_f64_e32 v[54:55], v[150:151], v[2:3]
	v_mul_f64_e32 v[72:73], v[148:149], v[2:3]
	;; [unrolled: 1-line block ×4, first 2 shown]
	v_add_f64_e32 v[8:9], v[8:9], v[34:35]
	v_add_f64_e32 v[18:19], v[40:41], v[18:19]
	;; [unrolled: 1-line block ×8, first 2 shown]
	v_fma_f64 v[34:35], v[160:161], v[152:153], -v[76:77]
	v_fma_f64 v[26:27], v[148:149], v[152:153], -v[26:27]
	v_fmac_f64_e32 v[52:53], v[150:151], v[152:153]
	v_fma_f64 v[32:33], v[148:149], v[0:1], -v[54:55]
	v_fmac_f64_e32 v[72:73], v[150:151], v[0:1]
	;; [unrolled: 2-line block ×3, first 2 shown]
	v_add_f64_e32 v[0:1], v[8:9], v[42:43]
	v_add_f64_e32 v[8:9], v[46:47], v[18:19]
	;; [unrolled: 1-line block ×16, first 2 shown]
	s_cbranch_vccnz .LBB262_5
; %bb.6:                                ;   in Loop: Header=BB262_3 Depth=1
	v_add_nc_u64_e32 v[0:1], s[18:19], v[74:75]
	s_and_not1_b32 vcc_lo, exec_lo, s1
	s_mov_b32 s26, -1
                                        ; implicit-def: $vgpr2_vgpr3
                                        ; implicit-def: $vgpr4_vgpr5
	s_cbranch_vccnz .LBB262_9
.LBB262_7:                              ;   in Loop: Header=BB262_3 Depth=1
	v_mul_f64_e32 v[4:5], s[8:9], v[90:91]
	v_mul_f64_e32 v[8:9], s[6:7], v[90:91]
	s_delay_alu instid0(VALU_DEP_4)
	v_mul_f64_e32 v[2:3], s[6:7], v[72:73]
	v_mul_f64_e32 v[10:11], s[8:9], v[82:83]
	;; [unrolled: 1-line block ×6, first 2 shown]
	v_lshlrev_b64_e32 v[20:21], 4, v[62:63]
	v_fma_f64 v[6:7], s[6:7], v[84:85], -v[4:5]
	v_fmac_f64_e32 v[8:9], s[8:9], v[84:85]
	v_fmac_f64_e32 v[2:3], s[8:9], v[70:71]
	v_fma_f64 v[10:11], s[6:7], v[80:81], -v[10:11]
	v_fmac_f64_e32 v[12:13], s[8:9], v[80:81]
	v_fma_f64 v[14:15], s[6:7], v[76:77], -v[14:15]
	;; [unrolled: 2-line block ×3, first 2 shown]
	v_lshl_add_u64 v[4:5], v[58:59], 4, v[0:1]
	s_delay_alu instid0(VALU_DEP_1) | instskip(NEXT) | instid1(VALU_DEP_1)
	v_lshl_add_u64 v[22:23], s[20:21], 4, v[4:5]
	v_add_nc_u64_e32 v[22:23], v[22:23], v[20:21]
	v_add_nc_u64_e32 v[20:21], v[4:5], v[20:21]
	s_clause 0x3
	flat_store_b128 v[20:21], v[6:9]
	flat_store_b128 v[20:21], v[10:13] offset:256
	flat_store_b128 v[22:23], v[14:17]
	flat_store_b64 v[22:23], v[18:19] offset:256
	v_add_nc_u64_e32 v[4:5], 0x100, v[22:23]
	s_cbranch_execnz .LBB262_2
	s_branch .LBB262_10
.LBB262_8:                              ;   in Loop: Header=BB262_3 Depth=1
	v_mov_b64_e32 v[84:85], 0
	v_mov_b64_e32 v[90:91], 0
	;; [unrolled: 1-line block ×8, first 2 shown]
	s_wait_loadcnt 0x0
	s_wait_xcnt 0x0
	v_add_nc_u64_e32 v[0:1], s[18:19], v[74:75]
	s_and_not1_b32 vcc_lo, exec_lo, s1
	s_mov_b32 s26, -1
                                        ; implicit-def: $vgpr2_vgpr3
                                        ; implicit-def: $vgpr4_vgpr5
	s_cbranch_vccz .LBB262_7
.LBB262_9:                              ;   in Loop: Header=BB262_3 Depth=1
	s_and_not1_b32 vcc_lo, exec_lo, s26
	s_cbranch_vccnz .LBB262_2
.LBB262_10:                             ;   in Loop: Header=BB262_3 Depth=1
	v_add_nc_u64_e32 v[2:3], s[24:25], v[68:69]
	s_wait_xcnt 0x3
	v_lshlrev_b64_e32 v[6:7], 4, v[62:63]
	s_wait_xcnt 0x2
	v_mul_f64_e32 v[12:13], s[8:9], v[90:91]
	s_wait_xcnt 0x1
	v_mul_f64_e32 v[14:15], s[6:7], v[90:91]
	v_lshl_add_u64 v[8:9], v[60:61], 4, v[2:3]
	s_delay_alu instid0(VALU_DEP_1)
	v_add_nc_u64_e32 v[10:11], v[8:9], v[6:7]
	flat_load_b128 v[2:5], v[10:11]
	v_fma_f64 v[12:13], s[6:7], v[84:85], -v[12:13]
	v_fmac_f64_e32 v[14:15], s[8:9], v[84:85]
	s_wait_loadcnt_dscnt 0x0
	v_mul_f64_e32 v[16:17], s[40:41], v[4:5]
	v_mul_f64_e32 v[4:5], s[38:39], v[4:5]
	s_delay_alu instid0(VALU_DEP_2) | instskip(NEXT) | instid1(VALU_DEP_2)
	v_fma_f64 v[16:17], s[38:39], v[2:3], -v[16:17]
	v_fmac_f64_e32 v[4:5], s[40:41], v[2:3]
	s_delay_alu instid0(VALU_DEP_2) | instskip(NEXT) | instid1(VALU_DEP_2)
	v_add_f64_e32 v[2:3], v[12:13], v[16:17]
	v_add_f64_e32 v[4:5], v[14:15], v[4:5]
	v_lshl_add_u64 v[12:13], v[58:59], 4, v[0:1]
	s_delay_alu instid0(VALU_DEP_1)
	v_add_nc_u64_e32 v[14:15], v[12:13], v[6:7]
	flat_store_b128 v[14:15], v[2:5]
	flat_load_b128 v[0:3], v[10:11] offset:256
	v_mul_f64_e32 v[4:5], s[8:9], v[82:83]
	s_wait_xcnt 0x0
	v_mul_f64_e32 v[10:11], s[6:7], v[82:83]
	s_delay_alu instid0(VALU_DEP_2) | instskip(NEXT) | instid1(VALU_DEP_2)
	v_fma_f64 v[4:5], s[6:7], v[80:81], -v[4:5]
	v_fmac_f64_e32 v[10:11], s[8:9], v[80:81]
	s_wait_loadcnt_dscnt 0x0
	v_mul_f64_e32 v[16:17], s[40:41], v[2:3]
	v_mul_f64_e32 v[2:3], s[38:39], v[2:3]
	s_delay_alu instid0(VALU_DEP_2) | instskip(NEXT) | instid1(VALU_DEP_2)
	v_fma_f64 v[16:17], s[38:39], v[0:1], -v[16:17]
	v_fmac_f64_e32 v[2:3], s[40:41], v[0:1]
	s_delay_alu instid0(VALU_DEP_2) | instskip(NEXT) | instid1(VALU_DEP_2)
	v_add_f64_e32 v[0:1], v[4:5], v[16:17]
	v_add_f64_e32 v[2:3], v[10:11], v[2:3]
	v_lshl_add_u64 v[4:5], s[22:23], 4, v[8:9]
	v_mul_f64_e32 v[8:9], s[8:9], v[78:79]
	v_mul_f64_e32 v[10:11], s[6:7], v[78:79]
	s_delay_alu instid0(VALU_DEP_3)
	v_add_nc_u64_e32 v[4:5], v[4:5], v[6:7]
	flat_store_b128 v[14:15], v[0:3] offset:256
	flat_load_b128 v[0:3], v[4:5]
	v_fma_f64 v[8:9], s[6:7], v[76:77], -v[8:9]
	v_fmac_f64_e32 v[10:11], s[8:9], v[76:77]
	s_wait_loadcnt_dscnt 0x0
	v_mul_f64_e32 v[14:15], s[40:41], v[2:3]
	v_mul_f64_e32 v[2:3], s[38:39], v[2:3]
	s_delay_alu instid0(VALU_DEP_2) | instskip(NEXT) | instid1(VALU_DEP_2)
	v_fma_f64 v[14:15], s[38:39], v[0:1], -v[14:15]
	v_fmac_f64_e32 v[2:3], s[40:41], v[0:1]
	s_delay_alu instid0(VALU_DEP_2) | instskip(NEXT) | instid1(VALU_DEP_2)
	v_add_f64_e32 v[0:1], v[8:9], v[14:15]
	v_add_f64_e32 v[2:3], v[10:11], v[2:3]
	v_lshl_add_u64 v[8:9], s[20:21], 4, v[12:13]
	s_delay_alu instid0(VALU_DEP_1)
	v_add_nc_u64_e32 v[6:7], v[8:9], v[6:7]
	v_mul_f64_e32 v[8:9], s[6:7], v[72:73]
	flat_store_b128 v[6:7], v[0:3]
	flat_load_b128 v[0:3], v[4:5] offset:256
	s_wait_xcnt 0x0
	v_mul_f64_e32 v[4:5], s[8:9], v[72:73]
	v_fmac_f64_e32 v[8:9], s[8:9], v[70:71]
	s_delay_alu instid0(VALU_DEP_2) | instskip(SKIP_3) | instid1(VALU_DEP_2)
	v_fma_f64 v[4:5], s[6:7], v[70:71], -v[4:5]
	s_wait_loadcnt_dscnt 0x0
	v_mul_f64_e32 v[10:11], s[40:41], v[2:3]
	v_mul_f64_e32 v[2:3], s[38:39], v[2:3]
	v_fma_f64 v[10:11], s[38:39], v[0:1], -v[10:11]
	s_delay_alu instid0(VALU_DEP_2) | instskip(NEXT) | instid1(VALU_DEP_2)
	v_fmac_f64_e32 v[2:3], s[40:41], v[0:1]
	v_add_f64_e32 v[0:1], v[4:5], v[10:11]
	s_delay_alu instid0(VALU_DEP_2)
	v_add_f64_e32 v[2:3], v[8:9], v[2:3]
	v_add_nc_u64_e32 v[4:5], 0x100, v[6:7]
	flat_store_b64 v[6:7], v[0:1] offset:256
	s_branch .LBB262_2
.LBB262_11:
	s_sendmsg sendmsg(MSG_DEALLOC_VGPRS)
	s_endpgm
	.section	.rodata,"a",@progbits
	.p2align	6, 0x0
	.amdhsa_kernel _ZN12_GLOBAL__N_127rocblas_gemm_batched_kernelI19rocblas_complex_numIdELi16ELi16ELi32ELi32ELi8ELi32ELi8ELi8ELi32ELc78ELc84EKPKS2_S5_KPS2_EEvlllT_PT11_llSA_llS8_PT12_llPT13_lli
		.amdhsa_group_segment_fixed_size 8192
		.amdhsa_private_segment_fixed_size 0
		.amdhsa_kernarg_size 156
		.amdhsa_user_sgpr_count 2
		.amdhsa_user_sgpr_dispatch_ptr 0
		.amdhsa_user_sgpr_queue_ptr 0
		.amdhsa_user_sgpr_kernarg_segment_ptr 1
		.amdhsa_user_sgpr_dispatch_id 0
		.amdhsa_user_sgpr_kernarg_preload_length 0
		.amdhsa_user_sgpr_kernarg_preload_offset 0
		.amdhsa_user_sgpr_private_segment_size 0
		.amdhsa_wavefront_size32 1
		.amdhsa_uses_dynamic_stack 0
		.amdhsa_enable_private_segment 0
		.amdhsa_system_sgpr_workgroup_id_x 1
		.amdhsa_system_sgpr_workgroup_id_y 1
		.amdhsa_system_sgpr_workgroup_id_z 1
		.amdhsa_system_sgpr_workgroup_info 0
		.amdhsa_system_vgpr_workitem_id 1
		.amdhsa_next_free_vgpr 196
		.amdhsa_next_free_sgpr 52
		.amdhsa_named_barrier_count 0
		.amdhsa_reserve_vcc 1
		.amdhsa_float_round_mode_32 0
		.amdhsa_float_round_mode_16_64 0
		.amdhsa_float_denorm_mode_32 3
		.amdhsa_float_denorm_mode_16_64 3
		.amdhsa_fp16_overflow 0
		.amdhsa_memory_ordered 1
		.amdhsa_forward_progress 1
		.amdhsa_inst_pref_size 21
		.amdhsa_round_robin_scheduling 0
		.amdhsa_exception_fp_ieee_invalid_op 0
		.amdhsa_exception_fp_denorm_src 0
		.amdhsa_exception_fp_ieee_div_zero 0
		.amdhsa_exception_fp_ieee_overflow 0
		.amdhsa_exception_fp_ieee_underflow 0
		.amdhsa_exception_fp_ieee_inexact 0
		.amdhsa_exception_int_div_zero 0
	.end_amdhsa_kernel
	.section	.text._ZN12_GLOBAL__N_127rocblas_gemm_batched_kernelI19rocblas_complex_numIdELi16ELi16ELi32ELi32ELi8ELi32ELi8ELi8ELi32ELc78ELc84EKPKS2_S5_KPS2_EEvlllT_PT11_llSA_llS8_PT12_llPT13_lli,"axG",@progbits,_ZN12_GLOBAL__N_127rocblas_gemm_batched_kernelI19rocblas_complex_numIdELi16ELi16ELi32ELi32ELi8ELi32ELi8ELi8ELi32ELc78ELc84EKPKS2_S5_KPS2_EEvlllT_PT11_llSA_llS8_PT12_llPT13_lli,comdat
.Lfunc_end262:
	.size	_ZN12_GLOBAL__N_127rocblas_gemm_batched_kernelI19rocblas_complex_numIdELi16ELi16ELi32ELi32ELi8ELi32ELi8ELi8ELi32ELc78ELc84EKPKS2_S5_KPS2_EEvlllT_PT11_llSA_llS8_PT12_llPT13_lli, .Lfunc_end262-_ZN12_GLOBAL__N_127rocblas_gemm_batched_kernelI19rocblas_complex_numIdELi16ELi16ELi32ELi32ELi8ELi32ELi8ELi8ELi32ELc78ELc84EKPKS2_S5_KPS2_EEvlllT_PT11_llSA_llS8_PT12_llPT13_lli
                                        ; -- End function
	.set _ZN12_GLOBAL__N_127rocblas_gemm_batched_kernelI19rocblas_complex_numIdELi16ELi16ELi32ELi32ELi8ELi32ELi8ELi8ELi32ELc78ELc84EKPKS2_S5_KPS2_EEvlllT_PT11_llSA_llS8_PT12_llPT13_lli.num_vgpr, 196
	.set _ZN12_GLOBAL__N_127rocblas_gemm_batched_kernelI19rocblas_complex_numIdELi16ELi16ELi32ELi32ELi8ELi32ELi8ELi8ELi32ELc78ELc84EKPKS2_S5_KPS2_EEvlllT_PT11_llSA_llS8_PT12_llPT13_lli.num_agpr, 0
	.set _ZN12_GLOBAL__N_127rocblas_gemm_batched_kernelI19rocblas_complex_numIdELi16ELi16ELi32ELi32ELi8ELi32ELi8ELi8ELi32ELc78ELc84EKPKS2_S5_KPS2_EEvlllT_PT11_llSA_llS8_PT12_llPT13_lli.numbered_sgpr, 52
	.set _ZN12_GLOBAL__N_127rocblas_gemm_batched_kernelI19rocblas_complex_numIdELi16ELi16ELi32ELi32ELi8ELi32ELi8ELi8ELi32ELc78ELc84EKPKS2_S5_KPS2_EEvlllT_PT11_llSA_llS8_PT12_llPT13_lli.num_named_barrier, 0
	.set _ZN12_GLOBAL__N_127rocblas_gemm_batched_kernelI19rocblas_complex_numIdELi16ELi16ELi32ELi32ELi8ELi32ELi8ELi8ELi32ELc78ELc84EKPKS2_S5_KPS2_EEvlllT_PT11_llSA_llS8_PT12_llPT13_lli.private_seg_size, 0
	.set _ZN12_GLOBAL__N_127rocblas_gemm_batched_kernelI19rocblas_complex_numIdELi16ELi16ELi32ELi32ELi8ELi32ELi8ELi8ELi32ELc78ELc84EKPKS2_S5_KPS2_EEvlllT_PT11_llSA_llS8_PT12_llPT13_lli.uses_vcc, 1
	.set _ZN12_GLOBAL__N_127rocblas_gemm_batched_kernelI19rocblas_complex_numIdELi16ELi16ELi32ELi32ELi8ELi32ELi8ELi8ELi32ELc78ELc84EKPKS2_S5_KPS2_EEvlllT_PT11_llSA_llS8_PT12_llPT13_lli.uses_flat_scratch, 1
	.set _ZN12_GLOBAL__N_127rocblas_gemm_batched_kernelI19rocblas_complex_numIdELi16ELi16ELi32ELi32ELi8ELi32ELi8ELi8ELi32ELc78ELc84EKPKS2_S5_KPS2_EEvlllT_PT11_llSA_llS8_PT12_llPT13_lli.has_dyn_sized_stack, 0
	.set _ZN12_GLOBAL__N_127rocblas_gemm_batched_kernelI19rocblas_complex_numIdELi16ELi16ELi32ELi32ELi8ELi32ELi8ELi8ELi32ELc78ELc84EKPKS2_S5_KPS2_EEvlllT_PT11_llSA_llS8_PT12_llPT13_lli.has_recursion, 0
	.set _ZN12_GLOBAL__N_127rocblas_gemm_batched_kernelI19rocblas_complex_numIdELi16ELi16ELi32ELi32ELi8ELi32ELi8ELi8ELi32ELc78ELc84EKPKS2_S5_KPS2_EEvlllT_PT11_llSA_llS8_PT12_llPT13_lli.has_indirect_call, 0
	.section	.AMDGPU.csdata,"",@progbits
; Kernel info:
; codeLenInByte = 2668
; TotalNumSgprs: 54
; NumVgprs: 196
; ScratchSize: 0
; MemoryBound: 0
; FloatMode: 240
; IeeeMode: 1
; LDSByteSize: 8192 bytes/workgroup (compile time only)
; SGPRBlocks: 0
; VGPRBlocks: 12
; NumSGPRsForWavesPerEU: 54
; NumVGPRsForWavesPerEU: 196
; NamedBarCnt: 0
; Occupancy: 4
; WaveLimiterHint : 1
; COMPUTE_PGM_RSRC2:SCRATCH_EN: 0
; COMPUTE_PGM_RSRC2:USER_SGPR: 2
; COMPUTE_PGM_RSRC2:TRAP_HANDLER: 0
; COMPUTE_PGM_RSRC2:TGID_X_EN: 1
; COMPUTE_PGM_RSRC2:TGID_Y_EN: 1
; COMPUTE_PGM_RSRC2:TGID_Z_EN: 1
; COMPUTE_PGM_RSRC2:TIDIG_COMP_CNT: 1
	.section	.text._ZN12_GLOBAL__N_127rocblas_gemm_batched_kernelI19rocblas_complex_numIdELi16ELi16ELi32ELi32ELi8ELi32ELi8ELi8ELi32ELc84ELc84EKPKS2_S5_KPS2_EEvlllT_PT11_llSA_llS8_PT12_llPT13_lli,"axG",@progbits,_ZN12_GLOBAL__N_127rocblas_gemm_batched_kernelI19rocblas_complex_numIdELi16ELi16ELi32ELi32ELi8ELi32ELi8ELi8ELi32ELc84ELc84EKPKS2_S5_KPS2_EEvlllT_PT11_llSA_llS8_PT12_llPT13_lli,comdat
	.globl	_ZN12_GLOBAL__N_127rocblas_gemm_batched_kernelI19rocblas_complex_numIdELi16ELi16ELi32ELi32ELi8ELi32ELi8ELi8ELi32ELc84ELc84EKPKS2_S5_KPS2_EEvlllT_PT11_llSA_llS8_PT12_llPT13_lli ; -- Begin function _ZN12_GLOBAL__N_127rocblas_gemm_batched_kernelI19rocblas_complex_numIdELi16ELi16ELi32ELi32ELi8ELi32ELi8ELi8ELi32ELc84ELc84EKPKS2_S5_KPS2_EEvlllT_PT11_llSA_llS8_PT12_llPT13_lli
	.p2align	8
	.type	_ZN12_GLOBAL__N_127rocblas_gemm_batched_kernelI19rocblas_complex_numIdELi16ELi16ELi32ELi32ELi8ELi32ELi8ELi8ELi32ELc84ELc84EKPKS2_S5_KPS2_EEvlllT_PT11_llSA_llS8_PT12_llPT13_lli,@function
_ZN12_GLOBAL__N_127rocblas_gemm_batched_kernelI19rocblas_complex_numIdELi16ELi16ELi32ELi32ELi8ELi32ELi8ELi8ELi32ELc84ELc84EKPKS2_S5_KPS2_EEvlllT_PT11_llSA_llS8_PT12_llPT13_lli: ; @_ZN12_GLOBAL__N_127rocblas_gemm_batched_kernelI19rocblas_complex_numIdELi16ELi16ELi32ELi32ELi8ELi32ELi8ELi8ELi32ELc84ELc84EKPKS2_S5_KPS2_EEvlllT_PT11_llSA_llS8_PT12_llPT13_lli
; %bb.0:
	s_load_b32 s26, s[0:1], 0x98
	s_bfe_u32 s2, ttmp6, 0x40014
	s_lshr_b32 s3, ttmp7, 16
	s_add_co_i32 s2, s2, 1
	s_bfe_u32 s4, ttmp6, 0x40008
	s_mul_i32 s2, s3, s2
	s_getreg_b32 s20, hwreg(HW_REG_IB_STS2, 6, 4)
	s_add_co_i32 s4, s4, s2
	s_cmp_eq_u32 s20, 0
	s_cselect_b32 s2, s3, s4
	s_mov_b32 s3, 0
	s_wait_kmcnt 0x0
	s_cmp_ge_i32 s2, s26
	s_cbranch_scc1 .LBB263_11
; %bb.1:
	v_bfe_u32 v56, v0, 10, 10
	v_and_b32_e32 v2, 0x3ff, v0
	s_bfe_u32 s21, ttmp6, 0x4000c
	s_bfe_u32 s23, ttmp6, 0x40010
	s_clause 0x1
	s_load_b512 s[4:19], s[0:1], 0x10
	s_load_b512 s[36:51], s[0:1], 0x50
	s_add_co_i32 s21, s21, 1
	s_and_b32 s24, ttmp7, 0xffff
	s_add_co_i32 s23, s23, 1
	s_and_b32 s22, ttmp6, 15
	s_mul_i32 s21, ttmp9, s21
	s_mul_i32 s23, s24, s23
	s_bfe_u32 s25, ttmp6, 0x40004
	v_lshl_add_u32 v10, v56, 4, v2
	s_add_co_i32 s22, s22, s21
	s_add_co_i32 s25, s25, s23
	s_cmp_eq_u32 s20, 0
	s_delay_alu instid0(VALU_DEP_1) | instskip(SKIP_3) | instid1(VALU_DEP_1)
	v_dual_mov_b32 v57, 0 :: v_dual_bitop2_b32 v11, 31, v10 bitop3:0x40
	s_cselect_b32 s20, ttmp9, s22
	s_cselect_b32 s22, s24, s25
	s_ashr_i32 s21, s20, 31
	v_dual_mov_b32 v7, v57 :: v_dual_lshrrev_b32 v6, 3, v10
	s_lshl_b64 s[20:21], s[20:21], 5
	s_wait_kmcnt 0x0
	v_cmp_eq_f64_e64 s24, s[38:39], 0
	v_dual_mov_b32 v5, s21 :: v_dual_bitop2_b32 v4, s20, v11 bitop3:0x54
	v_cmp_eq_f64_e64 s25, s[40:41], 0
	v_dual_mov_b32 v3, v57 :: v_dual_lshrrev_b32 v10, 5, v10
	v_lshlrev_b32_e32 v92, 4, v2
	s_delay_alu instid0(VALU_DEP_4)
	v_mul_u64_e32 v[4:5], s[12:13], v[4:5]
	s_lshl_b32 s12, s22, 5
	s_mov_b32 s13, s3
	s_load_b64 s[22:23], s[0:1], 0x90
	v_add_nc_u64_e32 v[8:9], s[12:13], v[6:7]
	v_and_b32_e32 v7, 7, v0
	v_add_nc_u64_e32 v[0:1], s[12:13], v[56:57]
	s_wait_xcnt 0x0
	v_cmp_gt_i64_e64 s0, s[4:5], 0
	s_lshl_b64 s[12:13], s[14:15], 4
	v_lshl_add_u32 v93, v56, 7, 0x1000
	v_add_nc_u64_e32 v[62:63], s[20:21], v[2:3]
	v_mad_nc_u64_u32 v[8:9], s18, v7, v[8:9]
	v_lshlrev_b32_e32 v56, 4, v10
	v_mul_u64_e32 v[58:59], s[50:51], v[0:1]
	v_mul_u64_e32 v[60:61], s[44:45], v[0:1]
	v_lshlrev_b32_e32 v0, 4, v7
	v_lshlrev_b32_e32 v1, 4, v11
	s_lshl_b64 s[14:15], s[44:45], 4
	s_delay_alu instid0(VALU_DEP_2) | instskip(NEXT) | instid1(VALU_DEP_2)
	v_lshl_or_b32 v0, v6, 7, v0
	v_lshl_or_b32 v94, v10, 9, v1
	v_mad_u32 v9, s19, v7, v9
	s_lshl_b64 s[18:19], s[18:19], 7
	s_wait_kmcnt 0x0
	s_lshl_b64 s[20:21], s[22:23], 4
	v_add_nc_u32_e32 v95, 0x1000, v0
	s_lshl_b64 s[22:23], s[46:47], 4
	s_and_b32 s1, s24, s25
	v_lshl_add_u64 v[0:1], v[4:5], 4, s[12:13]
	s_delay_alu instid0(VALU_DEP_3) | instskip(SKIP_2) | instid1(VALU_DEP_3)
	v_lshlrev_b64_e32 v[2:3], 4, v[8:9]
	v_cndmask_b32_e64 v4, 0, 1, s0
	s_lshl_b64 s[12:13], s[50:51], 4
	v_add_nc_u64_e32 v[64:65], v[0:1], v[56:57]
	s_delay_alu instid0(VALU_DEP_2) | instskip(NEXT) | instid1(VALU_DEP_4)
	v_cmp_ne_u32_e64 s0, 1, v4
	v_lshl_add_u64 v[66:67], s[36:37], 4, v[2:3]
	s_branch .LBB263_3
.LBB263_2:                              ;   in Loop: Header=BB263_3 Depth=1
	s_add_co_i32 s2, s2, 0x10000
	flat_store_b64 v[4:5], v[2:3] offset:8
	s_cmp_lt_i32 s2, s26
	s_cbranch_scc0 .LBB263_11
.LBB263_3:                              ; =>This Loop Header: Depth=1
                                        ;     Child Loop BB263_5 Depth 2
	s_wait_xcnt 0x1
	v_mov_b32_e32 v0, s2
	s_and_b32 vcc_lo, exec_lo, s0
	s_clause 0x1
	global_load_b64 v[68:69], v0, s[42:43] scale_offset
	global_load_b64 v[74:75], v0, s[48:49] scale_offset
	s_cbranch_vccnz .LBB263_8
; %bb.4:                                ;   in Loop: Header=BB263_3 Depth=1
	s_lshl_b64 s[24:25], s[2:3], 3
	v_mov_b64_e32 v[72:73], 0
	s_add_nc_u64 s[28:29], s[10:11], s[24:25]
	s_add_nc_u64 s[24:25], s[16:17], s[24:25]
	s_clause 0x1
	global_load_b64 v[0:1], v57, s[28:29]
	global_load_b64 v[2:3], v57, s[24:25]
	v_mov_b64_e32 v[70:71], 0
	v_mov_b64_e32 v[78:79], 0
	;; [unrolled: 1-line block ×7, first 2 shown]
	s_wait_xcnt 0x0
	s_mov_b64 s[24:25], 0
	s_wait_loadcnt 0x1
	v_add_nc_u64_e32 v[86:87], v[0:1], v[64:65]
	s_wait_loadcnt 0x0
	v_add_nc_u64_e32 v[88:89], v[2:3], v[66:67]
.LBB263_5:                              ;   Parent Loop BB263_3 Depth=1
                                        ; =>  This Inner Loop Header: Depth=2
	flat_load_b128 v[0:3], v[86:87]
	flat_load_b128 v[4:7], v[88:89]
	s_add_nc_u64 s[24:25], s[24:25], 8
	s_wait_xcnt 0x1
	v_add_nc_u64_e32 v[86:87], 0x80, v[86:87]
	v_cmp_lt_i64_e64 s27, s[24:25], s[4:5]
	s_wait_xcnt 0x0
	v_add_nc_u64_e32 v[88:89], s[18:19], v[88:89]
	s_wait_loadcnt_dscnt 0x101
	ds_store_2addr_b64 v94, v[0:1], v[2:3] offset1:1
	s_wait_loadcnt_dscnt 0x1
	ds_store_2addr_b64 v95, v[4:5], v[6:7] offset1:1
	s_wait_dscnt 0x0
	s_barrier_signal -1
	s_barrier_wait -1
	ds_load_b128 v[0:3], v92
	ds_load_b128 v[8:11], v92 offset:256
	ds_load_b128 v[12:15], v93
	ds_load_b128 v[4:7], v93 offset:16
	ds_load_b128 v[16:19], v93 offset:2048
	;; [unrolled: 1-line block ×28, first 2 shown]
	s_wait_dscnt 0x1c
	v_mul_f64_e32 v[164:165], v[14:15], v[2:3]
	v_mul_f64_e32 v[166:167], v[12:13], v[2:3]
	;; [unrolled: 1-line block ×4, first 2 shown]
	s_wait_dscnt 0x1a
	v_mul_f64_e32 v[172:173], v[18:19], v[2:3]
	v_mul_f64_e32 v[2:3], v[16:17], v[2:3]
	;; [unrolled: 1-line block ×4, first 2 shown]
	s_wait_dscnt 0x18
	v_mul_f64_e32 v[176:177], v[6:7], v[26:27]
	v_mul_f64_e32 v[178:179], v[4:5], v[26:27]
	s_wait_dscnt 0x17
	v_mul_f64_e32 v[180:181], v[6:7], v[34:35]
	v_mul_f64_e32 v[182:183], v[4:5], v[34:35]
	;; [unrolled: 1-line block ×6, first 2 shown]
	s_wait_dscnt 0x14
	v_mul_f64_e32 v[188:189], v[38:39], v[42:43]
	v_mul_f64_e32 v[190:191], v[36:37], v[42:43]
	s_wait_dscnt 0x13
	v_mul_f64_e32 v[192:193], v[38:39], v[46:47]
	v_mul_f64_e32 v[194:195], v[36:37], v[46:47]
	s_and_b32 vcc_lo, exec_lo, s27
	v_fma_f64 v[164:165], v[12:13], v[0:1], -v[164:165]
	v_fmac_f64_e32 v[166:167], v[14:15], v[0:1]
	v_fma_f64 v[12:13], v[12:13], v[8:9], -v[168:169]
	v_fmac_f64_e32 v[170:171], v[14:15], v[8:9]
	;; [unrolled: 2-line block ×4, first 2 shown]
	s_wait_dscnt 0x12
	v_mul_f64_e32 v[14:15], v[50:51], v[42:43]
	v_mul_f64_e32 v[42:43], v[48:49], v[42:43]
	;; [unrolled: 1-line block ×4, first 2 shown]
	v_fma_f64 v[176:177], v[4:5], v[24:25], -v[176:177]
	v_fmac_f64_e32 v[178:179], v[6:7], v[24:25]
	v_fma_f64 v[4:5], v[4:5], v[32:33], -v[180:181]
	v_fmac_f64_e32 v[182:183], v[6:7], v[32:33]
	;; [unrolled: 2-line block ×4, first 2 shown]
	s_wait_dscnt 0x10
	v_mul_f64_e32 v[8:9], v[30:31], v[98:99]
	v_mul_f64_e32 v[18:19], v[28:29], v[98:99]
	s_wait_dscnt 0xf
	v_mul_f64_e32 v[172:173], v[30:31], v[102:103]
	v_mul_f64_e32 v[174:175], v[28:29], v[102:103]
	;; [unrolled: 1-line block ×6, first 2 shown]
	v_fmac_f64_e32 v[190:191], v[38:39], v[40:41]
	v_fmac_f64_e32 v[194:195], v[38:39], v[44:45]
	v_add_f64_e32 v[22:23], v[84:85], v[164:165]
	v_add_f64_e32 v[32:33], v[166:167], v[90:91]
	;; [unrolled: 1-line block ×8, first 2 shown]
	s_wait_dscnt 0xc
	v_mul_f64_e32 v[70:71], v[114:115], v[106:107]
	v_mul_f64_e32 v[72:73], v[112:113], v[106:107]
	s_wait_dscnt 0xa
	v_mul_f64_e32 v[84:85], v[122:123], v[106:107]
	v_mul_f64_e32 v[90:91], v[120:121], v[106:107]
	v_fma_f64 v[106:107], v[36:37], v[40:41], -v[188:189]
	v_fma_f64 v[36:37], v[36:37], v[44:45], -v[192:193]
	;; [unrolled: 1-line block ×3, first 2 shown]
	v_fmac_f64_e32 v[42:43], v[50:51], v[40:41]
	v_fma_f64 v[0:1], v[48:49], v[44:45], -v[0:1]
	v_fmac_f64_e32 v[46:47], v[50:51], v[44:45]
	v_mul_f64_e32 v[78:79], v[114:115], v[110:111]
	v_mul_f64_e32 v[82:83], v[112:113], v[110:111]
	v_fma_f64 v[8:9], v[28:29], v[96:97], -v[8:9]
	v_fmac_f64_e32 v[18:19], v[30:31], v[96:97]
	v_fma_f64 v[28:29], v[28:29], v[100:101], -v[172:173]
	v_fmac_f64_e32 v[174:175], v[30:31], v[100:101]
	;; [unrolled: 2-line block ×4, first 2 shown]
	s_wait_dscnt 0x8
	v_mul_f64_e32 v[40:41], v[116:117], v[130:131]
	s_wait_dscnt 0x7
	v_mul_f64_e32 v[44:45], v[118:119], v[134:135]
	v_mul_f64_e32 v[48:49], v[116:117], v[134:135]
	v_add_f64_e32 v[22:23], v[22:23], v[176:177]
	v_add_f64_e32 v[32:33], v[178:179], v[32:33]
	;; [unrolled: 1-line block ×8, first 2 shown]
	v_mul_f64_e32 v[20:21], v[122:123], v[110:111]
	v_mul_f64_e32 v[26:27], v[120:121], v[110:111]
	;; [unrolled: 1-line block ×3, first 2 shown]
	v_fma_f64 v[50:51], v[112:113], v[104:105], -v[70:71]
	v_fmac_f64_e32 v[72:73], v[114:115], v[104:105]
	v_fma_f64 v[54:55], v[120:121], v[104:105], -v[84:85]
	v_fmac_f64_e32 v[90:91], v[122:123], v[104:105]
	s_wait_dscnt 0x1
	v_mul_f64_e32 v[70:71], v[156:157], v[142:143]
	s_wait_dscnt 0x0
	v_mul_f64_e32 v[76:77], v[162:163], v[154:155]
	v_fma_f64 v[52:53], v[112:113], v[108:109], -v[78:79]
	v_fmac_f64_e32 v[82:83], v[114:115], v[108:109]
	v_mul_f64_e32 v[78:79], v[160:161], v[154:155]
	v_fmac_f64_e32 v[40:41], v[118:119], v[128:129]
	v_fma_f64 v[44:45], v[116:117], v[132:133], -v[44:45]
	v_fmac_f64_e32 v[48:49], v[118:119], v[132:133]
	v_add_f64_e32 v[22:23], v[22:23], v[106:107]
	v_add_f64_e32 v[30:31], v[190:191], v[32:33]
	v_add_f64_e32 v[4:5], v[4:5], v[36:37]
	v_add_f64_e32 v[12:13], v[194:195], v[12:13]
	v_add_f64_e32 v[14:15], v[38:39], v[14:15]
	v_add_f64_e32 v[2:3], v[42:43], v[2:3]
	v_add_f64_e32 v[0:1], v[16:17], v[0:1]
	v_add_f64_e32 v[10:11], v[46:47], v[10:11]
	v_mul_f64_e32 v[16:17], v[126:127], v[130:131]
	v_mul_f64_e32 v[32:33], v[124:125], v[130:131]
	v_mul_f64_e32 v[36:37], v[126:127], v[134:135]
	v_mul_f64_e32 v[38:39], v[124:125], v[134:135]
	v_fma_f64 v[20:21], v[120:121], v[108:109], -v[20:21]
	v_fmac_f64_e32 v[26:27], v[122:123], v[108:109]
	v_mul_f64_e32 v[42:43], v[146:147], v[138:139]
	v_mul_f64_e32 v[46:47], v[144:145], v[138:139]
	v_fma_f64 v[34:35], v[116:117], v[128:129], -v[34:35]
	v_fmac_f64_e32 v[70:71], v[158:159], v[140:141]
	v_fmac_f64_e32 v[78:79], v[162:163], v[152:153]
	v_add_f64_e32 v[8:9], v[22:23], v[8:9]
	v_add_f64_e32 v[18:19], v[18:19], v[30:31]
	;; [unrolled: 1-line block ×8, first 2 shown]
	v_mul_f64_e32 v[14:15], v[146:147], v[142:143]
	v_mul_f64_e32 v[22:23], v[144:145], v[142:143]
	;; [unrolled: 1-line block ×5, first 2 shown]
	v_fma_f64 v[16:17], v[124:125], v[128:129], -v[16:17]
	v_fmac_f64_e32 v[32:33], v[126:127], v[128:129]
	v_fma_f64 v[36:37], v[124:125], v[132:133], -v[36:37]
	v_fmac_f64_e32 v[38:39], v[126:127], v[132:133]
	;; [unrolled: 2-line block ×3, first 2 shown]
	v_add_f64_e32 v[8:9], v[8:9], v[50:51]
	v_add_f64_e32 v[18:19], v[72:73], v[18:19]
	;; [unrolled: 1-line block ×8, first 2 shown]
	ds_load_b128 v[0:3], v92 offset:3840
	v_mul_f64_e32 v[26:27], v[150:151], v[154:155]
	v_mul_f64_e32 v[52:53], v[148:149], v[154:155]
	v_fma_f64 v[14:15], v[144:145], v[140:141], -v[14:15]
	v_fmac_f64_e32 v[22:23], v[146:147], v[140:141]
	v_fma_f64 v[24:25], v[156:157], v[136:137], -v[24:25]
	v_fmac_f64_e32 v[28:29], v[158:159], v[136:137]
	v_fma_f64 v[30:31], v[156:157], v[140:141], -v[30:31]
	s_wait_dscnt 0x0
	s_barrier_signal -1
	s_barrier_wait -1
	v_mul_f64_e32 v[54:55], v[150:151], v[2:3]
	v_mul_f64_e32 v[72:73], v[148:149], v[2:3]
	;; [unrolled: 1-line block ×4, first 2 shown]
	v_add_f64_e32 v[8:9], v[8:9], v[34:35]
	v_add_f64_e32 v[18:19], v[40:41], v[18:19]
	;; [unrolled: 1-line block ×8, first 2 shown]
	v_fma_f64 v[34:35], v[160:161], v[152:153], -v[76:77]
	v_fma_f64 v[26:27], v[148:149], v[152:153], -v[26:27]
	v_fmac_f64_e32 v[52:53], v[150:151], v[152:153]
	v_fma_f64 v[32:33], v[148:149], v[0:1], -v[54:55]
	v_fmac_f64_e32 v[72:73], v[150:151], v[0:1]
	;; [unrolled: 2-line block ×3, first 2 shown]
	v_add_f64_e32 v[0:1], v[8:9], v[42:43]
	v_add_f64_e32 v[8:9], v[46:47], v[18:19]
	v_add_f64_e32 v[4:5], v[4:5], v[14:15]
	v_add_f64_e32 v[12:13], v[22:23], v[12:13]
	v_add_f64_e32 v[6:7], v[6:7], v[24:25]
	v_add_f64_e32 v[14:15], v[28:29], v[16:17]
	v_add_f64_e32 v[16:17], v[20:21], v[30:31]
	v_add_f64_e32 v[10:11], v[70:71], v[10:11]
	v_add_f64_e32 v[84:85], v[0:1], v[26:27]
	v_add_f64_e32 v[90:91], v[52:53], v[8:9]
	v_add_f64_e32 v[80:81], v[4:5], v[32:33]
	v_add_f64_e32 v[82:83], v[72:73], v[12:13]
	v_add_f64_e32 v[76:77], v[6:7], v[34:35]
	v_add_f64_e32 v[78:79], v[78:79], v[14:15]
	v_add_f64_e32 v[70:71], v[16:17], v[36:37]
	v_add_f64_e32 v[72:73], v[2:3], v[10:11]
	s_cbranch_vccnz .LBB263_5
; %bb.6:                                ;   in Loop: Header=BB263_3 Depth=1
	v_add_nc_u64_e32 v[0:1], s[20:21], v[74:75]
	s_and_not1_b32 vcc_lo, exec_lo, s1
	s_mov_b32 s24, -1
                                        ; implicit-def: $vgpr2_vgpr3
                                        ; implicit-def: $vgpr4_vgpr5
	s_cbranch_vccnz .LBB263_9
.LBB263_7:                              ;   in Loop: Header=BB263_3 Depth=1
	v_mul_f64_e32 v[4:5], s[8:9], v[90:91]
	v_mul_f64_e32 v[8:9], s[6:7], v[90:91]
	s_delay_alu instid0(VALU_DEP_4)
	v_mul_f64_e32 v[2:3], s[6:7], v[72:73]
	v_mul_f64_e32 v[10:11], s[8:9], v[82:83]
	;; [unrolled: 1-line block ×6, first 2 shown]
	v_lshlrev_b64_e32 v[20:21], 4, v[62:63]
	v_fma_f64 v[6:7], s[6:7], v[84:85], -v[4:5]
	v_fmac_f64_e32 v[8:9], s[8:9], v[84:85]
	v_fmac_f64_e32 v[2:3], s[8:9], v[70:71]
	v_fma_f64 v[10:11], s[6:7], v[80:81], -v[10:11]
	v_fmac_f64_e32 v[12:13], s[8:9], v[80:81]
	v_fma_f64 v[14:15], s[6:7], v[76:77], -v[14:15]
	v_fmac_f64_e32 v[16:17], s[8:9], v[76:77]
	v_fma_f64 v[18:19], s[6:7], v[70:71], -v[18:19]
	v_lshl_add_u64 v[4:5], v[58:59], 4, v[0:1]
	s_delay_alu instid0(VALU_DEP_1) | instskip(NEXT) | instid1(VALU_DEP_1)
	v_lshl_add_u64 v[22:23], s[12:13], 4, v[4:5]
	v_add_nc_u64_e32 v[22:23], v[22:23], v[20:21]
	v_add_nc_u64_e32 v[20:21], v[4:5], v[20:21]
	s_clause 0x3
	flat_store_b128 v[20:21], v[6:9]
	flat_store_b128 v[20:21], v[10:13] offset:256
	flat_store_b128 v[22:23], v[14:17]
	flat_store_b64 v[22:23], v[18:19] offset:256
	v_add_nc_u64_e32 v[4:5], 0x100, v[22:23]
	s_cbranch_execnz .LBB263_2
	s_branch .LBB263_10
.LBB263_8:                              ;   in Loop: Header=BB263_3 Depth=1
	v_mov_b64_e32 v[84:85], 0
	v_mov_b64_e32 v[90:91], 0
	;; [unrolled: 1-line block ×8, first 2 shown]
	s_wait_loadcnt 0x0
	s_wait_xcnt 0x0
	v_add_nc_u64_e32 v[0:1], s[20:21], v[74:75]
	s_and_not1_b32 vcc_lo, exec_lo, s1
	s_mov_b32 s24, -1
                                        ; implicit-def: $vgpr2_vgpr3
                                        ; implicit-def: $vgpr4_vgpr5
	s_cbranch_vccz .LBB263_7
.LBB263_9:                              ;   in Loop: Header=BB263_3 Depth=1
	s_and_not1_b32 vcc_lo, exec_lo, s24
	s_cbranch_vccnz .LBB263_2
.LBB263_10:                             ;   in Loop: Header=BB263_3 Depth=1
	v_add_nc_u64_e32 v[2:3], s[22:23], v[68:69]
	s_wait_xcnt 0x3
	v_lshlrev_b64_e32 v[6:7], 4, v[62:63]
	s_wait_xcnt 0x2
	v_mul_f64_e32 v[12:13], s[8:9], v[90:91]
	s_wait_xcnt 0x1
	v_mul_f64_e32 v[14:15], s[6:7], v[90:91]
	v_lshl_add_u64 v[8:9], v[60:61], 4, v[2:3]
	s_delay_alu instid0(VALU_DEP_1)
	v_add_nc_u64_e32 v[10:11], v[8:9], v[6:7]
	flat_load_b128 v[2:5], v[10:11]
	v_fma_f64 v[12:13], s[6:7], v[84:85], -v[12:13]
	v_fmac_f64_e32 v[14:15], s[8:9], v[84:85]
	s_wait_loadcnt_dscnt 0x0
	v_mul_f64_e32 v[16:17], s[40:41], v[4:5]
	v_mul_f64_e32 v[4:5], s[38:39], v[4:5]
	s_delay_alu instid0(VALU_DEP_2) | instskip(NEXT) | instid1(VALU_DEP_2)
	v_fma_f64 v[16:17], s[38:39], v[2:3], -v[16:17]
	v_fmac_f64_e32 v[4:5], s[40:41], v[2:3]
	s_delay_alu instid0(VALU_DEP_2) | instskip(NEXT) | instid1(VALU_DEP_2)
	v_add_f64_e32 v[2:3], v[12:13], v[16:17]
	v_add_f64_e32 v[4:5], v[14:15], v[4:5]
	v_lshl_add_u64 v[12:13], v[58:59], 4, v[0:1]
	s_delay_alu instid0(VALU_DEP_1)
	v_add_nc_u64_e32 v[14:15], v[12:13], v[6:7]
	flat_store_b128 v[14:15], v[2:5]
	flat_load_b128 v[0:3], v[10:11] offset:256
	v_mul_f64_e32 v[4:5], s[8:9], v[82:83]
	s_wait_xcnt 0x0
	v_mul_f64_e32 v[10:11], s[6:7], v[82:83]
	s_delay_alu instid0(VALU_DEP_2) | instskip(NEXT) | instid1(VALU_DEP_2)
	v_fma_f64 v[4:5], s[6:7], v[80:81], -v[4:5]
	v_fmac_f64_e32 v[10:11], s[8:9], v[80:81]
	s_wait_loadcnt_dscnt 0x0
	v_mul_f64_e32 v[16:17], s[40:41], v[2:3]
	v_mul_f64_e32 v[2:3], s[38:39], v[2:3]
	s_delay_alu instid0(VALU_DEP_2) | instskip(NEXT) | instid1(VALU_DEP_2)
	v_fma_f64 v[16:17], s[38:39], v[0:1], -v[16:17]
	v_fmac_f64_e32 v[2:3], s[40:41], v[0:1]
	s_delay_alu instid0(VALU_DEP_2) | instskip(NEXT) | instid1(VALU_DEP_2)
	v_add_f64_e32 v[0:1], v[4:5], v[16:17]
	v_add_f64_e32 v[2:3], v[10:11], v[2:3]
	v_lshl_add_u64 v[4:5], s[14:15], 4, v[8:9]
	v_mul_f64_e32 v[8:9], s[8:9], v[78:79]
	v_mul_f64_e32 v[10:11], s[6:7], v[78:79]
	s_delay_alu instid0(VALU_DEP_3)
	v_add_nc_u64_e32 v[4:5], v[4:5], v[6:7]
	flat_store_b128 v[14:15], v[0:3] offset:256
	flat_load_b128 v[0:3], v[4:5]
	v_fma_f64 v[8:9], s[6:7], v[76:77], -v[8:9]
	v_fmac_f64_e32 v[10:11], s[8:9], v[76:77]
	s_wait_loadcnt_dscnt 0x0
	v_mul_f64_e32 v[14:15], s[40:41], v[2:3]
	v_mul_f64_e32 v[2:3], s[38:39], v[2:3]
	s_delay_alu instid0(VALU_DEP_2) | instskip(NEXT) | instid1(VALU_DEP_2)
	v_fma_f64 v[14:15], s[38:39], v[0:1], -v[14:15]
	v_fmac_f64_e32 v[2:3], s[40:41], v[0:1]
	s_delay_alu instid0(VALU_DEP_2) | instskip(NEXT) | instid1(VALU_DEP_2)
	v_add_f64_e32 v[0:1], v[8:9], v[14:15]
	v_add_f64_e32 v[2:3], v[10:11], v[2:3]
	v_lshl_add_u64 v[8:9], s[12:13], 4, v[12:13]
	s_delay_alu instid0(VALU_DEP_1)
	v_add_nc_u64_e32 v[6:7], v[8:9], v[6:7]
	v_mul_f64_e32 v[8:9], s[6:7], v[72:73]
	flat_store_b128 v[6:7], v[0:3]
	flat_load_b128 v[0:3], v[4:5] offset:256
	s_wait_xcnt 0x0
	v_mul_f64_e32 v[4:5], s[8:9], v[72:73]
	v_fmac_f64_e32 v[8:9], s[8:9], v[70:71]
	s_delay_alu instid0(VALU_DEP_2) | instskip(SKIP_3) | instid1(VALU_DEP_2)
	v_fma_f64 v[4:5], s[6:7], v[70:71], -v[4:5]
	s_wait_loadcnt_dscnt 0x0
	v_mul_f64_e32 v[10:11], s[40:41], v[2:3]
	v_mul_f64_e32 v[2:3], s[38:39], v[2:3]
	v_fma_f64 v[10:11], s[38:39], v[0:1], -v[10:11]
	s_delay_alu instid0(VALU_DEP_2) | instskip(NEXT) | instid1(VALU_DEP_2)
	v_fmac_f64_e32 v[2:3], s[40:41], v[0:1]
	v_add_f64_e32 v[0:1], v[4:5], v[10:11]
	s_delay_alu instid0(VALU_DEP_2)
	v_add_f64_e32 v[2:3], v[8:9], v[2:3]
	v_add_nc_u64_e32 v[4:5], 0x100, v[6:7]
	flat_store_b64 v[6:7], v[0:1] offset:256
	s_branch .LBB263_2
.LBB263_11:
	s_sendmsg sendmsg(MSG_DEALLOC_VGPRS)
	s_endpgm
	.section	.rodata,"a",@progbits
	.p2align	6, 0x0
	.amdhsa_kernel _ZN12_GLOBAL__N_127rocblas_gemm_batched_kernelI19rocblas_complex_numIdELi16ELi16ELi32ELi32ELi8ELi32ELi8ELi8ELi32ELc84ELc84EKPKS2_S5_KPS2_EEvlllT_PT11_llSA_llS8_PT12_llPT13_lli
		.amdhsa_group_segment_fixed_size 8192
		.amdhsa_private_segment_fixed_size 0
		.amdhsa_kernarg_size 156
		.amdhsa_user_sgpr_count 2
		.amdhsa_user_sgpr_dispatch_ptr 0
		.amdhsa_user_sgpr_queue_ptr 0
		.amdhsa_user_sgpr_kernarg_segment_ptr 1
		.amdhsa_user_sgpr_dispatch_id 0
		.amdhsa_user_sgpr_kernarg_preload_length 0
		.amdhsa_user_sgpr_kernarg_preload_offset 0
		.amdhsa_user_sgpr_private_segment_size 0
		.amdhsa_wavefront_size32 1
		.amdhsa_uses_dynamic_stack 0
		.amdhsa_enable_private_segment 0
		.amdhsa_system_sgpr_workgroup_id_x 1
		.amdhsa_system_sgpr_workgroup_id_y 1
		.amdhsa_system_sgpr_workgroup_id_z 1
		.amdhsa_system_sgpr_workgroup_info 0
		.amdhsa_system_vgpr_workitem_id 1
		.amdhsa_next_free_vgpr 196
		.amdhsa_next_free_sgpr 52
		.amdhsa_named_barrier_count 0
		.amdhsa_reserve_vcc 1
		.amdhsa_float_round_mode_32 0
		.amdhsa_float_round_mode_16_64 0
		.amdhsa_float_denorm_mode_32 3
		.amdhsa_float_denorm_mode_16_64 3
		.amdhsa_fp16_overflow 0
		.amdhsa_memory_ordered 1
		.amdhsa_forward_progress 1
		.amdhsa_inst_pref_size 21
		.amdhsa_round_robin_scheduling 0
		.amdhsa_exception_fp_ieee_invalid_op 0
		.amdhsa_exception_fp_denorm_src 0
		.amdhsa_exception_fp_ieee_div_zero 0
		.amdhsa_exception_fp_ieee_overflow 0
		.amdhsa_exception_fp_ieee_underflow 0
		.amdhsa_exception_fp_ieee_inexact 0
		.amdhsa_exception_int_div_zero 0
	.end_amdhsa_kernel
	.section	.text._ZN12_GLOBAL__N_127rocblas_gemm_batched_kernelI19rocblas_complex_numIdELi16ELi16ELi32ELi32ELi8ELi32ELi8ELi8ELi32ELc84ELc84EKPKS2_S5_KPS2_EEvlllT_PT11_llSA_llS8_PT12_llPT13_lli,"axG",@progbits,_ZN12_GLOBAL__N_127rocblas_gemm_batched_kernelI19rocblas_complex_numIdELi16ELi16ELi32ELi32ELi8ELi32ELi8ELi8ELi32ELc84ELc84EKPKS2_S5_KPS2_EEvlllT_PT11_llSA_llS8_PT12_llPT13_lli,comdat
.Lfunc_end263:
	.size	_ZN12_GLOBAL__N_127rocblas_gemm_batched_kernelI19rocblas_complex_numIdELi16ELi16ELi32ELi32ELi8ELi32ELi8ELi8ELi32ELc84ELc84EKPKS2_S5_KPS2_EEvlllT_PT11_llSA_llS8_PT12_llPT13_lli, .Lfunc_end263-_ZN12_GLOBAL__N_127rocblas_gemm_batched_kernelI19rocblas_complex_numIdELi16ELi16ELi32ELi32ELi8ELi32ELi8ELi8ELi32ELc84ELc84EKPKS2_S5_KPS2_EEvlllT_PT11_llSA_llS8_PT12_llPT13_lli
                                        ; -- End function
	.set _ZN12_GLOBAL__N_127rocblas_gemm_batched_kernelI19rocblas_complex_numIdELi16ELi16ELi32ELi32ELi8ELi32ELi8ELi8ELi32ELc84ELc84EKPKS2_S5_KPS2_EEvlllT_PT11_llSA_llS8_PT12_llPT13_lli.num_vgpr, 196
	.set _ZN12_GLOBAL__N_127rocblas_gemm_batched_kernelI19rocblas_complex_numIdELi16ELi16ELi32ELi32ELi8ELi32ELi8ELi8ELi32ELc84ELc84EKPKS2_S5_KPS2_EEvlllT_PT11_llSA_llS8_PT12_llPT13_lli.num_agpr, 0
	.set _ZN12_GLOBAL__N_127rocblas_gemm_batched_kernelI19rocblas_complex_numIdELi16ELi16ELi32ELi32ELi8ELi32ELi8ELi8ELi32ELc84ELc84EKPKS2_S5_KPS2_EEvlllT_PT11_llSA_llS8_PT12_llPT13_lli.numbered_sgpr, 52
	.set _ZN12_GLOBAL__N_127rocblas_gemm_batched_kernelI19rocblas_complex_numIdELi16ELi16ELi32ELi32ELi8ELi32ELi8ELi8ELi32ELc84ELc84EKPKS2_S5_KPS2_EEvlllT_PT11_llSA_llS8_PT12_llPT13_lli.num_named_barrier, 0
	.set _ZN12_GLOBAL__N_127rocblas_gemm_batched_kernelI19rocblas_complex_numIdELi16ELi16ELi32ELi32ELi8ELi32ELi8ELi8ELi32ELc84ELc84EKPKS2_S5_KPS2_EEvlllT_PT11_llSA_llS8_PT12_llPT13_lli.private_seg_size, 0
	.set _ZN12_GLOBAL__N_127rocblas_gemm_batched_kernelI19rocblas_complex_numIdELi16ELi16ELi32ELi32ELi8ELi32ELi8ELi8ELi32ELc84ELc84EKPKS2_S5_KPS2_EEvlllT_PT11_llSA_llS8_PT12_llPT13_lli.uses_vcc, 1
	.set _ZN12_GLOBAL__N_127rocblas_gemm_batched_kernelI19rocblas_complex_numIdELi16ELi16ELi32ELi32ELi8ELi32ELi8ELi8ELi32ELc84ELc84EKPKS2_S5_KPS2_EEvlllT_PT11_llSA_llS8_PT12_llPT13_lli.uses_flat_scratch, 1
	.set _ZN12_GLOBAL__N_127rocblas_gemm_batched_kernelI19rocblas_complex_numIdELi16ELi16ELi32ELi32ELi8ELi32ELi8ELi8ELi32ELc84ELc84EKPKS2_S5_KPS2_EEvlllT_PT11_llSA_llS8_PT12_llPT13_lli.has_dyn_sized_stack, 0
	.set _ZN12_GLOBAL__N_127rocblas_gemm_batched_kernelI19rocblas_complex_numIdELi16ELi16ELi32ELi32ELi8ELi32ELi8ELi8ELi32ELc84ELc84EKPKS2_S5_KPS2_EEvlllT_PT11_llSA_llS8_PT12_llPT13_lli.has_recursion, 0
	.set _ZN12_GLOBAL__N_127rocblas_gemm_batched_kernelI19rocblas_complex_numIdELi16ELi16ELi32ELi32ELi8ELi32ELi8ELi8ELi32ELc84ELc84EKPKS2_S5_KPS2_EEvlllT_PT11_llSA_llS8_PT12_llPT13_lli.has_indirect_call, 0
	.section	.AMDGPU.csdata,"",@progbits
; Kernel info:
; codeLenInByte = 2684
; TotalNumSgprs: 54
; NumVgprs: 196
; ScratchSize: 0
; MemoryBound: 0
; FloatMode: 240
; IeeeMode: 1
; LDSByteSize: 8192 bytes/workgroup (compile time only)
; SGPRBlocks: 0
; VGPRBlocks: 12
; NumSGPRsForWavesPerEU: 54
; NumVGPRsForWavesPerEU: 196
; NamedBarCnt: 0
; Occupancy: 4
; WaveLimiterHint : 1
; COMPUTE_PGM_RSRC2:SCRATCH_EN: 0
; COMPUTE_PGM_RSRC2:USER_SGPR: 2
; COMPUTE_PGM_RSRC2:TRAP_HANDLER: 0
; COMPUTE_PGM_RSRC2:TGID_X_EN: 1
; COMPUTE_PGM_RSRC2:TGID_Y_EN: 1
; COMPUTE_PGM_RSRC2:TGID_Z_EN: 1
; COMPUTE_PGM_RSRC2:TIDIG_COMP_CNT: 1
	.section	.text._ZN12_GLOBAL__N_127rocblas_gemm_batched_kernelI19rocblas_complex_numIdELi16ELi16ELi32ELi32ELi8ELi32ELi8ELi8ELi32ELc67ELc67EKPKS2_S5_KPS2_EEvlllT_PT11_llSA_llS8_PT12_llPT13_lli,"axG",@progbits,_ZN12_GLOBAL__N_127rocblas_gemm_batched_kernelI19rocblas_complex_numIdELi16ELi16ELi32ELi32ELi8ELi32ELi8ELi8ELi32ELc67ELc67EKPKS2_S5_KPS2_EEvlllT_PT11_llSA_llS8_PT12_llPT13_lli,comdat
	.globl	_ZN12_GLOBAL__N_127rocblas_gemm_batched_kernelI19rocblas_complex_numIdELi16ELi16ELi32ELi32ELi8ELi32ELi8ELi8ELi32ELc67ELc67EKPKS2_S5_KPS2_EEvlllT_PT11_llSA_llS8_PT12_llPT13_lli ; -- Begin function _ZN12_GLOBAL__N_127rocblas_gemm_batched_kernelI19rocblas_complex_numIdELi16ELi16ELi32ELi32ELi8ELi32ELi8ELi8ELi32ELc67ELc67EKPKS2_S5_KPS2_EEvlllT_PT11_llSA_llS8_PT12_llPT13_lli
	.p2align	8
	.type	_ZN12_GLOBAL__N_127rocblas_gemm_batched_kernelI19rocblas_complex_numIdELi16ELi16ELi32ELi32ELi8ELi32ELi8ELi8ELi32ELc67ELc67EKPKS2_S5_KPS2_EEvlllT_PT11_llSA_llS8_PT12_llPT13_lli,@function
_ZN12_GLOBAL__N_127rocblas_gemm_batched_kernelI19rocblas_complex_numIdELi16ELi16ELi32ELi32ELi8ELi32ELi8ELi8ELi32ELc67ELc67EKPKS2_S5_KPS2_EEvlllT_PT11_llSA_llS8_PT12_llPT13_lli: ; @_ZN12_GLOBAL__N_127rocblas_gemm_batched_kernelI19rocblas_complex_numIdELi16ELi16ELi32ELi32ELi8ELi32ELi8ELi8ELi32ELc67ELc67EKPKS2_S5_KPS2_EEvlllT_PT11_llSA_llS8_PT12_llPT13_lli
; %bb.0:
	s_load_b32 s26, s[0:1], 0x98
	s_bfe_u32 s2, ttmp6, 0x40014
	s_lshr_b32 s3, ttmp7, 16
	s_add_co_i32 s2, s2, 1
	s_bfe_u32 s4, ttmp6, 0x40008
	s_mul_i32 s2, s3, s2
	s_getreg_b32 s20, hwreg(HW_REG_IB_STS2, 6, 4)
	s_add_co_i32 s4, s4, s2
	s_cmp_eq_u32 s20, 0
	s_cselect_b32 s2, s3, s4
	s_mov_b32 s3, 0
	s_wait_kmcnt 0x0
	s_cmp_ge_i32 s2, s26
	s_cbranch_scc1 .LBB264_11
; %bb.1:
	v_bfe_u32 v56, v0, 10, 10
	v_and_b32_e32 v2, 0x3ff, v0
	s_bfe_u32 s21, ttmp6, 0x4000c
	s_bfe_u32 s23, ttmp6, 0x40010
	s_clause 0x1
	s_load_b512 s[4:19], s[0:1], 0x10
	s_load_b512 s[36:51], s[0:1], 0x50
	s_add_co_i32 s21, s21, 1
	s_and_b32 s24, ttmp7, 0xffff
	s_add_co_i32 s23, s23, 1
	s_and_b32 s22, ttmp6, 15
	s_mul_i32 s21, ttmp9, s21
	s_mul_i32 s23, s24, s23
	s_bfe_u32 s25, ttmp6, 0x40004
	v_lshl_add_u32 v10, v56, 4, v2
	v_mov_b32_e32 v57, 0
	s_add_co_i32 s22, s22, s21
	s_add_co_i32 s25, s25, s23
	s_cmp_eq_u32 s20, 0
	v_and_b32_e32 v11, 31, v10
	s_cselect_b32 s20, ttmp9, s22
	s_cselect_b32 s22, s24, s25
	s_ashr_i32 s21, s20, 31
	v_dual_mov_b32 v5, v57 :: v_dual_lshrrev_b32 v4, 3, v10
	s_lshl_b64 s[20:21], s[20:21], 5
	s_lshl_b32 s22, s22, 5
	s_mov_b32 s23, s3
	v_dual_mov_b32 v7, s21 :: v_dual_bitop2_b32 v6, s20, v11 bitop3:0x54
	v_add_nc_u64_e32 v[8:9], s[22:23], v[4:5]
	v_dual_mov_b32 v3, v57 :: v_dual_bitop2_b32 v5, 7, v0 bitop3:0x40
	s_wait_kmcnt 0x0
	v_cmp_eq_f64_e64 s24, s[38:39], 0
	v_mul_u64_e32 v[6:7], s[12:13], v[6:7]
	v_cmp_eq_f64_e64 s25, s[40:41], 0
	v_lshl_add_u32 v93, v56, 7, 0x1000
	v_mad_nc_u64_u32 v[0:1], s18, v5, v[8:9]
	v_add_nc_u64_e32 v[8:9], s[22:23], v[56:57]
	s_load_b64 s[22:23], s[0:1], 0x90
	s_wait_xcnt 0x0
	s_lshl_b64 s[0:1], s[14:15], 4
	v_lshlrev_b32_e32 v92, 4, v2
	v_add_nc_u64_e32 v[62:63], s[20:21], v[2:3]
	s_lshl_b64 s[12:13], s[50:51], 4
	s_lshl_b64 s[14:15], s[44:45], 4
	v_mul_u64_e32 v[58:59], s[50:51], v[8:9]
	v_mul_u64_e32 v[60:61], s[44:45], v[8:9]
	v_lshrrev_b32_e32 v8, 5, v10
	v_mad_u32 v1, s19, v5, v1
	v_dual_lshlrev_b32 v5, 4, v5 :: v_dual_lshlrev_b32 v9, 4, v11
	s_lshl_b64 s[18:19], s[18:19], 7
	s_delay_alu instid0(VALU_DEP_1) | instskip(NEXT) | instid1(VALU_DEP_2)
	v_lshl_or_b32 v10, v4, 7, v5
	v_lshl_or_b32 v94, v8, 9, v9
	s_delay_alu instid0(VALU_DEP_4) | instskip(NEXT) | instid1(VALU_DEP_3)
	v_lshlrev_b64_e32 v[0:1], 4, v[0:1]
	v_add_nc_u32_e32 v95, 0x1000, v10
	s_wait_kmcnt 0x0
	s_lshl_b64 s[20:21], s[22:23], 4
	s_lshl_b64 s[22:23], s[46:47], 4
	v_lshl_add_u64 v[4:5], v[6:7], 4, s[0:1]
	s_delay_alu instid0(VALU_DEP_3)
	v_lshl_add_u64 v[66:67], s[36:37], 4, v[0:1]
	v_lshlrev_b32_e32 v56, 4, v8
	v_cmp_gt_i64_e64 s0, s[4:5], 0
	s_and_b32 s1, s24, s25
	v_or_b32_e32 v66, 8, v66
	v_add_nc_u64_e32 v[64:65], v[4:5], v[56:57]
	v_cndmask_b32_e64 v0, 0, 1, s0
	s_delay_alu instid0(VALU_DEP_2) | instskip(NEXT) | instid1(VALU_DEP_2)
	v_or_b32_e32 v64, 8, v64
	v_cmp_ne_u32_e64 s0, 1, v0
	s_branch .LBB264_3
.LBB264_2:                              ;   in Loop: Header=BB264_3 Depth=1
	s_add_co_i32 s2, s2, 0x10000
	flat_store_b64 v[4:5], v[2:3] offset:8
	s_cmp_lt_i32 s2, s26
	s_cbranch_scc0 .LBB264_11
.LBB264_3:                              ; =>This Loop Header: Depth=1
                                        ;     Child Loop BB264_5 Depth 2
	s_wait_xcnt 0x1
	v_mov_b32_e32 v0, s2
	s_delay_alu instid0(VALU_DEP_2)
	s_and_b32 vcc_lo, exec_lo, s0
	s_clause 0x1
	global_load_b64 v[68:69], v0, s[42:43] scale_offset
	global_load_b64 v[74:75], v0, s[48:49] scale_offset
	s_cbranch_vccnz .LBB264_8
; %bb.4:                                ;   in Loop: Header=BB264_3 Depth=1
	s_lshl_b64 s[24:25], s[2:3], 3
	v_mov_b64_e32 v[72:73], 0
	s_add_nc_u64 s[28:29], s[10:11], s[24:25]
	s_add_nc_u64 s[24:25], s[16:17], s[24:25]
	s_clause 0x1
	global_load_b64 v[0:1], v57, s[28:29]
	global_load_b64 v[2:3], v57, s[24:25]
	v_mov_b64_e32 v[70:71], 0
	v_mov_b64_e32 v[78:79], 0
	;; [unrolled: 1-line block ×7, first 2 shown]
	s_wait_xcnt 0x0
	s_mov_b64 s[24:25], 0
	s_wait_loadcnt 0x1
	v_add_nc_u64_e32 v[86:87], v[0:1], v[64:65]
	s_wait_loadcnt 0x0
	v_add_nc_u64_e32 v[88:89], v[2:3], v[66:67]
.LBB264_5:                              ;   Parent Loop BB264_3 Depth=1
                                        ; =>  This Inner Loop Header: Depth=2
	flat_load_b128 v[0:3], v[86:87] offset:-8
	s_add_nc_u64 s[24:25], s[24:25], 8
	s_wait_xcnt 0x0
	v_add_nc_u64_e32 v[86:87], 0x80, v[86:87]
	v_cmp_lt_i64_e64 s27, s[24:25], s[4:5]
	s_and_b32 vcc_lo, exec_lo, s27
	s_wait_loadcnt_dscnt 0x0
	v_xor_b32_e32 v3, 0x80000000, v3
	ds_store_b128 v94, v[0:3]
	flat_load_b128 v[0:3], v[88:89] offset:-8
	s_wait_xcnt 0x0
	v_add_nc_u64_e32 v[88:89], s[18:19], v[88:89]
	s_wait_loadcnt_dscnt 0x0
	v_xor_b32_e32 v3, 0x80000000, v3
	ds_store_b128 v95, v[0:3]
	s_wait_dscnt 0x0
	s_barrier_signal -1
	s_barrier_wait -1
	ds_load_b128 v[0:3], v92
	ds_load_b128 v[8:11], v92 offset:256
	ds_load_b128 v[12:15], v93
	ds_load_b128 v[4:7], v93 offset:16
	ds_load_b128 v[16:19], v93 offset:2048
	;; [unrolled: 1-line block ×28, first 2 shown]
	s_wait_dscnt 0x1c
	v_mul_f64_e32 v[164:165], v[14:15], v[2:3]
	v_mul_f64_e32 v[166:167], v[12:13], v[2:3]
	v_mul_f64_e32 v[168:169], v[14:15], v[10:11]
	v_mul_f64_e32 v[170:171], v[12:13], v[10:11]
	s_wait_dscnt 0x1a
	v_mul_f64_e32 v[172:173], v[18:19], v[2:3]
	v_mul_f64_e32 v[2:3], v[16:17], v[2:3]
	;; [unrolled: 1-line block ×4, first 2 shown]
	s_wait_dscnt 0x18
	v_mul_f64_e32 v[176:177], v[6:7], v[26:27]
	v_mul_f64_e32 v[178:179], v[4:5], v[26:27]
	s_wait_dscnt 0x17
	v_mul_f64_e32 v[180:181], v[6:7], v[34:35]
	v_mul_f64_e32 v[182:183], v[4:5], v[34:35]
	;; [unrolled: 1-line block ×6, first 2 shown]
	s_wait_dscnt 0x14
	v_mul_f64_e32 v[188:189], v[38:39], v[42:43]
	v_mul_f64_e32 v[190:191], v[36:37], v[42:43]
	s_wait_dscnt 0x13
	v_mul_f64_e32 v[192:193], v[38:39], v[46:47]
	v_mul_f64_e32 v[194:195], v[36:37], v[46:47]
	v_fma_f64 v[164:165], v[12:13], v[0:1], -v[164:165]
	v_fmac_f64_e32 v[166:167], v[14:15], v[0:1]
	v_fma_f64 v[12:13], v[12:13], v[8:9], -v[168:169]
	v_fmac_f64_e32 v[170:171], v[14:15], v[8:9]
	;; [unrolled: 2-line block ×4, first 2 shown]
	s_wait_dscnt 0x12
	v_mul_f64_e32 v[14:15], v[50:51], v[42:43]
	v_mul_f64_e32 v[42:43], v[48:49], v[42:43]
	;; [unrolled: 1-line block ×4, first 2 shown]
	v_fma_f64 v[176:177], v[4:5], v[24:25], -v[176:177]
	v_fmac_f64_e32 v[178:179], v[6:7], v[24:25]
	v_fma_f64 v[4:5], v[4:5], v[32:33], -v[180:181]
	v_fmac_f64_e32 v[182:183], v[6:7], v[32:33]
	;; [unrolled: 2-line block ×4, first 2 shown]
	s_wait_dscnt 0x10
	v_mul_f64_e32 v[8:9], v[30:31], v[98:99]
	v_mul_f64_e32 v[18:19], v[28:29], v[98:99]
	s_wait_dscnt 0xf
	v_mul_f64_e32 v[172:173], v[30:31], v[102:103]
	v_mul_f64_e32 v[174:175], v[28:29], v[102:103]
	;; [unrolled: 1-line block ×6, first 2 shown]
	v_fmac_f64_e32 v[190:191], v[38:39], v[40:41]
	v_fmac_f64_e32 v[194:195], v[38:39], v[44:45]
	v_add_f64_e32 v[22:23], v[84:85], v[164:165]
	v_add_f64_e32 v[32:33], v[166:167], v[90:91]
	;; [unrolled: 1-line block ×8, first 2 shown]
	s_wait_dscnt 0xc
	v_mul_f64_e32 v[70:71], v[114:115], v[106:107]
	v_mul_f64_e32 v[72:73], v[112:113], v[106:107]
	s_wait_dscnt 0xa
	v_mul_f64_e32 v[84:85], v[122:123], v[106:107]
	v_mul_f64_e32 v[90:91], v[120:121], v[106:107]
	v_fma_f64 v[106:107], v[36:37], v[40:41], -v[188:189]
	v_fma_f64 v[36:37], v[36:37], v[44:45], -v[192:193]
	;; [unrolled: 1-line block ×3, first 2 shown]
	v_fmac_f64_e32 v[42:43], v[50:51], v[40:41]
	v_fma_f64 v[0:1], v[48:49], v[44:45], -v[0:1]
	v_fmac_f64_e32 v[46:47], v[50:51], v[44:45]
	v_mul_f64_e32 v[78:79], v[114:115], v[110:111]
	v_mul_f64_e32 v[82:83], v[112:113], v[110:111]
	v_fma_f64 v[8:9], v[28:29], v[96:97], -v[8:9]
	v_fmac_f64_e32 v[18:19], v[30:31], v[96:97]
	v_fma_f64 v[28:29], v[28:29], v[100:101], -v[172:173]
	v_fmac_f64_e32 v[174:175], v[30:31], v[100:101]
	;; [unrolled: 2-line block ×4, first 2 shown]
	s_wait_dscnt 0x8
	v_mul_f64_e32 v[40:41], v[116:117], v[130:131]
	s_wait_dscnt 0x7
	v_mul_f64_e32 v[44:45], v[118:119], v[134:135]
	v_mul_f64_e32 v[48:49], v[116:117], v[134:135]
	v_add_f64_e32 v[22:23], v[22:23], v[176:177]
	v_add_f64_e32 v[32:33], v[178:179], v[32:33]
	;; [unrolled: 1-line block ×8, first 2 shown]
	v_mul_f64_e32 v[20:21], v[122:123], v[110:111]
	v_mul_f64_e32 v[26:27], v[120:121], v[110:111]
	;; [unrolled: 1-line block ×3, first 2 shown]
	v_fma_f64 v[50:51], v[112:113], v[104:105], -v[70:71]
	v_fmac_f64_e32 v[72:73], v[114:115], v[104:105]
	v_fma_f64 v[54:55], v[120:121], v[104:105], -v[84:85]
	v_fmac_f64_e32 v[90:91], v[122:123], v[104:105]
	s_wait_dscnt 0x1
	v_mul_f64_e32 v[70:71], v[156:157], v[142:143]
	s_wait_dscnt 0x0
	v_mul_f64_e32 v[76:77], v[162:163], v[154:155]
	v_fma_f64 v[52:53], v[112:113], v[108:109], -v[78:79]
	v_fmac_f64_e32 v[82:83], v[114:115], v[108:109]
	v_mul_f64_e32 v[78:79], v[160:161], v[154:155]
	v_fmac_f64_e32 v[40:41], v[118:119], v[128:129]
	v_fma_f64 v[44:45], v[116:117], v[132:133], -v[44:45]
	v_fmac_f64_e32 v[48:49], v[118:119], v[132:133]
	v_add_f64_e32 v[22:23], v[22:23], v[106:107]
	v_add_f64_e32 v[30:31], v[190:191], v[32:33]
	;; [unrolled: 1-line block ×8, first 2 shown]
	v_mul_f64_e32 v[16:17], v[126:127], v[130:131]
	v_mul_f64_e32 v[32:33], v[124:125], v[130:131]
	;; [unrolled: 1-line block ×4, first 2 shown]
	v_fma_f64 v[20:21], v[120:121], v[108:109], -v[20:21]
	v_fmac_f64_e32 v[26:27], v[122:123], v[108:109]
	v_mul_f64_e32 v[42:43], v[146:147], v[138:139]
	v_mul_f64_e32 v[46:47], v[144:145], v[138:139]
	v_fma_f64 v[34:35], v[116:117], v[128:129], -v[34:35]
	v_fmac_f64_e32 v[70:71], v[158:159], v[140:141]
	v_fmac_f64_e32 v[78:79], v[162:163], v[152:153]
	v_add_f64_e32 v[8:9], v[22:23], v[8:9]
	v_add_f64_e32 v[18:19], v[18:19], v[30:31]
	;; [unrolled: 1-line block ×8, first 2 shown]
	v_mul_f64_e32 v[14:15], v[146:147], v[142:143]
	v_mul_f64_e32 v[22:23], v[144:145], v[142:143]
	;; [unrolled: 1-line block ×5, first 2 shown]
	v_fma_f64 v[16:17], v[124:125], v[128:129], -v[16:17]
	v_fmac_f64_e32 v[32:33], v[126:127], v[128:129]
	v_fma_f64 v[36:37], v[124:125], v[132:133], -v[36:37]
	v_fmac_f64_e32 v[38:39], v[126:127], v[132:133]
	;; [unrolled: 2-line block ×3, first 2 shown]
	v_add_f64_e32 v[8:9], v[8:9], v[50:51]
	v_add_f64_e32 v[18:19], v[72:73], v[18:19]
	v_add_f64_e32 v[4:5], v[4:5], v[52:53]
	v_add_f64_e32 v[12:13], v[82:83], v[12:13]
	v_add_f64_e32 v[6:7], v[6:7], v[54:55]
	v_add_f64_e32 v[50:51], v[90:91], v[2:3]
	v_add_f64_e32 v[20:21], v[0:1], v[20:21]
	v_add_f64_e32 v[10:11], v[26:27], v[10:11]
	ds_load_b128 v[0:3], v92 offset:3840
	v_mul_f64_e32 v[26:27], v[150:151], v[154:155]
	v_mul_f64_e32 v[52:53], v[148:149], v[154:155]
	v_fma_f64 v[14:15], v[144:145], v[140:141], -v[14:15]
	v_fmac_f64_e32 v[22:23], v[146:147], v[140:141]
	v_fma_f64 v[24:25], v[156:157], v[136:137], -v[24:25]
	v_fmac_f64_e32 v[28:29], v[158:159], v[136:137]
	v_fma_f64 v[30:31], v[156:157], v[140:141], -v[30:31]
	s_wait_dscnt 0x0
	s_barrier_signal -1
	s_barrier_wait -1
	v_mul_f64_e32 v[54:55], v[150:151], v[2:3]
	v_mul_f64_e32 v[72:73], v[148:149], v[2:3]
	;; [unrolled: 1-line block ×4, first 2 shown]
	v_add_f64_e32 v[8:9], v[8:9], v[34:35]
	v_add_f64_e32 v[18:19], v[40:41], v[18:19]
	;; [unrolled: 1-line block ×8, first 2 shown]
	v_fma_f64 v[34:35], v[160:161], v[152:153], -v[76:77]
	v_fma_f64 v[26:27], v[148:149], v[152:153], -v[26:27]
	v_fmac_f64_e32 v[52:53], v[150:151], v[152:153]
	v_fma_f64 v[32:33], v[148:149], v[0:1], -v[54:55]
	v_fmac_f64_e32 v[72:73], v[150:151], v[0:1]
	;; [unrolled: 2-line block ×3, first 2 shown]
	v_add_f64_e32 v[0:1], v[8:9], v[42:43]
	v_add_f64_e32 v[8:9], v[46:47], v[18:19]
	;; [unrolled: 1-line block ×16, first 2 shown]
	s_cbranch_vccnz .LBB264_5
; %bb.6:                                ;   in Loop: Header=BB264_3 Depth=1
	v_add_nc_u64_e32 v[0:1], s[20:21], v[74:75]
	s_and_not1_b32 vcc_lo, exec_lo, s1
	s_mov_b32 s24, -1
                                        ; implicit-def: $vgpr2_vgpr3
                                        ; implicit-def: $vgpr4_vgpr5
	s_cbranch_vccnz .LBB264_9
.LBB264_7:                              ;   in Loop: Header=BB264_3 Depth=1
	v_mul_f64_e32 v[4:5], s[8:9], v[90:91]
	v_mul_f64_e32 v[8:9], s[6:7], v[90:91]
	s_delay_alu instid0(VALU_DEP_4)
	v_mul_f64_e32 v[2:3], s[6:7], v[72:73]
	v_mul_f64_e32 v[10:11], s[8:9], v[82:83]
	;; [unrolled: 1-line block ×6, first 2 shown]
	v_lshlrev_b64_e32 v[20:21], 4, v[62:63]
	v_fma_f64 v[6:7], s[6:7], v[84:85], -v[4:5]
	v_fmac_f64_e32 v[8:9], s[8:9], v[84:85]
	v_fmac_f64_e32 v[2:3], s[8:9], v[70:71]
	v_fma_f64 v[10:11], s[6:7], v[80:81], -v[10:11]
	v_fmac_f64_e32 v[12:13], s[8:9], v[80:81]
	v_fma_f64 v[14:15], s[6:7], v[76:77], -v[14:15]
	v_fmac_f64_e32 v[16:17], s[8:9], v[76:77]
	v_fma_f64 v[18:19], s[6:7], v[70:71], -v[18:19]
	v_lshl_add_u64 v[4:5], v[58:59], 4, v[0:1]
	s_delay_alu instid0(VALU_DEP_1) | instskip(NEXT) | instid1(VALU_DEP_1)
	v_lshl_add_u64 v[22:23], s[12:13], 4, v[4:5]
	v_add_nc_u64_e32 v[22:23], v[22:23], v[20:21]
	v_add_nc_u64_e32 v[20:21], v[4:5], v[20:21]
	s_clause 0x3
	flat_store_b128 v[20:21], v[6:9]
	flat_store_b128 v[20:21], v[10:13] offset:256
	flat_store_b128 v[22:23], v[14:17]
	flat_store_b64 v[22:23], v[18:19] offset:256
	v_add_nc_u64_e32 v[4:5], 0x100, v[22:23]
	s_cbranch_execnz .LBB264_2
	s_branch .LBB264_10
.LBB264_8:                              ;   in Loop: Header=BB264_3 Depth=1
	v_mov_b64_e32 v[84:85], 0
	v_mov_b64_e32 v[90:91], 0
	;; [unrolled: 1-line block ×8, first 2 shown]
	s_wait_loadcnt 0x0
	s_wait_xcnt 0x0
	v_add_nc_u64_e32 v[0:1], s[20:21], v[74:75]
	s_and_not1_b32 vcc_lo, exec_lo, s1
	s_mov_b32 s24, -1
                                        ; implicit-def: $vgpr2_vgpr3
                                        ; implicit-def: $vgpr4_vgpr5
	s_cbranch_vccz .LBB264_7
.LBB264_9:                              ;   in Loop: Header=BB264_3 Depth=1
	s_and_not1_b32 vcc_lo, exec_lo, s24
	s_cbranch_vccnz .LBB264_2
.LBB264_10:                             ;   in Loop: Header=BB264_3 Depth=1
	v_add_nc_u64_e32 v[2:3], s[22:23], v[68:69]
	s_wait_xcnt 0x3
	v_lshlrev_b64_e32 v[6:7], 4, v[62:63]
	s_wait_xcnt 0x2
	v_mul_f64_e32 v[12:13], s[8:9], v[90:91]
	s_wait_xcnt 0x1
	v_mul_f64_e32 v[14:15], s[6:7], v[90:91]
	v_lshl_add_u64 v[8:9], v[60:61], 4, v[2:3]
	s_delay_alu instid0(VALU_DEP_1)
	v_add_nc_u64_e32 v[10:11], v[8:9], v[6:7]
	flat_load_b128 v[2:5], v[10:11]
	v_fma_f64 v[12:13], s[6:7], v[84:85], -v[12:13]
	v_fmac_f64_e32 v[14:15], s[8:9], v[84:85]
	s_wait_loadcnt_dscnt 0x0
	v_mul_f64_e32 v[16:17], s[40:41], v[4:5]
	v_mul_f64_e32 v[4:5], s[38:39], v[4:5]
	s_delay_alu instid0(VALU_DEP_2) | instskip(NEXT) | instid1(VALU_DEP_2)
	v_fma_f64 v[16:17], s[38:39], v[2:3], -v[16:17]
	v_fmac_f64_e32 v[4:5], s[40:41], v[2:3]
	s_delay_alu instid0(VALU_DEP_2) | instskip(NEXT) | instid1(VALU_DEP_2)
	v_add_f64_e32 v[2:3], v[12:13], v[16:17]
	v_add_f64_e32 v[4:5], v[14:15], v[4:5]
	v_lshl_add_u64 v[12:13], v[58:59], 4, v[0:1]
	s_delay_alu instid0(VALU_DEP_1)
	v_add_nc_u64_e32 v[14:15], v[12:13], v[6:7]
	flat_store_b128 v[14:15], v[2:5]
	flat_load_b128 v[0:3], v[10:11] offset:256
	v_mul_f64_e32 v[4:5], s[8:9], v[82:83]
	s_wait_xcnt 0x0
	v_mul_f64_e32 v[10:11], s[6:7], v[82:83]
	s_delay_alu instid0(VALU_DEP_2) | instskip(NEXT) | instid1(VALU_DEP_2)
	v_fma_f64 v[4:5], s[6:7], v[80:81], -v[4:5]
	v_fmac_f64_e32 v[10:11], s[8:9], v[80:81]
	s_wait_loadcnt_dscnt 0x0
	v_mul_f64_e32 v[16:17], s[40:41], v[2:3]
	v_mul_f64_e32 v[2:3], s[38:39], v[2:3]
	s_delay_alu instid0(VALU_DEP_2) | instskip(NEXT) | instid1(VALU_DEP_2)
	v_fma_f64 v[16:17], s[38:39], v[0:1], -v[16:17]
	v_fmac_f64_e32 v[2:3], s[40:41], v[0:1]
	s_delay_alu instid0(VALU_DEP_2) | instskip(NEXT) | instid1(VALU_DEP_2)
	v_add_f64_e32 v[0:1], v[4:5], v[16:17]
	v_add_f64_e32 v[2:3], v[10:11], v[2:3]
	v_lshl_add_u64 v[4:5], s[14:15], 4, v[8:9]
	v_mul_f64_e32 v[8:9], s[8:9], v[78:79]
	v_mul_f64_e32 v[10:11], s[6:7], v[78:79]
	s_delay_alu instid0(VALU_DEP_3)
	v_add_nc_u64_e32 v[4:5], v[4:5], v[6:7]
	flat_store_b128 v[14:15], v[0:3] offset:256
	flat_load_b128 v[0:3], v[4:5]
	v_fma_f64 v[8:9], s[6:7], v[76:77], -v[8:9]
	v_fmac_f64_e32 v[10:11], s[8:9], v[76:77]
	s_wait_loadcnt_dscnt 0x0
	v_mul_f64_e32 v[14:15], s[40:41], v[2:3]
	v_mul_f64_e32 v[2:3], s[38:39], v[2:3]
	s_delay_alu instid0(VALU_DEP_2) | instskip(NEXT) | instid1(VALU_DEP_2)
	v_fma_f64 v[14:15], s[38:39], v[0:1], -v[14:15]
	v_fmac_f64_e32 v[2:3], s[40:41], v[0:1]
	s_delay_alu instid0(VALU_DEP_2) | instskip(NEXT) | instid1(VALU_DEP_2)
	v_add_f64_e32 v[0:1], v[8:9], v[14:15]
	v_add_f64_e32 v[2:3], v[10:11], v[2:3]
	v_lshl_add_u64 v[8:9], s[12:13], 4, v[12:13]
	s_delay_alu instid0(VALU_DEP_1)
	v_add_nc_u64_e32 v[6:7], v[8:9], v[6:7]
	v_mul_f64_e32 v[8:9], s[6:7], v[72:73]
	flat_store_b128 v[6:7], v[0:3]
	flat_load_b128 v[0:3], v[4:5] offset:256
	s_wait_xcnt 0x0
	v_mul_f64_e32 v[4:5], s[8:9], v[72:73]
	v_fmac_f64_e32 v[8:9], s[8:9], v[70:71]
	s_delay_alu instid0(VALU_DEP_2) | instskip(SKIP_3) | instid1(VALU_DEP_2)
	v_fma_f64 v[4:5], s[6:7], v[70:71], -v[4:5]
	s_wait_loadcnt_dscnt 0x0
	v_mul_f64_e32 v[10:11], s[40:41], v[2:3]
	v_mul_f64_e32 v[2:3], s[38:39], v[2:3]
	v_fma_f64 v[10:11], s[38:39], v[0:1], -v[10:11]
	s_delay_alu instid0(VALU_DEP_2) | instskip(NEXT) | instid1(VALU_DEP_2)
	v_fmac_f64_e32 v[2:3], s[40:41], v[0:1]
	v_add_f64_e32 v[0:1], v[4:5], v[10:11]
	s_delay_alu instid0(VALU_DEP_2)
	v_add_f64_e32 v[2:3], v[8:9], v[2:3]
	v_add_nc_u64_e32 v[4:5], 0x100, v[6:7]
	flat_store_b64 v[6:7], v[0:1] offset:256
	s_branch .LBB264_2
.LBB264_11:
	s_sendmsg sendmsg(MSG_DEALLOC_VGPRS)
	s_endpgm
	.section	.rodata,"a",@progbits
	.p2align	6, 0x0
	.amdhsa_kernel _ZN12_GLOBAL__N_127rocblas_gemm_batched_kernelI19rocblas_complex_numIdELi16ELi16ELi32ELi32ELi8ELi32ELi8ELi8ELi32ELc67ELc67EKPKS2_S5_KPS2_EEvlllT_PT11_llSA_llS8_PT12_llPT13_lli
		.amdhsa_group_segment_fixed_size 8192
		.amdhsa_private_segment_fixed_size 0
		.amdhsa_kernarg_size 156
		.amdhsa_user_sgpr_count 2
		.amdhsa_user_sgpr_dispatch_ptr 0
		.amdhsa_user_sgpr_queue_ptr 0
		.amdhsa_user_sgpr_kernarg_segment_ptr 1
		.amdhsa_user_sgpr_dispatch_id 0
		.amdhsa_user_sgpr_kernarg_preload_length 0
		.amdhsa_user_sgpr_kernarg_preload_offset 0
		.amdhsa_user_sgpr_private_segment_size 0
		.amdhsa_wavefront_size32 1
		.amdhsa_uses_dynamic_stack 0
		.amdhsa_enable_private_segment 0
		.amdhsa_system_sgpr_workgroup_id_x 1
		.amdhsa_system_sgpr_workgroup_id_y 1
		.amdhsa_system_sgpr_workgroup_id_z 1
		.amdhsa_system_sgpr_workgroup_info 0
		.amdhsa_system_vgpr_workitem_id 1
		.amdhsa_next_free_vgpr 196
		.amdhsa_next_free_sgpr 52
		.amdhsa_named_barrier_count 0
		.amdhsa_reserve_vcc 1
		.amdhsa_float_round_mode_32 0
		.amdhsa_float_round_mode_16_64 0
		.amdhsa_float_denorm_mode_32 3
		.amdhsa_float_denorm_mode_16_64 3
		.amdhsa_fp16_overflow 0
		.amdhsa_memory_ordered 1
		.amdhsa_forward_progress 1
		.amdhsa_inst_pref_size 22
		.amdhsa_round_robin_scheduling 0
		.amdhsa_exception_fp_ieee_invalid_op 0
		.amdhsa_exception_fp_denorm_src 0
		.amdhsa_exception_fp_ieee_div_zero 0
		.amdhsa_exception_fp_ieee_overflow 0
		.amdhsa_exception_fp_ieee_underflow 0
		.amdhsa_exception_fp_ieee_inexact 0
		.amdhsa_exception_int_div_zero 0
	.end_amdhsa_kernel
	.section	.text._ZN12_GLOBAL__N_127rocblas_gemm_batched_kernelI19rocblas_complex_numIdELi16ELi16ELi32ELi32ELi8ELi32ELi8ELi8ELi32ELc67ELc67EKPKS2_S5_KPS2_EEvlllT_PT11_llSA_llS8_PT12_llPT13_lli,"axG",@progbits,_ZN12_GLOBAL__N_127rocblas_gemm_batched_kernelI19rocblas_complex_numIdELi16ELi16ELi32ELi32ELi8ELi32ELi8ELi8ELi32ELc67ELc67EKPKS2_S5_KPS2_EEvlllT_PT11_llSA_llS8_PT12_llPT13_lli,comdat
.Lfunc_end264:
	.size	_ZN12_GLOBAL__N_127rocblas_gemm_batched_kernelI19rocblas_complex_numIdELi16ELi16ELi32ELi32ELi8ELi32ELi8ELi8ELi32ELc67ELc67EKPKS2_S5_KPS2_EEvlllT_PT11_llSA_llS8_PT12_llPT13_lli, .Lfunc_end264-_ZN12_GLOBAL__N_127rocblas_gemm_batched_kernelI19rocblas_complex_numIdELi16ELi16ELi32ELi32ELi8ELi32ELi8ELi8ELi32ELc67ELc67EKPKS2_S5_KPS2_EEvlllT_PT11_llSA_llS8_PT12_llPT13_lli
                                        ; -- End function
	.set _ZN12_GLOBAL__N_127rocblas_gemm_batched_kernelI19rocblas_complex_numIdELi16ELi16ELi32ELi32ELi8ELi32ELi8ELi8ELi32ELc67ELc67EKPKS2_S5_KPS2_EEvlllT_PT11_llSA_llS8_PT12_llPT13_lli.num_vgpr, 196
	.set _ZN12_GLOBAL__N_127rocblas_gemm_batched_kernelI19rocblas_complex_numIdELi16ELi16ELi32ELi32ELi8ELi32ELi8ELi8ELi32ELc67ELc67EKPKS2_S5_KPS2_EEvlllT_PT11_llSA_llS8_PT12_llPT13_lli.num_agpr, 0
	.set _ZN12_GLOBAL__N_127rocblas_gemm_batched_kernelI19rocblas_complex_numIdELi16ELi16ELi32ELi32ELi8ELi32ELi8ELi8ELi32ELc67ELc67EKPKS2_S5_KPS2_EEvlllT_PT11_llSA_llS8_PT12_llPT13_lli.numbered_sgpr, 52
	.set _ZN12_GLOBAL__N_127rocblas_gemm_batched_kernelI19rocblas_complex_numIdELi16ELi16ELi32ELi32ELi8ELi32ELi8ELi8ELi32ELc67ELc67EKPKS2_S5_KPS2_EEvlllT_PT11_llSA_llS8_PT12_llPT13_lli.num_named_barrier, 0
	.set _ZN12_GLOBAL__N_127rocblas_gemm_batched_kernelI19rocblas_complex_numIdELi16ELi16ELi32ELi32ELi8ELi32ELi8ELi8ELi32ELc67ELc67EKPKS2_S5_KPS2_EEvlllT_PT11_llSA_llS8_PT12_llPT13_lli.private_seg_size, 0
	.set _ZN12_GLOBAL__N_127rocblas_gemm_batched_kernelI19rocblas_complex_numIdELi16ELi16ELi32ELi32ELi8ELi32ELi8ELi8ELi32ELc67ELc67EKPKS2_S5_KPS2_EEvlllT_PT11_llSA_llS8_PT12_llPT13_lli.uses_vcc, 1
	.set _ZN12_GLOBAL__N_127rocblas_gemm_batched_kernelI19rocblas_complex_numIdELi16ELi16ELi32ELi32ELi8ELi32ELi8ELi8ELi32ELc67ELc67EKPKS2_S5_KPS2_EEvlllT_PT11_llSA_llS8_PT12_llPT13_lli.uses_flat_scratch, 1
	.set _ZN12_GLOBAL__N_127rocblas_gemm_batched_kernelI19rocblas_complex_numIdELi16ELi16ELi32ELi32ELi8ELi32ELi8ELi8ELi32ELc67ELc67EKPKS2_S5_KPS2_EEvlllT_PT11_llSA_llS8_PT12_llPT13_lli.has_dyn_sized_stack, 0
	.set _ZN12_GLOBAL__N_127rocblas_gemm_batched_kernelI19rocblas_complex_numIdELi16ELi16ELi32ELi32ELi8ELi32ELi8ELi8ELi32ELc67ELc67EKPKS2_S5_KPS2_EEvlllT_PT11_llSA_llS8_PT12_llPT13_lli.has_recursion, 0
	.set _ZN12_GLOBAL__N_127rocblas_gemm_batched_kernelI19rocblas_complex_numIdELi16ELi16ELi32ELi32ELi8ELi32ELi8ELi8ELi32ELc67ELc67EKPKS2_S5_KPS2_EEvlllT_PT11_llSA_llS8_PT12_llPT13_lli.has_indirect_call, 0
	.section	.AMDGPU.csdata,"",@progbits
; Kernel info:
; codeLenInByte = 2712
; TotalNumSgprs: 54
; NumVgprs: 196
; ScratchSize: 0
; MemoryBound: 0
; FloatMode: 240
; IeeeMode: 1
; LDSByteSize: 8192 bytes/workgroup (compile time only)
; SGPRBlocks: 0
; VGPRBlocks: 12
; NumSGPRsForWavesPerEU: 54
; NumVGPRsForWavesPerEU: 196
; NamedBarCnt: 0
; Occupancy: 4
; WaveLimiterHint : 1
; COMPUTE_PGM_RSRC2:SCRATCH_EN: 0
; COMPUTE_PGM_RSRC2:USER_SGPR: 2
; COMPUTE_PGM_RSRC2:TRAP_HANDLER: 0
; COMPUTE_PGM_RSRC2:TGID_X_EN: 1
; COMPUTE_PGM_RSRC2:TGID_Y_EN: 1
; COMPUTE_PGM_RSRC2:TGID_Z_EN: 1
; COMPUTE_PGM_RSRC2:TIDIG_COMP_CNT: 1
	.section	.text._ZN12_GLOBAL__N_127rocblas_gemm_batched_kernelI19rocblas_complex_numIdELi16ELi16ELi32ELi32ELi8ELi32ELi8ELi8ELi32ELc67ELc78EKPKS2_S5_KPS2_EEvlllT_PT11_llSA_llS8_PT12_llPT13_lli,"axG",@progbits,_ZN12_GLOBAL__N_127rocblas_gemm_batched_kernelI19rocblas_complex_numIdELi16ELi16ELi32ELi32ELi8ELi32ELi8ELi8ELi32ELc67ELc78EKPKS2_S5_KPS2_EEvlllT_PT11_llSA_llS8_PT12_llPT13_lli,comdat
	.globl	_ZN12_GLOBAL__N_127rocblas_gemm_batched_kernelI19rocblas_complex_numIdELi16ELi16ELi32ELi32ELi8ELi32ELi8ELi8ELi32ELc67ELc78EKPKS2_S5_KPS2_EEvlllT_PT11_llSA_llS8_PT12_llPT13_lli ; -- Begin function _ZN12_GLOBAL__N_127rocblas_gemm_batched_kernelI19rocblas_complex_numIdELi16ELi16ELi32ELi32ELi8ELi32ELi8ELi8ELi32ELc67ELc78EKPKS2_S5_KPS2_EEvlllT_PT11_llSA_llS8_PT12_llPT13_lli
	.p2align	8
	.type	_ZN12_GLOBAL__N_127rocblas_gemm_batched_kernelI19rocblas_complex_numIdELi16ELi16ELi32ELi32ELi8ELi32ELi8ELi8ELi32ELc67ELc78EKPKS2_S5_KPS2_EEvlllT_PT11_llSA_llS8_PT12_llPT13_lli,@function
_ZN12_GLOBAL__N_127rocblas_gemm_batched_kernelI19rocblas_complex_numIdELi16ELi16ELi32ELi32ELi8ELi32ELi8ELi8ELi32ELc67ELc78EKPKS2_S5_KPS2_EEvlllT_PT11_llSA_llS8_PT12_llPT13_lli: ; @_ZN12_GLOBAL__N_127rocblas_gemm_batched_kernelI19rocblas_complex_numIdELi16ELi16ELi32ELi32ELi8ELi32ELi8ELi8ELi32ELc67ELc78EKPKS2_S5_KPS2_EEvlllT_PT11_llSA_llS8_PT12_llPT13_lli
; %bb.0:
	s_load_b32 s24, s[0:1], 0x98
	s_bfe_u32 s2, ttmp6, 0x40014
	s_lshr_b32 s3, ttmp7, 16
	s_add_co_i32 s2, s2, 1
	s_bfe_u32 s4, ttmp6, 0x40008
	s_mul_i32 s2, s3, s2
	s_getreg_b32 s20, hwreg(HW_REG_IB_STS2, 6, 4)
	s_add_co_i32 s4, s4, s2
	s_cmp_eq_u32 s20, 0
	s_cselect_b32 s2, s3, s4
	s_mov_b32 s3, 0
	s_wait_kmcnt 0x0
	s_cmp_ge_i32 s2, s24
	s_cbranch_scc1 .LBB265_11
; %bb.1:
	v_bfe_u32 v56, v0, 10, 10
	v_and_b32_e32 v2, 0x3ff, v0
	s_bfe_u32 s21, ttmp6, 0x4000c
	s_bfe_u32 s23, ttmp6, 0x40010
	s_clause 0x1
	s_load_b512 s[4:19], s[0:1], 0x10
	s_load_b512 s[36:51], s[0:1], 0x50
	s_add_co_i32 s21, s21, 1
	s_and_b32 s25, ttmp7, 0xffff
	s_add_co_i32 s23, s23, 1
	s_and_b32 s22, ttmp6, 15
	s_mul_i32 s21, ttmp9, s21
	s_mul_i32 s23, s25, s23
	s_bfe_u32 s26, ttmp6, 0x40004
	v_lshl_add_u32 v1, v56, 4, v2
	v_mov_b32_e32 v57, 0
	s_add_co_i32 s22, s22, s21
	s_add_co_i32 s26, s26, s23
	s_cmp_eq_u32 s20, 0
	v_and_b32_e32 v12, 31, v1
	s_cselect_b32 s20, ttmp9, s22
	v_dual_mov_b32 v5, v57 :: v_dual_lshrrev_b32 v4, 3, v1
	s_cselect_b32 s22, s25, s26
	s_ashr_i32 s21, s20, 31
	s_lshl_b32 s22, s22, 5
	s_lshl_b64 s[20:21], s[20:21], 5
	s_mov_b32 s23, s3
	v_dual_mov_b32 v7, s21 :: v_dual_bitop2_b32 v6, s20, v12 bitop3:0x54
	v_add_nc_u64_e32 v[8:9], s[22:23], v[4:5]
	v_add_nc_u64_e32 v[10:11], s[22:23], v[56:57]
	s_wait_kmcnt 0x0
	v_cmp_eq_f64_e64 s22, s[38:39], 0
	v_cmp_eq_f64_e64 s23, s[40:41], 0
	v_mul_u64_e32 v[6:7], s[12:13], v[6:7]
	v_dual_mov_b32 v3, v57 :: v_dual_lshlrev_b32 v0, 4, v0
	v_mul_u64_e32 v[8:9], s[18:19], v[8:9]
	v_mul_u64_e32 v[58:59], s[50:51], v[10:11]
	;; [unrolled: 1-line block ×3, first 2 shown]
	s_delay_alu instid0(VALU_DEP_4)
	v_and_b32_e32 v0, 0x70, v0
	s_load_b64 s[18:19], s[0:1], 0x90
	v_dual_lshlrev_b32 v92, 4, v2 :: v_dual_lshrrev_b32 v10, 5, v1
	s_wait_xcnt 0x0
	s_lshl_b64 s[0:1], s[14:15], 4
	v_dual_mov_b32 v1, v57 :: v_dual_lshlrev_b32 v11, 4, v12
	v_lshl_or_b32 v12, v4, 7, v0
	v_lshl_add_u32 v93, v56, 7, 0x1000
	v_lshlrev_b32_e32 v56, 4, v10
	v_add_nc_u64_e32 v[62:63], s[20:21], v[2:3]
	v_lshl_or_b32 v94, v10, 9, v11
	v_add_nc_u32_e32 v95, 0x1000, v12
	s_lshl_b64 s[12:13], s[50:51], 4
	s_lshl_b64 s[14:15], s[44:45], 4
	;; [unrolled: 1-line block ×3, first 2 shown]
	s_wait_kmcnt 0x0
	s_lshl_b64 s[18:19], s[18:19], 4
	v_lshl_add_u64 v[4:5], v[6:7], 4, s[0:1]
	s_lshl_b64 s[0:1], s[36:37], 4
	s_delay_alu instid0(SALU_CYCLE_1) | instskip(SKIP_1) | instid1(VALU_DEP_3)
	v_lshl_add_u64 v[2:3], v[8:9], 4, s[0:1]
	v_cmp_gt_i64_e64 s0, s[4:5], 0
	v_add_nc_u64_e32 v[64:65], v[4:5], v[56:57]
	s_and_b32 s1, s22, s23
	v_add_nc_u64_e32 v[66:67], v[2:3], v[0:1]
	v_cndmask_b32_e64 v4, 0, 1, s0
	s_delay_alu instid0(VALU_DEP_3) | instskip(NEXT) | instid1(VALU_DEP_2)
	v_or_b32_e32 v64, 8, v64
	v_cmp_ne_u32_e64 s0, 1, v4
	s_branch .LBB265_3
.LBB265_2:                              ;   in Loop: Header=BB265_3 Depth=1
	s_add_co_i32 s2, s2, 0x10000
	flat_store_b64 v[4:5], v[2:3] offset:8
	s_cmp_lt_i32 s2, s24
	s_cbranch_scc0 .LBB265_11
.LBB265_3:                              ; =>This Loop Header: Depth=1
                                        ;     Child Loop BB265_5 Depth 2
	s_wait_xcnt 0x1
	v_mov_b32_e32 v0, s2
	s_delay_alu instid0(VALU_DEP_2)
	s_and_b32 vcc_lo, exec_lo, s0
	s_clause 0x1
	global_load_b64 v[68:69], v0, s[42:43] scale_offset
	global_load_b64 v[74:75], v0, s[48:49] scale_offset
	s_cbranch_vccnz .LBB265_8
; %bb.4:                                ;   in Loop: Header=BB265_3 Depth=1
	s_lshl_b64 s[22:23], s[2:3], 3
	v_mov_b64_e32 v[72:73], 0
	s_add_nc_u64 s[26:27], s[10:11], s[22:23]
	s_add_nc_u64 s[22:23], s[16:17], s[22:23]
	s_clause 0x1
	global_load_b64 v[0:1], v57, s[26:27]
	global_load_b64 v[2:3], v57, s[22:23]
	v_mov_b64_e32 v[70:71], 0
	v_mov_b64_e32 v[78:79], 0
	;; [unrolled: 1-line block ×7, first 2 shown]
	s_wait_xcnt 0x0
	s_mov_b64 s[22:23], 0
	s_wait_loadcnt 0x1
	v_add_nc_u64_e32 v[86:87], v[0:1], v[64:65]
	s_wait_loadcnt 0x0
	v_add_nc_u64_e32 v[88:89], v[2:3], v[66:67]
.LBB265_5:                              ;   Parent Loop BB265_3 Depth=1
                                        ; =>  This Inner Loop Header: Depth=2
	flat_load_b128 v[0:3], v[86:87] offset:-8
	flat_load_b128 v[4:7], v[88:89]
	s_add_nc_u64 s[22:23], s[22:23], 8
	s_wait_xcnt 0x1
	v_add_nc_u64_e32 v[86:87], 0x80, v[86:87]
	v_cmp_lt_i64_e64 s25, s[22:23], s[4:5]
	s_wait_xcnt 0x0
	v_add_nc_u64_e32 v[88:89], 0x80, v[88:89]
	s_and_b32 vcc_lo, exec_lo, s25
	s_wait_loadcnt_dscnt 0x101
	v_xor_b32_e32 v3, 0x80000000, v3
	s_wait_loadcnt_dscnt 0x0
	ds_store_2addr_b64 v95, v[4:5], v[6:7] offset1:1
	ds_store_b128 v94, v[0:3]
	s_wait_dscnt 0x0
	s_barrier_signal -1
	s_barrier_wait -1
	ds_load_b128 v[0:3], v92
	ds_load_b128 v[8:11], v92 offset:256
	ds_load_b128 v[12:15], v93
	ds_load_b128 v[4:7], v93 offset:16
	ds_load_b128 v[16:19], v93 offset:2048
	;; [unrolled: 1-line block ×28, first 2 shown]
	s_wait_dscnt 0x1c
	v_mul_f64_e32 v[164:165], v[14:15], v[2:3]
	v_mul_f64_e32 v[166:167], v[12:13], v[2:3]
	;; [unrolled: 1-line block ×4, first 2 shown]
	s_wait_dscnt 0x1a
	v_mul_f64_e32 v[172:173], v[18:19], v[2:3]
	v_mul_f64_e32 v[2:3], v[16:17], v[2:3]
	;; [unrolled: 1-line block ×4, first 2 shown]
	s_wait_dscnt 0x18
	v_mul_f64_e32 v[176:177], v[6:7], v[26:27]
	v_mul_f64_e32 v[178:179], v[4:5], v[26:27]
	s_wait_dscnt 0x17
	v_mul_f64_e32 v[180:181], v[6:7], v[34:35]
	v_mul_f64_e32 v[182:183], v[4:5], v[34:35]
	;; [unrolled: 1-line block ×6, first 2 shown]
	s_wait_dscnt 0x14
	v_mul_f64_e32 v[188:189], v[38:39], v[42:43]
	v_mul_f64_e32 v[190:191], v[36:37], v[42:43]
	s_wait_dscnt 0x13
	v_mul_f64_e32 v[192:193], v[38:39], v[46:47]
	v_mul_f64_e32 v[194:195], v[36:37], v[46:47]
	v_fma_f64 v[164:165], v[12:13], v[0:1], -v[164:165]
	v_fmac_f64_e32 v[166:167], v[14:15], v[0:1]
	v_fma_f64 v[12:13], v[12:13], v[8:9], -v[168:169]
	v_fmac_f64_e32 v[170:171], v[14:15], v[8:9]
	;; [unrolled: 2-line block ×4, first 2 shown]
	s_wait_dscnt 0x12
	v_mul_f64_e32 v[14:15], v[50:51], v[42:43]
	v_mul_f64_e32 v[42:43], v[48:49], v[42:43]
	;; [unrolled: 1-line block ×4, first 2 shown]
	v_fma_f64 v[176:177], v[4:5], v[24:25], -v[176:177]
	v_fmac_f64_e32 v[178:179], v[6:7], v[24:25]
	v_fma_f64 v[4:5], v[4:5], v[32:33], -v[180:181]
	v_fmac_f64_e32 v[182:183], v[6:7], v[32:33]
	;; [unrolled: 2-line block ×4, first 2 shown]
	s_wait_dscnt 0x10
	v_mul_f64_e32 v[8:9], v[30:31], v[98:99]
	v_mul_f64_e32 v[18:19], v[28:29], v[98:99]
	s_wait_dscnt 0xf
	v_mul_f64_e32 v[172:173], v[30:31], v[102:103]
	v_mul_f64_e32 v[174:175], v[28:29], v[102:103]
	;; [unrolled: 1-line block ×6, first 2 shown]
	v_fmac_f64_e32 v[190:191], v[38:39], v[40:41]
	v_fmac_f64_e32 v[194:195], v[38:39], v[44:45]
	v_add_f64_e32 v[22:23], v[84:85], v[164:165]
	v_add_f64_e32 v[32:33], v[166:167], v[90:91]
	;; [unrolled: 1-line block ×8, first 2 shown]
	s_wait_dscnt 0xc
	v_mul_f64_e32 v[70:71], v[114:115], v[106:107]
	v_mul_f64_e32 v[72:73], v[112:113], v[106:107]
	s_wait_dscnt 0xa
	v_mul_f64_e32 v[84:85], v[122:123], v[106:107]
	v_mul_f64_e32 v[90:91], v[120:121], v[106:107]
	v_fma_f64 v[106:107], v[36:37], v[40:41], -v[188:189]
	v_fma_f64 v[36:37], v[36:37], v[44:45], -v[192:193]
	;; [unrolled: 1-line block ×3, first 2 shown]
	v_fmac_f64_e32 v[42:43], v[50:51], v[40:41]
	v_fma_f64 v[0:1], v[48:49], v[44:45], -v[0:1]
	v_fmac_f64_e32 v[46:47], v[50:51], v[44:45]
	v_mul_f64_e32 v[78:79], v[114:115], v[110:111]
	v_mul_f64_e32 v[82:83], v[112:113], v[110:111]
	v_fma_f64 v[8:9], v[28:29], v[96:97], -v[8:9]
	v_fmac_f64_e32 v[18:19], v[30:31], v[96:97]
	v_fma_f64 v[28:29], v[28:29], v[100:101], -v[172:173]
	v_fmac_f64_e32 v[174:175], v[30:31], v[100:101]
	;; [unrolled: 2-line block ×4, first 2 shown]
	s_wait_dscnt 0x8
	v_mul_f64_e32 v[40:41], v[116:117], v[130:131]
	s_wait_dscnt 0x7
	v_mul_f64_e32 v[44:45], v[118:119], v[134:135]
	v_mul_f64_e32 v[48:49], v[116:117], v[134:135]
	v_add_f64_e32 v[22:23], v[22:23], v[176:177]
	v_add_f64_e32 v[32:33], v[178:179], v[32:33]
	;; [unrolled: 1-line block ×8, first 2 shown]
	v_mul_f64_e32 v[20:21], v[122:123], v[110:111]
	v_mul_f64_e32 v[26:27], v[120:121], v[110:111]
	v_mul_f64_e32 v[34:35], v[118:119], v[130:131]
	v_fma_f64 v[50:51], v[112:113], v[104:105], -v[70:71]
	v_fmac_f64_e32 v[72:73], v[114:115], v[104:105]
	v_fma_f64 v[54:55], v[120:121], v[104:105], -v[84:85]
	v_fmac_f64_e32 v[90:91], v[122:123], v[104:105]
	s_wait_dscnt 0x1
	v_mul_f64_e32 v[70:71], v[156:157], v[142:143]
	s_wait_dscnt 0x0
	v_mul_f64_e32 v[76:77], v[162:163], v[154:155]
	v_fma_f64 v[52:53], v[112:113], v[108:109], -v[78:79]
	v_fmac_f64_e32 v[82:83], v[114:115], v[108:109]
	v_mul_f64_e32 v[78:79], v[160:161], v[154:155]
	v_fmac_f64_e32 v[40:41], v[118:119], v[128:129]
	v_fma_f64 v[44:45], v[116:117], v[132:133], -v[44:45]
	v_fmac_f64_e32 v[48:49], v[118:119], v[132:133]
	v_add_f64_e32 v[22:23], v[22:23], v[106:107]
	v_add_f64_e32 v[30:31], v[190:191], v[32:33]
	;; [unrolled: 1-line block ×8, first 2 shown]
	v_mul_f64_e32 v[16:17], v[126:127], v[130:131]
	v_mul_f64_e32 v[32:33], v[124:125], v[130:131]
	;; [unrolled: 1-line block ×4, first 2 shown]
	v_fma_f64 v[20:21], v[120:121], v[108:109], -v[20:21]
	v_fmac_f64_e32 v[26:27], v[122:123], v[108:109]
	v_mul_f64_e32 v[42:43], v[146:147], v[138:139]
	v_mul_f64_e32 v[46:47], v[144:145], v[138:139]
	v_fma_f64 v[34:35], v[116:117], v[128:129], -v[34:35]
	v_fmac_f64_e32 v[70:71], v[158:159], v[140:141]
	v_fmac_f64_e32 v[78:79], v[162:163], v[152:153]
	v_add_f64_e32 v[8:9], v[22:23], v[8:9]
	v_add_f64_e32 v[18:19], v[18:19], v[30:31]
	;; [unrolled: 1-line block ×8, first 2 shown]
	v_mul_f64_e32 v[14:15], v[146:147], v[142:143]
	v_mul_f64_e32 v[22:23], v[144:145], v[142:143]
	;; [unrolled: 1-line block ×5, first 2 shown]
	v_fma_f64 v[16:17], v[124:125], v[128:129], -v[16:17]
	v_fmac_f64_e32 v[32:33], v[126:127], v[128:129]
	v_fma_f64 v[36:37], v[124:125], v[132:133], -v[36:37]
	v_fmac_f64_e32 v[38:39], v[126:127], v[132:133]
	;; [unrolled: 2-line block ×3, first 2 shown]
	v_add_f64_e32 v[8:9], v[8:9], v[50:51]
	v_add_f64_e32 v[18:19], v[72:73], v[18:19]
	;; [unrolled: 1-line block ×8, first 2 shown]
	ds_load_b128 v[0:3], v92 offset:3840
	v_mul_f64_e32 v[26:27], v[150:151], v[154:155]
	v_mul_f64_e32 v[52:53], v[148:149], v[154:155]
	v_fma_f64 v[14:15], v[144:145], v[140:141], -v[14:15]
	v_fmac_f64_e32 v[22:23], v[146:147], v[140:141]
	v_fma_f64 v[24:25], v[156:157], v[136:137], -v[24:25]
	v_fmac_f64_e32 v[28:29], v[158:159], v[136:137]
	v_fma_f64 v[30:31], v[156:157], v[140:141], -v[30:31]
	s_wait_dscnt 0x0
	s_barrier_signal -1
	s_barrier_wait -1
	v_mul_f64_e32 v[54:55], v[150:151], v[2:3]
	v_mul_f64_e32 v[72:73], v[148:149], v[2:3]
	;; [unrolled: 1-line block ×4, first 2 shown]
	v_add_f64_e32 v[8:9], v[8:9], v[34:35]
	v_add_f64_e32 v[18:19], v[40:41], v[18:19]
	;; [unrolled: 1-line block ×8, first 2 shown]
	v_fma_f64 v[34:35], v[160:161], v[152:153], -v[76:77]
	v_fma_f64 v[26:27], v[148:149], v[152:153], -v[26:27]
	v_fmac_f64_e32 v[52:53], v[150:151], v[152:153]
	v_fma_f64 v[32:33], v[148:149], v[0:1], -v[54:55]
	v_fmac_f64_e32 v[72:73], v[150:151], v[0:1]
	v_fma_f64 v[36:37], v[160:161], v[0:1], -v[80:81]
	v_fmac_f64_e32 v[2:3], v[162:163], v[0:1]
	v_add_f64_e32 v[0:1], v[8:9], v[42:43]
	v_add_f64_e32 v[8:9], v[46:47], v[18:19]
	;; [unrolled: 1-line block ×16, first 2 shown]
	s_cbranch_vccnz .LBB265_5
; %bb.6:                                ;   in Loop: Header=BB265_3 Depth=1
	v_add_nc_u64_e32 v[0:1], s[18:19], v[74:75]
	s_and_not1_b32 vcc_lo, exec_lo, s1
	s_mov_b32 s22, -1
                                        ; implicit-def: $vgpr2_vgpr3
                                        ; implicit-def: $vgpr4_vgpr5
	s_cbranch_vccnz .LBB265_9
.LBB265_7:                              ;   in Loop: Header=BB265_3 Depth=1
	v_mul_f64_e32 v[4:5], s[8:9], v[90:91]
	v_mul_f64_e32 v[8:9], s[6:7], v[90:91]
	s_delay_alu instid0(VALU_DEP_4)
	v_mul_f64_e32 v[2:3], s[6:7], v[72:73]
	v_mul_f64_e32 v[10:11], s[8:9], v[82:83]
	;; [unrolled: 1-line block ×6, first 2 shown]
	v_lshlrev_b64_e32 v[20:21], 4, v[62:63]
	v_fma_f64 v[6:7], s[6:7], v[84:85], -v[4:5]
	v_fmac_f64_e32 v[8:9], s[8:9], v[84:85]
	v_fmac_f64_e32 v[2:3], s[8:9], v[70:71]
	v_fma_f64 v[10:11], s[6:7], v[80:81], -v[10:11]
	v_fmac_f64_e32 v[12:13], s[8:9], v[80:81]
	v_fma_f64 v[14:15], s[6:7], v[76:77], -v[14:15]
	;; [unrolled: 2-line block ×3, first 2 shown]
	v_lshl_add_u64 v[4:5], v[58:59], 4, v[0:1]
	s_delay_alu instid0(VALU_DEP_1) | instskip(NEXT) | instid1(VALU_DEP_1)
	v_lshl_add_u64 v[22:23], s[12:13], 4, v[4:5]
	v_add_nc_u64_e32 v[22:23], v[22:23], v[20:21]
	v_add_nc_u64_e32 v[20:21], v[4:5], v[20:21]
	s_clause 0x3
	flat_store_b128 v[20:21], v[6:9]
	flat_store_b128 v[20:21], v[10:13] offset:256
	flat_store_b128 v[22:23], v[14:17]
	flat_store_b64 v[22:23], v[18:19] offset:256
	v_add_nc_u64_e32 v[4:5], 0x100, v[22:23]
	s_cbranch_execnz .LBB265_2
	s_branch .LBB265_10
.LBB265_8:                              ;   in Loop: Header=BB265_3 Depth=1
	v_mov_b64_e32 v[84:85], 0
	v_mov_b64_e32 v[90:91], 0
	;; [unrolled: 1-line block ×8, first 2 shown]
	s_wait_loadcnt 0x0
	s_wait_xcnt 0x0
	v_add_nc_u64_e32 v[0:1], s[18:19], v[74:75]
	s_and_not1_b32 vcc_lo, exec_lo, s1
	s_mov_b32 s22, -1
                                        ; implicit-def: $vgpr2_vgpr3
                                        ; implicit-def: $vgpr4_vgpr5
	s_cbranch_vccz .LBB265_7
.LBB265_9:                              ;   in Loop: Header=BB265_3 Depth=1
	s_and_not1_b32 vcc_lo, exec_lo, s22
	s_cbranch_vccnz .LBB265_2
.LBB265_10:                             ;   in Loop: Header=BB265_3 Depth=1
	v_add_nc_u64_e32 v[2:3], s[20:21], v[68:69]
	s_wait_xcnt 0x3
	v_lshlrev_b64_e32 v[6:7], 4, v[62:63]
	s_wait_xcnt 0x2
	v_mul_f64_e32 v[12:13], s[8:9], v[90:91]
	s_wait_xcnt 0x1
	v_mul_f64_e32 v[14:15], s[6:7], v[90:91]
	v_lshl_add_u64 v[8:9], v[60:61], 4, v[2:3]
	s_delay_alu instid0(VALU_DEP_1)
	v_add_nc_u64_e32 v[10:11], v[8:9], v[6:7]
	flat_load_b128 v[2:5], v[10:11]
	v_fma_f64 v[12:13], s[6:7], v[84:85], -v[12:13]
	v_fmac_f64_e32 v[14:15], s[8:9], v[84:85]
	s_wait_loadcnt_dscnt 0x0
	v_mul_f64_e32 v[16:17], s[40:41], v[4:5]
	v_mul_f64_e32 v[4:5], s[38:39], v[4:5]
	s_delay_alu instid0(VALU_DEP_2) | instskip(NEXT) | instid1(VALU_DEP_2)
	v_fma_f64 v[16:17], s[38:39], v[2:3], -v[16:17]
	v_fmac_f64_e32 v[4:5], s[40:41], v[2:3]
	s_delay_alu instid0(VALU_DEP_2) | instskip(NEXT) | instid1(VALU_DEP_2)
	v_add_f64_e32 v[2:3], v[12:13], v[16:17]
	v_add_f64_e32 v[4:5], v[14:15], v[4:5]
	v_lshl_add_u64 v[12:13], v[58:59], 4, v[0:1]
	s_delay_alu instid0(VALU_DEP_1)
	v_add_nc_u64_e32 v[14:15], v[12:13], v[6:7]
	flat_store_b128 v[14:15], v[2:5]
	flat_load_b128 v[0:3], v[10:11] offset:256
	v_mul_f64_e32 v[4:5], s[8:9], v[82:83]
	s_wait_xcnt 0x0
	v_mul_f64_e32 v[10:11], s[6:7], v[82:83]
	s_delay_alu instid0(VALU_DEP_2) | instskip(NEXT) | instid1(VALU_DEP_2)
	v_fma_f64 v[4:5], s[6:7], v[80:81], -v[4:5]
	v_fmac_f64_e32 v[10:11], s[8:9], v[80:81]
	s_wait_loadcnt_dscnt 0x0
	v_mul_f64_e32 v[16:17], s[40:41], v[2:3]
	v_mul_f64_e32 v[2:3], s[38:39], v[2:3]
	s_delay_alu instid0(VALU_DEP_2) | instskip(NEXT) | instid1(VALU_DEP_2)
	v_fma_f64 v[16:17], s[38:39], v[0:1], -v[16:17]
	v_fmac_f64_e32 v[2:3], s[40:41], v[0:1]
	s_delay_alu instid0(VALU_DEP_2) | instskip(NEXT) | instid1(VALU_DEP_2)
	v_add_f64_e32 v[0:1], v[4:5], v[16:17]
	v_add_f64_e32 v[2:3], v[10:11], v[2:3]
	v_lshl_add_u64 v[4:5], s[14:15], 4, v[8:9]
	v_mul_f64_e32 v[8:9], s[8:9], v[78:79]
	v_mul_f64_e32 v[10:11], s[6:7], v[78:79]
	s_delay_alu instid0(VALU_DEP_3)
	v_add_nc_u64_e32 v[4:5], v[4:5], v[6:7]
	flat_store_b128 v[14:15], v[0:3] offset:256
	flat_load_b128 v[0:3], v[4:5]
	v_fma_f64 v[8:9], s[6:7], v[76:77], -v[8:9]
	v_fmac_f64_e32 v[10:11], s[8:9], v[76:77]
	s_wait_loadcnt_dscnt 0x0
	v_mul_f64_e32 v[14:15], s[40:41], v[2:3]
	v_mul_f64_e32 v[2:3], s[38:39], v[2:3]
	s_delay_alu instid0(VALU_DEP_2) | instskip(NEXT) | instid1(VALU_DEP_2)
	v_fma_f64 v[14:15], s[38:39], v[0:1], -v[14:15]
	v_fmac_f64_e32 v[2:3], s[40:41], v[0:1]
	s_delay_alu instid0(VALU_DEP_2) | instskip(NEXT) | instid1(VALU_DEP_2)
	v_add_f64_e32 v[0:1], v[8:9], v[14:15]
	v_add_f64_e32 v[2:3], v[10:11], v[2:3]
	v_lshl_add_u64 v[8:9], s[12:13], 4, v[12:13]
	s_delay_alu instid0(VALU_DEP_1)
	v_add_nc_u64_e32 v[6:7], v[8:9], v[6:7]
	v_mul_f64_e32 v[8:9], s[6:7], v[72:73]
	flat_store_b128 v[6:7], v[0:3]
	flat_load_b128 v[0:3], v[4:5] offset:256
	s_wait_xcnt 0x0
	v_mul_f64_e32 v[4:5], s[8:9], v[72:73]
	v_fmac_f64_e32 v[8:9], s[8:9], v[70:71]
	s_delay_alu instid0(VALU_DEP_2) | instskip(SKIP_3) | instid1(VALU_DEP_2)
	v_fma_f64 v[4:5], s[6:7], v[70:71], -v[4:5]
	s_wait_loadcnt_dscnt 0x0
	v_mul_f64_e32 v[10:11], s[40:41], v[2:3]
	v_mul_f64_e32 v[2:3], s[38:39], v[2:3]
	v_fma_f64 v[10:11], s[38:39], v[0:1], -v[10:11]
	s_delay_alu instid0(VALU_DEP_2) | instskip(NEXT) | instid1(VALU_DEP_2)
	v_fmac_f64_e32 v[2:3], s[40:41], v[0:1]
	v_add_f64_e32 v[0:1], v[4:5], v[10:11]
	s_delay_alu instid0(VALU_DEP_2)
	v_add_f64_e32 v[2:3], v[8:9], v[2:3]
	v_add_nc_u64_e32 v[4:5], 0x100, v[6:7]
	flat_store_b64 v[6:7], v[0:1] offset:256
	s_branch .LBB265_2
.LBB265_11:
	s_sendmsg sendmsg(MSG_DEALLOC_VGPRS)
	s_endpgm
	.section	.rodata,"a",@progbits
	.p2align	6, 0x0
	.amdhsa_kernel _ZN12_GLOBAL__N_127rocblas_gemm_batched_kernelI19rocblas_complex_numIdELi16ELi16ELi32ELi32ELi8ELi32ELi8ELi8ELi32ELc67ELc78EKPKS2_S5_KPS2_EEvlllT_PT11_llSA_llS8_PT12_llPT13_lli
		.amdhsa_group_segment_fixed_size 8192
		.amdhsa_private_segment_fixed_size 0
		.amdhsa_kernarg_size 156
		.amdhsa_user_sgpr_count 2
		.amdhsa_user_sgpr_dispatch_ptr 0
		.amdhsa_user_sgpr_queue_ptr 0
		.amdhsa_user_sgpr_kernarg_segment_ptr 1
		.amdhsa_user_sgpr_dispatch_id 0
		.amdhsa_user_sgpr_kernarg_preload_length 0
		.amdhsa_user_sgpr_kernarg_preload_offset 0
		.amdhsa_user_sgpr_private_segment_size 0
		.amdhsa_wavefront_size32 1
		.amdhsa_uses_dynamic_stack 0
		.amdhsa_enable_private_segment 0
		.amdhsa_system_sgpr_workgroup_id_x 1
		.amdhsa_system_sgpr_workgroup_id_y 1
		.amdhsa_system_sgpr_workgroup_id_z 1
		.amdhsa_system_sgpr_workgroup_info 0
		.amdhsa_system_vgpr_workitem_id 1
		.amdhsa_next_free_vgpr 196
		.amdhsa_next_free_sgpr 52
		.amdhsa_named_barrier_count 0
		.amdhsa_reserve_vcc 1
		.amdhsa_float_round_mode_32 0
		.amdhsa_float_round_mode_16_64 0
		.amdhsa_float_denorm_mode_32 3
		.amdhsa_float_denorm_mode_16_64 3
		.amdhsa_fp16_overflow 0
		.amdhsa_memory_ordered 1
		.amdhsa_forward_progress 1
		.amdhsa_inst_pref_size 22
		.amdhsa_round_robin_scheduling 0
		.amdhsa_exception_fp_ieee_invalid_op 0
		.amdhsa_exception_fp_denorm_src 0
		.amdhsa_exception_fp_ieee_div_zero 0
		.amdhsa_exception_fp_ieee_overflow 0
		.amdhsa_exception_fp_ieee_underflow 0
		.amdhsa_exception_fp_ieee_inexact 0
		.amdhsa_exception_int_div_zero 0
	.end_amdhsa_kernel
	.section	.text._ZN12_GLOBAL__N_127rocblas_gemm_batched_kernelI19rocblas_complex_numIdELi16ELi16ELi32ELi32ELi8ELi32ELi8ELi8ELi32ELc67ELc78EKPKS2_S5_KPS2_EEvlllT_PT11_llSA_llS8_PT12_llPT13_lli,"axG",@progbits,_ZN12_GLOBAL__N_127rocblas_gemm_batched_kernelI19rocblas_complex_numIdELi16ELi16ELi32ELi32ELi8ELi32ELi8ELi8ELi32ELc67ELc78EKPKS2_S5_KPS2_EEvlllT_PT11_llSA_llS8_PT12_llPT13_lli,comdat
.Lfunc_end265:
	.size	_ZN12_GLOBAL__N_127rocblas_gemm_batched_kernelI19rocblas_complex_numIdELi16ELi16ELi32ELi32ELi8ELi32ELi8ELi8ELi32ELc67ELc78EKPKS2_S5_KPS2_EEvlllT_PT11_llSA_llS8_PT12_llPT13_lli, .Lfunc_end265-_ZN12_GLOBAL__N_127rocblas_gemm_batched_kernelI19rocblas_complex_numIdELi16ELi16ELi32ELi32ELi8ELi32ELi8ELi8ELi32ELc67ELc78EKPKS2_S5_KPS2_EEvlllT_PT11_llSA_llS8_PT12_llPT13_lli
                                        ; -- End function
	.set _ZN12_GLOBAL__N_127rocblas_gemm_batched_kernelI19rocblas_complex_numIdELi16ELi16ELi32ELi32ELi8ELi32ELi8ELi8ELi32ELc67ELc78EKPKS2_S5_KPS2_EEvlllT_PT11_llSA_llS8_PT12_llPT13_lli.num_vgpr, 196
	.set _ZN12_GLOBAL__N_127rocblas_gemm_batched_kernelI19rocblas_complex_numIdELi16ELi16ELi32ELi32ELi8ELi32ELi8ELi8ELi32ELc67ELc78EKPKS2_S5_KPS2_EEvlllT_PT11_llSA_llS8_PT12_llPT13_lli.num_agpr, 0
	.set _ZN12_GLOBAL__N_127rocblas_gemm_batched_kernelI19rocblas_complex_numIdELi16ELi16ELi32ELi32ELi8ELi32ELi8ELi8ELi32ELc67ELc78EKPKS2_S5_KPS2_EEvlllT_PT11_llSA_llS8_PT12_llPT13_lli.numbered_sgpr, 52
	.set _ZN12_GLOBAL__N_127rocblas_gemm_batched_kernelI19rocblas_complex_numIdELi16ELi16ELi32ELi32ELi8ELi32ELi8ELi8ELi32ELc67ELc78EKPKS2_S5_KPS2_EEvlllT_PT11_llSA_llS8_PT12_llPT13_lli.num_named_barrier, 0
	.set _ZN12_GLOBAL__N_127rocblas_gemm_batched_kernelI19rocblas_complex_numIdELi16ELi16ELi32ELi32ELi8ELi32ELi8ELi8ELi32ELc67ELc78EKPKS2_S5_KPS2_EEvlllT_PT11_llSA_llS8_PT12_llPT13_lli.private_seg_size, 0
	.set _ZN12_GLOBAL__N_127rocblas_gemm_batched_kernelI19rocblas_complex_numIdELi16ELi16ELi32ELi32ELi8ELi32ELi8ELi8ELi32ELc67ELc78EKPKS2_S5_KPS2_EEvlllT_PT11_llSA_llS8_PT12_llPT13_lli.uses_vcc, 1
	.set _ZN12_GLOBAL__N_127rocblas_gemm_batched_kernelI19rocblas_complex_numIdELi16ELi16ELi32ELi32ELi8ELi32ELi8ELi8ELi32ELc67ELc78EKPKS2_S5_KPS2_EEvlllT_PT11_llSA_llS8_PT12_llPT13_lli.uses_flat_scratch, 1
	.set _ZN12_GLOBAL__N_127rocblas_gemm_batched_kernelI19rocblas_complex_numIdELi16ELi16ELi32ELi32ELi8ELi32ELi8ELi8ELi32ELc67ELc78EKPKS2_S5_KPS2_EEvlllT_PT11_llSA_llS8_PT12_llPT13_lli.has_dyn_sized_stack, 0
	.set _ZN12_GLOBAL__N_127rocblas_gemm_batched_kernelI19rocblas_complex_numIdELi16ELi16ELi32ELi32ELi8ELi32ELi8ELi8ELi32ELc67ELc78EKPKS2_S5_KPS2_EEvlllT_PT11_llSA_llS8_PT12_llPT13_lli.has_recursion, 0
	.set _ZN12_GLOBAL__N_127rocblas_gemm_batched_kernelI19rocblas_complex_numIdELi16ELi16ELi32ELi32ELi8ELi32ELi8ELi8ELi32ELc67ELc78EKPKS2_S5_KPS2_EEvlllT_PT11_llSA_llS8_PT12_llPT13_lli.has_indirect_call, 0
	.section	.AMDGPU.csdata,"",@progbits
; Kernel info:
; codeLenInByte = 2696
; TotalNumSgprs: 54
; NumVgprs: 196
; ScratchSize: 0
; MemoryBound: 0
; FloatMode: 240
; IeeeMode: 1
; LDSByteSize: 8192 bytes/workgroup (compile time only)
; SGPRBlocks: 0
; VGPRBlocks: 12
; NumSGPRsForWavesPerEU: 54
; NumVGPRsForWavesPerEU: 196
; NamedBarCnt: 0
; Occupancy: 4
; WaveLimiterHint : 1
; COMPUTE_PGM_RSRC2:SCRATCH_EN: 0
; COMPUTE_PGM_RSRC2:USER_SGPR: 2
; COMPUTE_PGM_RSRC2:TRAP_HANDLER: 0
; COMPUTE_PGM_RSRC2:TGID_X_EN: 1
; COMPUTE_PGM_RSRC2:TGID_Y_EN: 1
; COMPUTE_PGM_RSRC2:TGID_Z_EN: 1
; COMPUTE_PGM_RSRC2:TIDIG_COMP_CNT: 1
	.section	.text._ZN12_GLOBAL__N_127rocblas_gemm_batched_kernelI19rocblas_complex_numIdELi16ELi16ELi32ELi32ELi8ELi32ELi8ELi8ELi32ELc67ELc84EKPKS2_S5_KPS2_EEvlllT_PT11_llSA_llS8_PT12_llPT13_lli,"axG",@progbits,_ZN12_GLOBAL__N_127rocblas_gemm_batched_kernelI19rocblas_complex_numIdELi16ELi16ELi32ELi32ELi8ELi32ELi8ELi8ELi32ELc67ELc84EKPKS2_S5_KPS2_EEvlllT_PT11_llSA_llS8_PT12_llPT13_lli,comdat
	.globl	_ZN12_GLOBAL__N_127rocblas_gemm_batched_kernelI19rocblas_complex_numIdELi16ELi16ELi32ELi32ELi8ELi32ELi8ELi8ELi32ELc67ELc84EKPKS2_S5_KPS2_EEvlllT_PT11_llSA_llS8_PT12_llPT13_lli ; -- Begin function _ZN12_GLOBAL__N_127rocblas_gemm_batched_kernelI19rocblas_complex_numIdELi16ELi16ELi32ELi32ELi8ELi32ELi8ELi8ELi32ELc67ELc84EKPKS2_S5_KPS2_EEvlllT_PT11_llSA_llS8_PT12_llPT13_lli
	.p2align	8
	.type	_ZN12_GLOBAL__N_127rocblas_gemm_batched_kernelI19rocblas_complex_numIdELi16ELi16ELi32ELi32ELi8ELi32ELi8ELi8ELi32ELc67ELc84EKPKS2_S5_KPS2_EEvlllT_PT11_llSA_llS8_PT12_llPT13_lli,@function
_ZN12_GLOBAL__N_127rocblas_gemm_batched_kernelI19rocblas_complex_numIdELi16ELi16ELi32ELi32ELi8ELi32ELi8ELi8ELi32ELc67ELc84EKPKS2_S5_KPS2_EEvlllT_PT11_llSA_llS8_PT12_llPT13_lli: ; @_ZN12_GLOBAL__N_127rocblas_gemm_batched_kernelI19rocblas_complex_numIdELi16ELi16ELi32ELi32ELi8ELi32ELi8ELi8ELi32ELc67ELc84EKPKS2_S5_KPS2_EEvlllT_PT11_llSA_llS8_PT12_llPT13_lli
; %bb.0:
	s_load_b32 s26, s[0:1], 0x98
	s_bfe_u32 s2, ttmp6, 0x40014
	s_lshr_b32 s3, ttmp7, 16
	s_add_co_i32 s2, s2, 1
	s_bfe_u32 s4, ttmp6, 0x40008
	s_mul_i32 s2, s3, s2
	s_getreg_b32 s20, hwreg(HW_REG_IB_STS2, 6, 4)
	s_add_co_i32 s4, s4, s2
	s_cmp_eq_u32 s20, 0
	s_cselect_b32 s2, s3, s4
	s_mov_b32 s3, 0
	s_wait_kmcnt 0x0
	s_cmp_ge_i32 s2, s26
	s_cbranch_scc1 .LBB266_11
; %bb.1:
	s_bfe_u32 s21, ttmp6, 0x4000c
	s_bfe_u32 s23, ttmp6, 0x40010
	s_add_co_i32 s21, s21, 1
	s_and_b32 s24, ttmp7, 0xffff
	s_add_co_i32 s23, s23, 1
	v_bfe_u32 v56, v0, 10, 10
	v_and_b32_e32 v2, 0x3ff, v0
	s_clause 0x1
	s_load_b512 s[4:19], s[0:1], 0x10
	s_load_b512 s[36:51], s[0:1], 0x50
	s_and_b32 s22, ttmp6, 15
	s_mul_i32 s21, ttmp9, s21
	s_mul_i32 s23, s24, s23
	s_bfe_u32 s25, ttmp6, 0x40004
	s_add_co_i32 s22, s22, s21
	s_add_co_i32 s25, s25, s23
	s_cmp_eq_u32 s20, 0
	v_lshl_add_u32 v10, v56, 4, v2
	s_cselect_b32 s20, ttmp9, s22
	s_cselect_b32 s22, s24, s25
	s_ashr_i32 s21, s20, 31
	v_mov_b32_e32 v57, 0
	s_lshl_b64 s[20:21], s[20:21], 5
	s_delay_alu instid0(SALU_CYCLE_1) | instskip(NEXT) | instid1(VALU_DEP_2)
	v_dual_mov_b32 v5, s21 :: v_dual_bitop2_b32 v11, 31, v10 bitop3:0x40
	v_dual_mov_b32 v7, v57 :: v_dual_lshrrev_b32 v6, 3, v10
	v_lshl_add_u32 v93, v56, 7, 0x1000
	s_delay_alu instid0(VALU_DEP_3)
	v_or_b32_e32 v4, s20, v11
	s_wait_kmcnt 0x0
	v_cmp_eq_f64_e64 s24, s[38:39], 0
	v_cmp_eq_f64_e64 s25, s[40:41], 0
	v_dual_mov_b32 v3, v57 :: v_dual_lshlrev_b32 v92, 4, v2
	v_mul_u64_e32 v[4:5], s[12:13], v[4:5]
	s_lshl_b32 s12, s22, 5
	s_mov_b32 s13, s3
	s_load_b64 s[22:23], s[0:1], 0x90
	v_add_nc_u64_e32 v[8:9], s[12:13], v[6:7]
	v_and_b32_e32 v7, 7, v0
	v_add_nc_u64_e32 v[0:1], s[12:13], v[56:57]
	s_wait_xcnt 0x0
	s_lshl_b64 s[0:1], s[14:15], 4
	v_add_nc_u64_e32 v[62:63], s[20:21], v[2:3]
	s_lshl_b64 s[12:13], s[50:51], 4
	s_lshl_b64 s[14:15], s[44:45], 4
	v_mad_nc_u64_u32 v[8:9], s18, v7, v[8:9]
	v_mul_u64_e32 v[58:59], s[50:51], v[0:1]
	v_mul_u64_e32 v[60:61], s[44:45], v[0:1]
	v_lshlrev_b32_e32 v0, 4, v7
	s_delay_alu instid0(VALU_DEP_1) | instskip(SKIP_2) | instid1(VALU_DEP_3)
	v_lshl_or_b32 v6, v6, 7, v0
	v_mad_u32 v9, s19, v7, v9
	v_dual_lshrrev_b32 v7, 5, v10 :: v_dual_lshlrev_b32 v10, 4, v11
	v_add_nc_u32_e32 v95, 0x1000, v6
	s_lshl_b64 s[18:19], s[18:19], 7
	s_wait_kmcnt 0x0
	s_lshl_b64 s[20:21], s[22:23], 4
	v_lshlrev_b32_e32 v56, 4, v7
	v_lshl_or_b32 v94, v7, 9, v10
	s_lshl_b64 s[22:23], s[46:47], 4
	v_lshl_add_u64 v[0:1], v[4:5], 4, s[0:1]
	v_cmp_gt_i64_e64 s0, s[4:5], 0
	v_lshlrev_b64_e32 v[2:3], 4, v[8:9]
	s_and_b32 s1, s24, s25
	v_add_nc_u64_e32 v[64:65], v[0:1], v[56:57]
	v_cndmask_b32_e64 v0, 0, 1, s0
	s_delay_alu instid0(VALU_DEP_3) | instskip(NEXT) | instid1(VALU_DEP_3)
	v_lshl_add_u64 v[66:67], s[36:37], 4, v[2:3]
	v_or_b32_e32 v64, 8, v64
	s_delay_alu instid0(VALU_DEP_3)
	v_cmp_ne_u32_e64 s0, 1, v0
	s_branch .LBB266_3
.LBB266_2:                              ;   in Loop: Header=BB266_3 Depth=1
	s_add_co_i32 s2, s2, 0x10000
	flat_store_b64 v[4:5], v[2:3] offset:8
	s_cmp_lt_i32 s2, s26
	s_cbranch_scc0 .LBB266_11
.LBB266_3:                              ; =>This Loop Header: Depth=1
                                        ;     Child Loop BB266_5 Depth 2
	s_wait_xcnt 0x1
	v_mov_b32_e32 v0, s2
	s_delay_alu instid0(VALU_DEP_2)
	s_and_b32 vcc_lo, exec_lo, s0
	s_clause 0x1
	global_load_b64 v[68:69], v0, s[42:43] scale_offset
	global_load_b64 v[74:75], v0, s[48:49] scale_offset
	s_cbranch_vccnz .LBB266_8
; %bb.4:                                ;   in Loop: Header=BB266_3 Depth=1
	s_lshl_b64 s[24:25], s[2:3], 3
	v_mov_b64_e32 v[72:73], 0
	s_add_nc_u64 s[28:29], s[10:11], s[24:25]
	s_add_nc_u64 s[24:25], s[16:17], s[24:25]
	s_clause 0x1
	global_load_b64 v[0:1], v57, s[28:29]
	global_load_b64 v[2:3], v57, s[24:25]
	v_mov_b64_e32 v[70:71], 0
	v_mov_b64_e32 v[78:79], 0
	;; [unrolled: 1-line block ×7, first 2 shown]
	s_wait_xcnt 0x0
	s_mov_b64 s[24:25], 0
	s_wait_loadcnt 0x1
	v_add_nc_u64_e32 v[86:87], v[0:1], v[64:65]
	s_wait_loadcnt 0x0
	v_add_nc_u64_e32 v[88:89], v[2:3], v[66:67]
.LBB266_5:                              ;   Parent Loop BB266_3 Depth=1
                                        ; =>  This Inner Loop Header: Depth=2
	flat_load_b128 v[0:3], v[86:87] offset:-8
	flat_load_b128 v[4:7], v[88:89]
	s_add_nc_u64 s[24:25], s[24:25], 8
	s_wait_xcnt 0x1
	v_add_nc_u64_e32 v[86:87], 0x80, v[86:87]
	v_cmp_lt_i64_e64 s27, s[24:25], s[4:5]
	s_wait_xcnt 0x0
	v_add_nc_u64_e32 v[88:89], s[18:19], v[88:89]
	s_and_b32 vcc_lo, exec_lo, s27
	s_wait_loadcnt_dscnt 0x101
	v_xor_b32_e32 v3, 0x80000000, v3
	s_wait_loadcnt_dscnt 0x0
	ds_store_2addr_b64 v95, v[4:5], v[6:7] offset1:1
	ds_store_b128 v94, v[0:3]
	s_wait_dscnt 0x0
	s_barrier_signal -1
	s_barrier_wait -1
	ds_load_b128 v[0:3], v92
	ds_load_b128 v[8:11], v92 offset:256
	ds_load_b128 v[12:15], v93
	ds_load_b128 v[4:7], v93 offset:16
	ds_load_b128 v[16:19], v93 offset:2048
	;; [unrolled: 1-line block ×28, first 2 shown]
	s_wait_dscnt 0x1c
	v_mul_f64_e32 v[164:165], v[14:15], v[2:3]
	v_mul_f64_e32 v[166:167], v[12:13], v[2:3]
	;; [unrolled: 1-line block ×4, first 2 shown]
	s_wait_dscnt 0x1a
	v_mul_f64_e32 v[172:173], v[18:19], v[2:3]
	v_mul_f64_e32 v[2:3], v[16:17], v[2:3]
	;; [unrolled: 1-line block ×4, first 2 shown]
	s_wait_dscnt 0x18
	v_mul_f64_e32 v[176:177], v[6:7], v[26:27]
	v_mul_f64_e32 v[178:179], v[4:5], v[26:27]
	s_wait_dscnt 0x17
	v_mul_f64_e32 v[180:181], v[6:7], v[34:35]
	v_mul_f64_e32 v[182:183], v[4:5], v[34:35]
	;; [unrolled: 1-line block ×6, first 2 shown]
	s_wait_dscnt 0x14
	v_mul_f64_e32 v[188:189], v[38:39], v[42:43]
	v_mul_f64_e32 v[190:191], v[36:37], v[42:43]
	s_wait_dscnt 0x13
	v_mul_f64_e32 v[192:193], v[38:39], v[46:47]
	v_mul_f64_e32 v[194:195], v[36:37], v[46:47]
	v_fma_f64 v[164:165], v[12:13], v[0:1], -v[164:165]
	v_fmac_f64_e32 v[166:167], v[14:15], v[0:1]
	v_fma_f64 v[12:13], v[12:13], v[8:9], -v[168:169]
	v_fmac_f64_e32 v[170:171], v[14:15], v[8:9]
	v_fma_f64 v[168:169], v[16:17], v[0:1], -v[172:173]
	v_fmac_f64_e32 v[2:3], v[18:19], v[0:1]
	v_fma_f64 v[16:17], v[16:17], v[8:9], -v[174:175]
	v_fmac_f64_e32 v[10:11], v[18:19], v[8:9]
	s_wait_dscnt 0x12
	v_mul_f64_e32 v[14:15], v[50:51], v[42:43]
	v_mul_f64_e32 v[42:43], v[48:49], v[42:43]
	;; [unrolled: 1-line block ×4, first 2 shown]
	v_fma_f64 v[176:177], v[4:5], v[24:25], -v[176:177]
	v_fmac_f64_e32 v[178:179], v[6:7], v[24:25]
	v_fma_f64 v[4:5], v[4:5], v[32:33], -v[180:181]
	v_fmac_f64_e32 v[182:183], v[6:7], v[32:33]
	;; [unrolled: 2-line block ×4, first 2 shown]
	s_wait_dscnt 0x10
	v_mul_f64_e32 v[8:9], v[30:31], v[98:99]
	v_mul_f64_e32 v[18:19], v[28:29], v[98:99]
	s_wait_dscnt 0xf
	v_mul_f64_e32 v[172:173], v[30:31], v[102:103]
	v_mul_f64_e32 v[174:175], v[28:29], v[102:103]
	;; [unrolled: 1-line block ×6, first 2 shown]
	v_fmac_f64_e32 v[190:191], v[38:39], v[40:41]
	v_fmac_f64_e32 v[194:195], v[38:39], v[44:45]
	v_add_f64_e32 v[22:23], v[84:85], v[164:165]
	v_add_f64_e32 v[32:33], v[166:167], v[90:91]
	;; [unrolled: 1-line block ×8, first 2 shown]
	s_wait_dscnt 0xc
	v_mul_f64_e32 v[70:71], v[114:115], v[106:107]
	v_mul_f64_e32 v[72:73], v[112:113], v[106:107]
	s_wait_dscnt 0xa
	v_mul_f64_e32 v[84:85], v[122:123], v[106:107]
	v_mul_f64_e32 v[90:91], v[120:121], v[106:107]
	v_fma_f64 v[106:107], v[36:37], v[40:41], -v[188:189]
	v_fma_f64 v[36:37], v[36:37], v[44:45], -v[192:193]
	;; [unrolled: 1-line block ×3, first 2 shown]
	v_fmac_f64_e32 v[42:43], v[50:51], v[40:41]
	v_fma_f64 v[0:1], v[48:49], v[44:45], -v[0:1]
	v_fmac_f64_e32 v[46:47], v[50:51], v[44:45]
	v_mul_f64_e32 v[78:79], v[114:115], v[110:111]
	v_mul_f64_e32 v[82:83], v[112:113], v[110:111]
	v_fma_f64 v[8:9], v[28:29], v[96:97], -v[8:9]
	v_fmac_f64_e32 v[18:19], v[30:31], v[96:97]
	v_fma_f64 v[28:29], v[28:29], v[100:101], -v[172:173]
	v_fmac_f64_e32 v[174:175], v[30:31], v[100:101]
	;; [unrolled: 2-line block ×4, first 2 shown]
	s_wait_dscnt 0x8
	v_mul_f64_e32 v[40:41], v[116:117], v[130:131]
	s_wait_dscnt 0x7
	v_mul_f64_e32 v[44:45], v[118:119], v[134:135]
	v_mul_f64_e32 v[48:49], v[116:117], v[134:135]
	v_add_f64_e32 v[22:23], v[22:23], v[176:177]
	v_add_f64_e32 v[32:33], v[178:179], v[32:33]
	;; [unrolled: 1-line block ×8, first 2 shown]
	v_mul_f64_e32 v[20:21], v[122:123], v[110:111]
	v_mul_f64_e32 v[26:27], v[120:121], v[110:111]
	v_mul_f64_e32 v[34:35], v[118:119], v[130:131]
	v_fma_f64 v[50:51], v[112:113], v[104:105], -v[70:71]
	v_fmac_f64_e32 v[72:73], v[114:115], v[104:105]
	v_fma_f64 v[54:55], v[120:121], v[104:105], -v[84:85]
	v_fmac_f64_e32 v[90:91], v[122:123], v[104:105]
	s_wait_dscnt 0x1
	v_mul_f64_e32 v[70:71], v[156:157], v[142:143]
	s_wait_dscnt 0x0
	v_mul_f64_e32 v[76:77], v[162:163], v[154:155]
	v_fma_f64 v[52:53], v[112:113], v[108:109], -v[78:79]
	v_fmac_f64_e32 v[82:83], v[114:115], v[108:109]
	v_mul_f64_e32 v[78:79], v[160:161], v[154:155]
	v_fmac_f64_e32 v[40:41], v[118:119], v[128:129]
	v_fma_f64 v[44:45], v[116:117], v[132:133], -v[44:45]
	v_fmac_f64_e32 v[48:49], v[118:119], v[132:133]
	v_add_f64_e32 v[22:23], v[22:23], v[106:107]
	v_add_f64_e32 v[30:31], v[190:191], v[32:33]
	;; [unrolled: 1-line block ×8, first 2 shown]
	v_mul_f64_e32 v[16:17], v[126:127], v[130:131]
	v_mul_f64_e32 v[32:33], v[124:125], v[130:131]
	;; [unrolled: 1-line block ×4, first 2 shown]
	v_fma_f64 v[20:21], v[120:121], v[108:109], -v[20:21]
	v_fmac_f64_e32 v[26:27], v[122:123], v[108:109]
	v_mul_f64_e32 v[42:43], v[146:147], v[138:139]
	v_mul_f64_e32 v[46:47], v[144:145], v[138:139]
	v_fma_f64 v[34:35], v[116:117], v[128:129], -v[34:35]
	v_fmac_f64_e32 v[70:71], v[158:159], v[140:141]
	v_fmac_f64_e32 v[78:79], v[162:163], v[152:153]
	v_add_f64_e32 v[8:9], v[22:23], v[8:9]
	v_add_f64_e32 v[18:19], v[18:19], v[30:31]
	;; [unrolled: 1-line block ×8, first 2 shown]
	v_mul_f64_e32 v[14:15], v[146:147], v[142:143]
	v_mul_f64_e32 v[22:23], v[144:145], v[142:143]
	;; [unrolled: 1-line block ×5, first 2 shown]
	v_fma_f64 v[16:17], v[124:125], v[128:129], -v[16:17]
	v_fmac_f64_e32 v[32:33], v[126:127], v[128:129]
	v_fma_f64 v[36:37], v[124:125], v[132:133], -v[36:37]
	v_fmac_f64_e32 v[38:39], v[126:127], v[132:133]
	;; [unrolled: 2-line block ×3, first 2 shown]
	v_add_f64_e32 v[8:9], v[8:9], v[50:51]
	v_add_f64_e32 v[18:19], v[72:73], v[18:19]
	;; [unrolled: 1-line block ×8, first 2 shown]
	ds_load_b128 v[0:3], v92 offset:3840
	v_mul_f64_e32 v[26:27], v[150:151], v[154:155]
	v_mul_f64_e32 v[52:53], v[148:149], v[154:155]
	v_fma_f64 v[14:15], v[144:145], v[140:141], -v[14:15]
	v_fmac_f64_e32 v[22:23], v[146:147], v[140:141]
	v_fma_f64 v[24:25], v[156:157], v[136:137], -v[24:25]
	v_fmac_f64_e32 v[28:29], v[158:159], v[136:137]
	v_fma_f64 v[30:31], v[156:157], v[140:141], -v[30:31]
	s_wait_dscnt 0x0
	s_barrier_signal -1
	s_barrier_wait -1
	v_mul_f64_e32 v[54:55], v[150:151], v[2:3]
	v_mul_f64_e32 v[72:73], v[148:149], v[2:3]
	;; [unrolled: 1-line block ×4, first 2 shown]
	v_add_f64_e32 v[8:9], v[8:9], v[34:35]
	v_add_f64_e32 v[18:19], v[40:41], v[18:19]
	;; [unrolled: 1-line block ×8, first 2 shown]
	v_fma_f64 v[34:35], v[160:161], v[152:153], -v[76:77]
	v_fma_f64 v[26:27], v[148:149], v[152:153], -v[26:27]
	v_fmac_f64_e32 v[52:53], v[150:151], v[152:153]
	v_fma_f64 v[32:33], v[148:149], v[0:1], -v[54:55]
	v_fmac_f64_e32 v[72:73], v[150:151], v[0:1]
	;; [unrolled: 2-line block ×3, first 2 shown]
	v_add_f64_e32 v[0:1], v[8:9], v[42:43]
	v_add_f64_e32 v[8:9], v[46:47], v[18:19]
	;; [unrolled: 1-line block ×16, first 2 shown]
	s_cbranch_vccnz .LBB266_5
; %bb.6:                                ;   in Loop: Header=BB266_3 Depth=1
	v_add_nc_u64_e32 v[0:1], s[20:21], v[74:75]
	s_and_not1_b32 vcc_lo, exec_lo, s1
	s_mov_b32 s24, -1
                                        ; implicit-def: $vgpr2_vgpr3
                                        ; implicit-def: $vgpr4_vgpr5
	s_cbranch_vccnz .LBB266_9
.LBB266_7:                              ;   in Loop: Header=BB266_3 Depth=1
	v_mul_f64_e32 v[4:5], s[8:9], v[90:91]
	v_mul_f64_e32 v[8:9], s[6:7], v[90:91]
	s_delay_alu instid0(VALU_DEP_4)
	v_mul_f64_e32 v[2:3], s[6:7], v[72:73]
	v_mul_f64_e32 v[10:11], s[8:9], v[82:83]
	;; [unrolled: 1-line block ×6, first 2 shown]
	v_lshlrev_b64_e32 v[20:21], 4, v[62:63]
	v_fma_f64 v[6:7], s[6:7], v[84:85], -v[4:5]
	v_fmac_f64_e32 v[8:9], s[8:9], v[84:85]
	v_fmac_f64_e32 v[2:3], s[8:9], v[70:71]
	v_fma_f64 v[10:11], s[6:7], v[80:81], -v[10:11]
	v_fmac_f64_e32 v[12:13], s[8:9], v[80:81]
	v_fma_f64 v[14:15], s[6:7], v[76:77], -v[14:15]
	;; [unrolled: 2-line block ×3, first 2 shown]
	v_lshl_add_u64 v[4:5], v[58:59], 4, v[0:1]
	s_delay_alu instid0(VALU_DEP_1) | instskip(NEXT) | instid1(VALU_DEP_1)
	v_lshl_add_u64 v[22:23], s[12:13], 4, v[4:5]
	v_add_nc_u64_e32 v[22:23], v[22:23], v[20:21]
	v_add_nc_u64_e32 v[20:21], v[4:5], v[20:21]
	s_clause 0x3
	flat_store_b128 v[20:21], v[6:9]
	flat_store_b128 v[20:21], v[10:13] offset:256
	flat_store_b128 v[22:23], v[14:17]
	flat_store_b64 v[22:23], v[18:19] offset:256
	v_add_nc_u64_e32 v[4:5], 0x100, v[22:23]
	s_cbranch_execnz .LBB266_2
	s_branch .LBB266_10
.LBB266_8:                              ;   in Loop: Header=BB266_3 Depth=1
	v_mov_b64_e32 v[84:85], 0
	v_mov_b64_e32 v[90:91], 0
	v_mov_b64_e32 v[80:81], 0
	v_mov_b64_e32 v[82:83], 0
	v_mov_b64_e32 v[76:77], 0
	v_mov_b64_e32 v[78:79], 0
	v_mov_b64_e32 v[70:71], 0
	v_mov_b64_e32 v[72:73], 0
	s_wait_loadcnt 0x0
	s_wait_xcnt 0x0
	v_add_nc_u64_e32 v[0:1], s[20:21], v[74:75]
	s_and_not1_b32 vcc_lo, exec_lo, s1
	s_mov_b32 s24, -1
                                        ; implicit-def: $vgpr2_vgpr3
                                        ; implicit-def: $vgpr4_vgpr5
	s_cbranch_vccz .LBB266_7
.LBB266_9:                              ;   in Loop: Header=BB266_3 Depth=1
	s_and_not1_b32 vcc_lo, exec_lo, s24
	s_cbranch_vccnz .LBB266_2
.LBB266_10:                             ;   in Loop: Header=BB266_3 Depth=1
	v_add_nc_u64_e32 v[2:3], s[22:23], v[68:69]
	s_wait_xcnt 0x3
	v_lshlrev_b64_e32 v[6:7], 4, v[62:63]
	s_wait_xcnt 0x2
	v_mul_f64_e32 v[12:13], s[8:9], v[90:91]
	s_wait_xcnt 0x1
	v_mul_f64_e32 v[14:15], s[6:7], v[90:91]
	v_lshl_add_u64 v[8:9], v[60:61], 4, v[2:3]
	s_delay_alu instid0(VALU_DEP_1)
	v_add_nc_u64_e32 v[10:11], v[8:9], v[6:7]
	flat_load_b128 v[2:5], v[10:11]
	v_fma_f64 v[12:13], s[6:7], v[84:85], -v[12:13]
	v_fmac_f64_e32 v[14:15], s[8:9], v[84:85]
	s_wait_loadcnt_dscnt 0x0
	v_mul_f64_e32 v[16:17], s[40:41], v[4:5]
	v_mul_f64_e32 v[4:5], s[38:39], v[4:5]
	s_delay_alu instid0(VALU_DEP_2) | instskip(NEXT) | instid1(VALU_DEP_2)
	v_fma_f64 v[16:17], s[38:39], v[2:3], -v[16:17]
	v_fmac_f64_e32 v[4:5], s[40:41], v[2:3]
	s_delay_alu instid0(VALU_DEP_2) | instskip(NEXT) | instid1(VALU_DEP_2)
	v_add_f64_e32 v[2:3], v[12:13], v[16:17]
	v_add_f64_e32 v[4:5], v[14:15], v[4:5]
	v_lshl_add_u64 v[12:13], v[58:59], 4, v[0:1]
	s_delay_alu instid0(VALU_DEP_1)
	v_add_nc_u64_e32 v[14:15], v[12:13], v[6:7]
	flat_store_b128 v[14:15], v[2:5]
	flat_load_b128 v[0:3], v[10:11] offset:256
	v_mul_f64_e32 v[4:5], s[8:9], v[82:83]
	s_wait_xcnt 0x0
	v_mul_f64_e32 v[10:11], s[6:7], v[82:83]
	s_delay_alu instid0(VALU_DEP_2) | instskip(NEXT) | instid1(VALU_DEP_2)
	v_fma_f64 v[4:5], s[6:7], v[80:81], -v[4:5]
	v_fmac_f64_e32 v[10:11], s[8:9], v[80:81]
	s_wait_loadcnt_dscnt 0x0
	v_mul_f64_e32 v[16:17], s[40:41], v[2:3]
	v_mul_f64_e32 v[2:3], s[38:39], v[2:3]
	s_delay_alu instid0(VALU_DEP_2) | instskip(NEXT) | instid1(VALU_DEP_2)
	v_fma_f64 v[16:17], s[38:39], v[0:1], -v[16:17]
	v_fmac_f64_e32 v[2:3], s[40:41], v[0:1]
	s_delay_alu instid0(VALU_DEP_2) | instskip(NEXT) | instid1(VALU_DEP_2)
	v_add_f64_e32 v[0:1], v[4:5], v[16:17]
	v_add_f64_e32 v[2:3], v[10:11], v[2:3]
	v_lshl_add_u64 v[4:5], s[14:15], 4, v[8:9]
	v_mul_f64_e32 v[8:9], s[8:9], v[78:79]
	v_mul_f64_e32 v[10:11], s[6:7], v[78:79]
	s_delay_alu instid0(VALU_DEP_3)
	v_add_nc_u64_e32 v[4:5], v[4:5], v[6:7]
	flat_store_b128 v[14:15], v[0:3] offset:256
	flat_load_b128 v[0:3], v[4:5]
	v_fma_f64 v[8:9], s[6:7], v[76:77], -v[8:9]
	v_fmac_f64_e32 v[10:11], s[8:9], v[76:77]
	s_wait_loadcnt_dscnt 0x0
	v_mul_f64_e32 v[14:15], s[40:41], v[2:3]
	v_mul_f64_e32 v[2:3], s[38:39], v[2:3]
	s_delay_alu instid0(VALU_DEP_2) | instskip(NEXT) | instid1(VALU_DEP_2)
	v_fma_f64 v[14:15], s[38:39], v[0:1], -v[14:15]
	v_fmac_f64_e32 v[2:3], s[40:41], v[0:1]
	s_delay_alu instid0(VALU_DEP_2) | instskip(NEXT) | instid1(VALU_DEP_2)
	v_add_f64_e32 v[0:1], v[8:9], v[14:15]
	v_add_f64_e32 v[2:3], v[10:11], v[2:3]
	v_lshl_add_u64 v[8:9], s[12:13], 4, v[12:13]
	s_delay_alu instid0(VALU_DEP_1)
	v_add_nc_u64_e32 v[6:7], v[8:9], v[6:7]
	v_mul_f64_e32 v[8:9], s[6:7], v[72:73]
	flat_store_b128 v[6:7], v[0:3]
	flat_load_b128 v[0:3], v[4:5] offset:256
	s_wait_xcnt 0x0
	v_mul_f64_e32 v[4:5], s[8:9], v[72:73]
	v_fmac_f64_e32 v[8:9], s[8:9], v[70:71]
	s_delay_alu instid0(VALU_DEP_2) | instskip(SKIP_3) | instid1(VALU_DEP_2)
	v_fma_f64 v[4:5], s[6:7], v[70:71], -v[4:5]
	s_wait_loadcnt_dscnt 0x0
	v_mul_f64_e32 v[10:11], s[40:41], v[2:3]
	v_mul_f64_e32 v[2:3], s[38:39], v[2:3]
	v_fma_f64 v[10:11], s[38:39], v[0:1], -v[10:11]
	s_delay_alu instid0(VALU_DEP_2) | instskip(NEXT) | instid1(VALU_DEP_2)
	v_fmac_f64_e32 v[2:3], s[40:41], v[0:1]
	v_add_f64_e32 v[0:1], v[4:5], v[10:11]
	s_delay_alu instid0(VALU_DEP_2)
	v_add_f64_e32 v[2:3], v[8:9], v[2:3]
	v_add_nc_u64_e32 v[4:5], 0x100, v[6:7]
	flat_store_b64 v[6:7], v[0:1] offset:256
	s_branch .LBB266_2
.LBB266_11:
	s_sendmsg sendmsg(MSG_DEALLOC_VGPRS)
	s_endpgm
	.section	.rodata,"a",@progbits
	.p2align	6, 0x0
	.amdhsa_kernel _ZN12_GLOBAL__N_127rocblas_gemm_batched_kernelI19rocblas_complex_numIdELi16ELi16ELi32ELi32ELi8ELi32ELi8ELi8ELi32ELc67ELc84EKPKS2_S5_KPS2_EEvlllT_PT11_llSA_llS8_PT12_llPT13_lli
		.amdhsa_group_segment_fixed_size 8192
		.amdhsa_private_segment_fixed_size 0
		.amdhsa_kernarg_size 156
		.amdhsa_user_sgpr_count 2
		.amdhsa_user_sgpr_dispatch_ptr 0
		.amdhsa_user_sgpr_queue_ptr 0
		.amdhsa_user_sgpr_kernarg_segment_ptr 1
		.amdhsa_user_sgpr_dispatch_id 0
		.amdhsa_user_sgpr_kernarg_preload_length 0
		.amdhsa_user_sgpr_kernarg_preload_offset 0
		.amdhsa_user_sgpr_private_segment_size 0
		.amdhsa_wavefront_size32 1
		.amdhsa_uses_dynamic_stack 0
		.amdhsa_enable_private_segment 0
		.amdhsa_system_sgpr_workgroup_id_x 1
		.amdhsa_system_sgpr_workgroup_id_y 1
		.amdhsa_system_sgpr_workgroup_id_z 1
		.amdhsa_system_sgpr_workgroup_info 0
		.amdhsa_system_vgpr_workitem_id 1
		.amdhsa_next_free_vgpr 196
		.amdhsa_next_free_sgpr 52
		.amdhsa_named_barrier_count 0
		.amdhsa_reserve_vcc 1
		.amdhsa_float_round_mode_32 0
		.amdhsa_float_round_mode_16_64 0
		.amdhsa_float_denorm_mode_32 3
		.amdhsa_float_denorm_mode_16_64 3
		.amdhsa_fp16_overflow 0
		.amdhsa_memory_ordered 1
		.amdhsa_forward_progress 1
		.amdhsa_inst_pref_size 22
		.amdhsa_round_robin_scheduling 0
		.amdhsa_exception_fp_ieee_invalid_op 0
		.amdhsa_exception_fp_denorm_src 0
		.amdhsa_exception_fp_ieee_div_zero 0
		.amdhsa_exception_fp_ieee_overflow 0
		.amdhsa_exception_fp_ieee_underflow 0
		.amdhsa_exception_fp_ieee_inexact 0
		.amdhsa_exception_int_div_zero 0
	.end_amdhsa_kernel
	.section	.text._ZN12_GLOBAL__N_127rocblas_gemm_batched_kernelI19rocblas_complex_numIdELi16ELi16ELi32ELi32ELi8ELi32ELi8ELi8ELi32ELc67ELc84EKPKS2_S5_KPS2_EEvlllT_PT11_llSA_llS8_PT12_llPT13_lli,"axG",@progbits,_ZN12_GLOBAL__N_127rocblas_gemm_batched_kernelI19rocblas_complex_numIdELi16ELi16ELi32ELi32ELi8ELi32ELi8ELi8ELi32ELc67ELc84EKPKS2_S5_KPS2_EEvlllT_PT11_llSA_llS8_PT12_llPT13_lli,comdat
.Lfunc_end266:
	.size	_ZN12_GLOBAL__N_127rocblas_gemm_batched_kernelI19rocblas_complex_numIdELi16ELi16ELi32ELi32ELi8ELi32ELi8ELi8ELi32ELc67ELc84EKPKS2_S5_KPS2_EEvlllT_PT11_llSA_llS8_PT12_llPT13_lli, .Lfunc_end266-_ZN12_GLOBAL__N_127rocblas_gemm_batched_kernelI19rocblas_complex_numIdELi16ELi16ELi32ELi32ELi8ELi32ELi8ELi8ELi32ELc67ELc84EKPKS2_S5_KPS2_EEvlllT_PT11_llSA_llS8_PT12_llPT13_lli
                                        ; -- End function
	.set _ZN12_GLOBAL__N_127rocblas_gemm_batched_kernelI19rocblas_complex_numIdELi16ELi16ELi32ELi32ELi8ELi32ELi8ELi8ELi32ELc67ELc84EKPKS2_S5_KPS2_EEvlllT_PT11_llSA_llS8_PT12_llPT13_lli.num_vgpr, 196
	.set _ZN12_GLOBAL__N_127rocblas_gemm_batched_kernelI19rocblas_complex_numIdELi16ELi16ELi32ELi32ELi8ELi32ELi8ELi8ELi32ELc67ELc84EKPKS2_S5_KPS2_EEvlllT_PT11_llSA_llS8_PT12_llPT13_lli.num_agpr, 0
	.set _ZN12_GLOBAL__N_127rocblas_gemm_batched_kernelI19rocblas_complex_numIdELi16ELi16ELi32ELi32ELi8ELi32ELi8ELi8ELi32ELc67ELc84EKPKS2_S5_KPS2_EEvlllT_PT11_llSA_llS8_PT12_llPT13_lli.numbered_sgpr, 52
	.set _ZN12_GLOBAL__N_127rocblas_gemm_batched_kernelI19rocblas_complex_numIdELi16ELi16ELi32ELi32ELi8ELi32ELi8ELi8ELi32ELc67ELc84EKPKS2_S5_KPS2_EEvlllT_PT11_llSA_llS8_PT12_llPT13_lli.num_named_barrier, 0
	.set _ZN12_GLOBAL__N_127rocblas_gemm_batched_kernelI19rocblas_complex_numIdELi16ELi16ELi32ELi32ELi8ELi32ELi8ELi8ELi32ELc67ELc84EKPKS2_S5_KPS2_EEvlllT_PT11_llSA_llS8_PT12_llPT13_lli.private_seg_size, 0
	.set _ZN12_GLOBAL__N_127rocblas_gemm_batched_kernelI19rocblas_complex_numIdELi16ELi16ELi32ELi32ELi8ELi32ELi8ELi8ELi32ELc67ELc84EKPKS2_S5_KPS2_EEvlllT_PT11_llSA_llS8_PT12_llPT13_lli.uses_vcc, 1
	.set _ZN12_GLOBAL__N_127rocblas_gemm_batched_kernelI19rocblas_complex_numIdELi16ELi16ELi32ELi32ELi8ELi32ELi8ELi8ELi32ELc67ELc84EKPKS2_S5_KPS2_EEvlllT_PT11_llSA_llS8_PT12_llPT13_lli.uses_flat_scratch, 1
	.set _ZN12_GLOBAL__N_127rocblas_gemm_batched_kernelI19rocblas_complex_numIdELi16ELi16ELi32ELi32ELi8ELi32ELi8ELi8ELi32ELc67ELc84EKPKS2_S5_KPS2_EEvlllT_PT11_llSA_llS8_PT12_llPT13_lli.has_dyn_sized_stack, 0
	.set _ZN12_GLOBAL__N_127rocblas_gemm_batched_kernelI19rocblas_complex_numIdELi16ELi16ELi32ELi32ELi8ELi32ELi8ELi8ELi32ELc67ELc84EKPKS2_S5_KPS2_EEvlllT_PT11_llSA_llS8_PT12_llPT13_lli.has_recursion, 0
	.set _ZN12_GLOBAL__N_127rocblas_gemm_batched_kernelI19rocblas_complex_numIdELi16ELi16ELi32ELi32ELi8ELi32ELi8ELi8ELi32ELc67ELc84EKPKS2_S5_KPS2_EEvlllT_PT11_llSA_llS8_PT12_llPT13_lli.has_indirect_call, 0
	.section	.AMDGPU.csdata,"",@progbits
; Kernel info:
; codeLenInByte = 2700
; TotalNumSgprs: 54
; NumVgprs: 196
; ScratchSize: 0
; MemoryBound: 0
; FloatMode: 240
; IeeeMode: 1
; LDSByteSize: 8192 bytes/workgroup (compile time only)
; SGPRBlocks: 0
; VGPRBlocks: 12
; NumSGPRsForWavesPerEU: 54
; NumVGPRsForWavesPerEU: 196
; NamedBarCnt: 0
; Occupancy: 4
; WaveLimiterHint : 1
; COMPUTE_PGM_RSRC2:SCRATCH_EN: 0
; COMPUTE_PGM_RSRC2:USER_SGPR: 2
; COMPUTE_PGM_RSRC2:TRAP_HANDLER: 0
; COMPUTE_PGM_RSRC2:TGID_X_EN: 1
; COMPUTE_PGM_RSRC2:TGID_Y_EN: 1
; COMPUTE_PGM_RSRC2:TGID_Z_EN: 1
; COMPUTE_PGM_RSRC2:TIDIG_COMP_CNT: 1
	.section	.text._ZN12_GLOBAL__N_127rocblas_gemm_batched_kernelI19rocblas_complex_numIdELi16ELi16ELi32ELi32ELi8ELi32ELi8ELi8ELi32ELc78ELc67EKPKS2_S5_KPS2_EEvlllT_PT11_llSA_llS8_PT12_llPT13_lli,"axG",@progbits,_ZN12_GLOBAL__N_127rocblas_gemm_batched_kernelI19rocblas_complex_numIdELi16ELi16ELi32ELi32ELi8ELi32ELi8ELi8ELi32ELc78ELc67EKPKS2_S5_KPS2_EEvlllT_PT11_llSA_llS8_PT12_llPT13_lli,comdat
	.globl	_ZN12_GLOBAL__N_127rocblas_gemm_batched_kernelI19rocblas_complex_numIdELi16ELi16ELi32ELi32ELi8ELi32ELi8ELi8ELi32ELc78ELc67EKPKS2_S5_KPS2_EEvlllT_PT11_llSA_llS8_PT12_llPT13_lli ; -- Begin function _ZN12_GLOBAL__N_127rocblas_gemm_batched_kernelI19rocblas_complex_numIdELi16ELi16ELi32ELi32ELi8ELi32ELi8ELi8ELi32ELc78ELc67EKPKS2_S5_KPS2_EEvlllT_PT11_llSA_llS8_PT12_llPT13_lli
	.p2align	8
	.type	_ZN12_GLOBAL__N_127rocblas_gemm_batched_kernelI19rocblas_complex_numIdELi16ELi16ELi32ELi32ELi8ELi32ELi8ELi8ELi32ELc78ELc67EKPKS2_S5_KPS2_EEvlllT_PT11_llSA_llS8_PT12_llPT13_lli,@function
_ZN12_GLOBAL__N_127rocblas_gemm_batched_kernelI19rocblas_complex_numIdELi16ELi16ELi32ELi32ELi8ELi32ELi8ELi8ELi32ELc78ELc67EKPKS2_S5_KPS2_EEvlllT_PT11_llSA_llS8_PT12_llPT13_lli: ; @_ZN12_GLOBAL__N_127rocblas_gemm_batched_kernelI19rocblas_complex_numIdELi16ELi16ELi32ELi32ELi8ELi32ELi8ELi8ELi32ELc78ELc67EKPKS2_S5_KPS2_EEvlllT_PT11_llSA_llS8_PT12_llPT13_lli
; %bb.0:
	s_load_b32 s28, s[0:1], 0x98
	s_bfe_u32 s2, ttmp6, 0x40014
	s_lshr_b32 s3, ttmp7, 16
	s_add_co_i32 s2, s2, 1
	s_bfe_u32 s4, ttmp6, 0x40008
	s_mul_i32 s2, s3, s2
	s_getreg_b32 s20, hwreg(HW_REG_IB_STS2, 6, 4)
	s_add_co_i32 s4, s4, s2
	s_cmp_eq_u32 s20, 0
	s_cselect_b32 s2, s3, s4
	s_mov_b32 s3, 0
	s_wait_kmcnt 0x0
	s_cmp_ge_i32 s2, s28
	s_cbranch_scc1 .LBB267_11
; %bb.1:
	v_bfe_u32 v56, v0, 10, 10
	v_and_b32_e32 v2, 0x3ff, v0
	s_clause 0x1
	s_load_b512 s[4:19], s[0:1], 0x10
	s_load_b512 s[36:51], s[0:1], 0x50
	s_bfe_u32 s21, ttmp6, 0x4000c
	s_bfe_u32 s23, ttmp6, 0x40010
	s_add_co_i32 s21, s21, 1
	s_and_b32 s24, ttmp7, 0xffff
	s_add_co_i32 s23, s23, 1
	v_lshl_add_u32 v3, v56, 4, v2
	v_mov_b32_e32 v57, 0
	s_and_b32 s22, ttmp6, 15
	s_mul_i32 s21, ttmp9, s21
	s_mul_i32 s23, s24, s23
	s_bfe_u32 s25, ttmp6, 0x40004
	s_add_co_i32 s22, s22, s21
	s_add_co_i32 s25, s25, s23
	s_cmp_eq_u32 s20, 0
	v_dual_lshrrev_b32 v10, 5, v3 :: v_dual_lshrrev_b32 v4, 3, v3
	v_mov_b32_e32 v5, v57
	s_cselect_b32 s20, ttmp9, s22
	s_cselect_b32 s22, s24, s25
	s_mov_b32 s23, s3
	s_lshl_b32 s22, s22, 5
	s_ashr_i32 s21, s20, 31
	v_add_nc_u64_e32 v[6:7], s[22:23], v[4:5]
	v_add_nc_u64_e32 v[8:9], s[22:23], v[56:57]
	v_and_b32_e32 v5, 7, v0
	s_lshl_b64 s[20:21], s[20:21], 5
	s_wait_kmcnt 0x0
	v_cmp_eq_f64_e64 s26, s[38:39], 0
	v_mad_nc_u64_u32 v[0:1], s12, v10, s[20:21]
	v_cmp_eq_f64_e64 s27, s[40:41], 0
	s_load_b64 s[24:25], s[0:1], 0x90
	v_mul_u64_e32 v[58:59], s[50:51], v[8:9]
	v_mul_u64_e32 v[60:61], s[44:45], v[8:9]
	v_mov_b32_e32 v9, v57
	v_mad_nc_u64_u32 v[6:7], s18, v5, v[6:7]
	v_and_b32_e32 v8, 31, v3
	s_wait_xcnt 0x0
	v_cmp_gt_i64_e64 s0, s[4:5], 0
	v_lshl_add_u32 v56, v56, 7, 0x1000
	s_lshl_b64 s[22:23], s[44:45], 4
	v_mad_u32 v1, s13, v10, v1
	s_lshl_b64 s[12:13], s[12:13], 7
	v_mad_u32 v7, s19, v5, v7
	v_dual_lshlrev_b32 v5, 4, v5 :: v_dual_mov_b32 v3, v57
	v_lshlrev_b32_e32 v11, 4, v8
	s_delay_alu instid0(VALU_DEP_4) | instskip(NEXT) | instid1(VALU_DEP_3)
	v_add_nc_u64_e32 v[0:1], v[0:1], v[8:9]
	v_lshl_or_b32 v8, v4, 7, v5
	s_delay_alu instid0(VALU_DEP_4) | instskip(NEXT) | instid1(VALU_DEP_4)
	v_add_nc_u64_e32 v[62:63], s[20:21], v[2:3]
	v_lshl_or_b32 v93, v10, 9, v11
	s_lshl_b64 s[20:21], s[50:51], 4
	v_lshlrev_b64_e32 v[4:5], 4, v[6:7]
	v_lshlrev_b64_e32 v[0:1], 4, v[0:1]
	v_add_nc_u32_e32 v94, 0x1000, v8
	s_and_b32 s1, s26, s27
	s_delay_alu instid0(VALU_DEP_3)
	v_lshl_add_u64 v[64:65], s[36:37], 4, v[4:5]
	v_lshlrev_b32_e32 v92, 4, v2
	v_cndmask_b32_e64 v2, 0, 1, s0
	v_lshl_add_u64 v[66:67], s[14:15], 4, v[0:1]
	s_lshl_b64 s[14:15], s[18:19], 7
	v_or_b32_e32 v64, 8, v64
	s_wait_kmcnt 0x0
	s_lshl_b64 s[18:19], s[24:25], 4
	v_cmp_ne_u32_e64 s0, 1, v2
	s_lshl_b64 s[24:25], s[46:47], 4
	s_branch .LBB267_3
.LBB267_2:                              ;   in Loop: Header=BB267_3 Depth=1
	s_add_co_i32 s2, s2, 0x10000
	flat_store_b64 v[4:5], v[2:3] offset:8
	s_cmp_lt_i32 s2, s28
	s_cbranch_scc0 .LBB267_11
.LBB267_3:                              ; =>This Loop Header: Depth=1
                                        ;     Child Loop BB267_5 Depth 2
	s_wait_xcnt 0x1
	v_mov_b32_e32 v0, s2
	s_and_b32 vcc_lo, exec_lo, s0
	s_clause 0x1
	global_load_b64 v[68:69], v0, s[42:43] scale_offset
	global_load_b64 v[74:75], v0, s[48:49] scale_offset
	s_cbranch_vccnz .LBB267_8
; %bb.4:                                ;   in Loop: Header=BB267_3 Depth=1
	s_lshl_b64 s[26:27], s[2:3], 3
	v_mov_b64_e32 v[72:73], 0
	s_add_nc_u64 s[30:31], s[10:11], s[26:27]
	s_add_nc_u64 s[26:27], s[16:17], s[26:27]
	s_clause 0x1
	global_load_b64 v[0:1], v57, s[30:31]
	global_load_b64 v[2:3], v57, s[26:27]
	v_mov_b64_e32 v[70:71], 0
	v_mov_b64_e32 v[78:79], 0
	;; [unrolled: 1-line block ×7, first 2 shown]
	s_wait_xcnt 0x0
	s_mov_b64 s[26:27], 0
	s_wait_loadcnt 0x1
	v_add_nc_u64_e32 v[86:87], v[0:1], v[66:67]
	s_wait_loadcnt 0x0
	v_add_nc_u64_e32 v[88:89], v[2:3], v[64:65]
.LBB267_5:                              ;   Parent Loop BB267_3 Depth=1
                                        ; =>  This Inner Loop Header: Depth=2
	flat_load_b128 v[0:3], v[86:87]
	s_add_nc_u64 s[26:27], s[26:27], 8
	s_wait_xcnt 0x0
	v_add_nc_u64_e32 v[86:87], s[12:13], v[86:87]
	v_cmp_lt_i64_e64 s29, s[26:27], s[4:5]
	s_and_b32 vcc_lo, exec_lo, s29
	s_wait_loadcnt_dscnt 0x0
	ds_store_2addr_b64 v93, v[0:1], v[2:3] offset1:1
	flat_load_b128 v[0:3], v[88:89] offset:-8
	s_wait_xcnt 0x0
	v_add_nc_u64_e32 v[88:89], s[14:15], v[88:89]
	s_wait_loadcnt_dscnt 0x0
	v_xor_b32_e32 v3, 0x80000000, v3
	ds_store_b128 v94, v[0:3]
	s_wait_dscnt 0x0
	s_barrier_signal -1
	s_barrier_wait -1
	ds_load_b128 v[0:3], v92
	ds_load_b128 v[8:11], v92 offset:256
	ds_load_b128 v[12:15], v56
	ds_load_b128 v[4:7], v56 offset:16
	ds_load_b128 v[16:19], v56 offset:2048
	;; [unrolled: 1-line block ×28, first 2 shown]
	s_wait_dscnt 0x1c
	v_mul_f64_e32 v[164:165], v[14:15], v[2:3]
	v_mul_f64_e32 v[166:167], v[12:13], v[2:3]
	;; [unrolled: 1-line block ×4, first 2 shown]
	s_wait_dscnt 0x1a
	v_mul_f64_e32 v[172:173], v[18:19], v[2:3]
	v_mul_f64_e32 v[2:3], v[16:17], v[2:3]
	;; [unrolled: 1-line block ×4, first 2 shown]
	s_wait_dscnt 0x18
	v_mul_f64_e32 v[176:177], v[6:7], v[26:27]
	v_mul_f64_e32 v[178:179], v[4:5], v[26:27]
	s_wait_dscnt 0x17
	v_mul_f64_e32 v[180:181], v[6:7], v[34:35]
	v_mul_f64_e32 v[182:183], v[4:5], v[34:35]
	;; [unrolled: 1-line block ×6, first 2 shown]
	s_wait_dscnt 0x14
	v_mul_f64_e32 v[188:189], v[38:39], v[42:43]
	v_mul_f64_e32 v[190:191], v[36:37], v[42:43]
	s_wait_dscnt 0x13
	v_mul_f64_e32 v[192:193], v[38:39], v[46:47]
	v_mul_f64_e32 v[194:195], v[36:37], v[46:47]
	v_fma_f64 v[164:165], v[12:13], v[0:1], -v[164:165]
	v_fmac_f64_e32 v[166:167], v[14:15], v[0:1]
	v_fma_f64 v[12:13], v[12:13], v[8:9], -v[168:169]
	v_fmac_f64_e32 v[170:171], v[14:15], v[8:9]
	;; [unrolled: 2-line block ×4, first 2 shown]
	s_wait_dscnt 0x12
	v_mul_f64_e32 v[14:15], v[50:51], v[42:43]
	v_mul_f64_e32 v[42:43], v[48:49], v[42:43]
	;; [unrolled: 1-line block ×4, first 2 shown]
	v_fma_f64 v[176:177], v[4:5], v[24:25], -v[176:177]
	v_fmac_f64_e32 v[178:179], v[6:7], v[24:25]
	v_fma_f64 v[4:5], v[4:5], v[32:33], -v[180:181]
	v_fmac_f64_e32 v[182:183], v[6:7], v[32:33]
	;; [unrolled: 2-line block ×4, first 2 shown]
	s_wait_dscnt 0x10
	v_mul_f64_e32 v[8:9], v[30:31], v[98:99]
	v_mul_f64_e32 v[18:19], v[28:29], v[98:99]
	s_wait_dscnt 0xf
	v_mul_f64_e32 v[172:173], v[30:31], v[102:103]
	v_mul_f64_e32 v[174:175], v[28:29], v[102:103]
	;; [unrolled: 1-line block ×6, first 2 shown]
	v_fmac_f64_e32 v[190:191], v[38:39], v[40:41]
	v_fmac_f64_e32 v[194:195], v[38:39], v[44:45]
	v_add_f64_e32 v[22:23], v[84:85], v[164:165]
	v_add_f64_e32 v[32:33], v[166:167], v[90:91]
	v_add_f64_e32 v[12:13], v[80:81], v[12:13]
	v_add_f64_e32 v[80:81], v[170:171], v[82:83]
	v_add_f64_e32 v[76:77], v[76:77], v[168:169]
	v_add_f64_e32 v[2:3], v[2:3], v[78:79]
	v_add_f64_e32 v[16:17], v[70:71], v[16:17]
	v_add_f64_e32 v[10:11], v[10:11], v[72:73]
	s_wait_dscnt 0xc
	v_mul_f64_e32 v[70:71], v[114:115], v[106:107]
	v_mul_f64_e32 v[72:73], v[112:113], v[106:107]
	s_wait_dscnt 0xa
	v_mul_f64_e32 v[84:85], v[122:123], v[106:107]
	v_mul_f64_e32 v[90:91], v[120:121], v[106:107]
	v_fma_f64 v[106:107], v[36:37], v[40:41], -v[188:189]
	v_fma_f64 v[36:37], v[36:37], v[44:45], -v[192:193]
	;; [unrolled: 1-line block ×3, first 2 shown]
	v_fmac_f64_e32 v[42:43], v[50:51], v[40:41]
	v_fma_f64 v[0:1], v[48:49], v[44:45], -v[0:1]
	v_fmac_f64_e32 v[46:47], v[50:51], v[44:45]
	v_mul_f64_e32 v[78:79], v[114:115], v[110:111]
	v_mul_f64_e32 v[82:83], v[112:113], v[110:111]
	v_fma_f64 v[8:9], v[28:29], v[96:97], -v[8:9]
	v_fmac_f64_e32 v[18:19], v[30:31], v[96:97]
	v_fma_f64 v[28:29], v[28:29], v[100:101], -v[172:173]
	v_fmac_f64_e32 v[174:175], v[30:31], v[100:101]
	;; [unrolled: 2-line block ×4, first 2 shown]
	s_wait_dscnt 0x8
	v_mul_f64_e32 v[40:41], v[116:117], v[130:131]
	s_wait_dscnt 0x7
	v_mul_f64_e32 v[44:45], v[118:119], v[134:135]
	v_mul_f64_e32 v[48:49], v[116:117], v[134:135]
	v_add_f64_e32 v[22:23], v[22:23], v[176:177]
	v_add_f64_e32 v[32:33], v[178:179], v[32:33]
	;; [unrolled: 1-line block ×8, first 2 shown]
	v_mul_f64_e32 v[20:21], v[122:123], v[110:111]
	v_mul_f64_e32 v[26:27], v[120:121], v[110:111]
	;; [unrolled: 1-line block ×3, first 2 shown]
	v_fma_f64 v[50:51], v[112:113], v[104:105], -v[70:71]
	v_fmac_f64_e32 v[72:73], v[114:115], v[104:105]
	v_fma_f64 v[54:55], v[120:121], v[104:105], -v[84:85]
	v_fmac_f64_e32 v[90:91], v[122:123], v[104:105]
	s_wait_dscnt 0x1
	v_mul_f64_e32 v[70:71], v[156:157], v[142:143]
	s_wait_dscnt 0x0
	v_mul_f64_e32 v[76:77], v[162:163], v[154:155]
	v_fma_f64 v[52:53], v[112:113], v[108:109], -v[78:79]
	v_fmac_f64_e32 v[82:83], v[114:115], v[108:109]
	v_mul_f64_e32 v[78:79], v[160:161], v[154:155]
	v_fmac_f64_e32 v[40:41], v[118:119], v[128:129]
	v_fma_f64 v[44:45], v[116:117], v[132:133], -v[44:45]
	v_fmac_f64_e32 v[48:49], v[118:119], v[132:133]
	v_add_f64_e32 v[22:23], v[22:23], v[106:107]
	v_add_f64_e32 v[30:31], v[190:191], v[32:33]
	;; [unrolled: 1-line block ×8, first 2 shown]
	v_mul_f64_e32 v[16:17], v[126:127], v[130:131]
	v_mul_f64_e32 v[32:33], v[124:125], v[130:131]
	;; [unrolled: 1-line block ×4, first 2 shown]
	v_fma_f64 v[20:21], v[120:121], v[108:109], -v[20:21]
	v_fmac_f64_e32 v[26:27], v[122:123], v[108:109]
	v_mul_f64_e32 v[42:43], v[146:147], v[138:139]
	v_mul_f64_e32 v[46:47], v[144:145], v[138:139]
	v_fma_f64 v[34:35], v[116:117], v[128:129], -v[34:35]
	v_fmac_f64_e32 v[70:71], v[158:159], v[140:141]
	v_fmac_f64_e32 v[78:79], v[162:163], v[152:153]
	v_add_f64_e32 v[8:9], v[22:23], v[8:9]
	v_add_f64_e32 v[18:19], v[18:19], v[30:31]
	;; [unrolled: 1-line block ×8, first 2 shown]
	v_mul_f64_e32 v[14:15], v[146:147], v[142:143]
	v_mul_f64_e32 v[22:23], v[144:145], v[142:143]
	;; [unrolled: 1-line block ×5, first 2 shown]
	v_fma_f64 v[16:17], v[124:125], v[128:129], -v[16:17]
	v_fmac_f64_e32 v[32:33], v[126:127], v[128:129]
	v_fma_f64 v[36:37], v[124:125], v[132:133], -v[36:37]
	v_fmac_f64_e32 v[38:39], v[126:127], v[132:133]
	;; [unrolled: 2-line block ×3, first 2 shown]
	v_add_f64_e32 v[8:9], v[8:9], v[50:51]
	v_add_f64_e32 v[18:19], v[72:73], v[18:19]
	;; [unrolled: 1-line block ×8, first 2 shown]
	ds_load_b128 v[0:3], v92 offset:3840
	v_mul_f64_e32 v[26:27], v[150:151], v[154:155]
	v_mul_f64_e32 v[52:53], v[148:149], v[154:155]
	v_fma_f64 v[14:15], v[144:145], v[140:141], -v[14:15]
	v_fmac_f64_e32 v[22:23], v[146:147], v[140:141]
	v_fma_f64 v[24:25], v[156:157], v[136:137], -v[24:25]
	v_fmac_f64_e32 v[28:29], v[158:159], v[136:137]
	v_fma_f64 v[30:31], v[156:157], v[140:141], -v[30:31]
	s_wait_dscnt 0x0
	s_barrier_signal -1
	s_barrier_wait -1
	v_mul_f64_e32 v[54:55], v[150:151], v[2:3]
	v_mul_f64_e32 v[72:73], v[148:149], v[2:3]
	;; [unrolled: 1-line block ×4, first 2 shown]
	v_add_f64_e32 v[8:9], v[8:9], v[34:35]
	v_add_f64_e32 v[18:19], v[40:41], v[18:19]
	;; [unrolled: 1-line block ×8, first 2 shown]
	v_fma_f64 v[34:35], v[160:161], v[152:153], -v[76:77]
	v_fma_f64 v[26:27], v[148:149], v[152:153], -v[26:27]
	v_fmac_f64_e32 v[52:53], v[150:151], v[152:153]
	v_fma_f64 v[32:33], v[148:149], v[0:1], -v[54:55]
	v_fmac_f64_e32 v[72:73], v[150:151], v[0:1]
	;; [unrolled: 2-line block ×3, first 2 shown]
	v_add_f64_e32 v[0:1], v[8:9], v[42:43]
	v_add_f64_e32 v[8:9], v[46:47], v[18:19]
	;; [unrolled: 1-line block ×16, first 2 shown]
	s_cbranch_vccnz .LBB267_5
; %bb.6:                                ;   in Loop: Header=BB267_3 Depth=1
	v_add_nc_u64_e32 v[0:1], s[18:19], v[74:75]
	s_and_not1_b32 vcc_lo, exec_lo, s1
	s_mov_b32 s26, -1
                                        ; implicit-def: $vgpr2_vgpr3
                                        ; implicit-def: $vgpr4_vgpr5
	s_cbranch_vccnz .LBB267_9
.LBB267_7:                              ;   in Loop: Header=BB267_3 Depth=1
	v_mul_f64_e32 v[4:5], s[8:9], v[90:91]
	v_mul_f64_e32 v[8:9], s[6:7], v[90:91]
	s_delay_alu instid0(VALU_DEP_4)
	v_mul_f64_e32 v[2:3], s[6:7], v[72:73]
	v_mul_f64_e32 v[10:11], s[8:9], v[82:83]
	;; [unrolled: 1-line block ×6, first 2 shown]
	v_lshlrev_b64_e32 v[20:21], 4, v[62:63]
	v_fma_f64 v[6:7], s[6:7], v[84:85], -v[4:5]
	v_fmac_f64_e32 v[8:9], s[8:9], v[84:85]
	v_fmac_f64_e32 v[2:3], s[8:9], v[70:71]
	v_fma_f64 v[10:11], s[6:7], v[80:81], -v[10:11]
	v_fmac_f64_e32 v[12:13], s[8:9], v[80:81]
	v_fma_f64 v[14:15], s[6:7], v[76:77], -v[14:15]
	;; [unrolled: 2-line block ×3, first 2 shown]
	v_lshl_add_u64 v[4:5], v[58:59], 4, v[0:1]
	s_delay_alu instid0(VALU_DEP_1) | instskip(NEXT) | instid1(VALU_DEP_1)
	v_lshl_add_u64 v[22:23], s[20:21], 4, v[4:5]
	v_add_nc_u64_e32 v[22:23], v[22:23], v[20:21]
	v_add_nc_u64_e32 v[20:21], v[4:5], v[20:21]
	s_clause 0x3
	flat_store_b128 v[20:21], v[6:9]
	flat_store_b128 v[20:21], v[10:13] offset:256
	flat_store_b128 v[22:23], v[14:17]
	flat_store_b64 v[22:23], v[18:19] offset:256
	v_add_nc_u64_e32 v[4:5], 0x100, v[22:23]
	s_cbranch_execnz .LBB267_2
	s_branch .LBB267_10
.LBB267_8:                              ;   in Loop: Header=BB267_3 Depth=1
	v_mov_b64_e32 v[84:85], 0
	v_mov_b64_e32 v[90:91], 0
	;; [unrolled: 1-line block ×8, first 2 shown]
	s_wait_loadcnt 0x0
	s_wait_xcnt 0x0
	v_add_nc_u64_e32 v[0:1], s[18:19], v[74:75]
	s_and_not1_b32 vcc_lo, exec_lo, s1
	s_mov_b32 s26, -1
                                        ; implicit-def: $vgpr2_vgpr3
                                        ; implicit-def: $vgpr4_vgpr5
	s_cbranch_vccz .LBB267_7
.LBB267_9:                              ;   in Loop: Header=BB267_3 Depth=1
	s_and_not1_b32 vcc_lo, exec_lo, s26
	s_cbranch_vccnz .LBB267_2
.LBB267_10:                             ;   in Loop: Header=BB267_3 Depth=1
	v_add_nc_u64_e32 v[2:3], s[24:25], v[68:69]
	s_wait_xcnt 0x3
	v_lshlrev_b64_e32 v[6:7], 4, v[62:63]
	s_wait_xcnt 0x2
	v_mul_f64_e32 v[12:13], s[8:9], v[90:91]
	s_wait_xcnt 0x1
	v_mul_f64_e32 v[14:15], s[6:7], v[90:91]
	v_lshl_add_u64 v[8:9], v[60:61], 4, v[2:3]
	s_delay_alu instid0(VALU_DEP_1)
	v_add_nc_u64_e32 v[10:11], v[8:9], v[6:7]
	flat_load_b128 v[2:5], v[10:11]
	v_fma_f64 v[12:13], s[6:7], v[84:85], -v[12:13]
	v_fmac_f64_e32 v[14:15], s[8:9], v[84:85]
	s_wait_loadcnt_dscnt 0x0
	v_mul_f64_e32 v[16:17], s[40:41], v[4:5]
	v_mul_f64_e32 v[4:5], s[38:39], v[4:5]
	s_delay_alu instid0(VALU_DEP_2) | instskip(NEXT) | instid1(VALU_DEP_2)
	v_fma_f64 v[16:17], s[38:39], v[2:3], -v[16:17]
	v_fmac_f64_e32 v[4:5], s[40:41], v[2:3]
	s_delay_alu instid0(VALU_DEP_2) | instskip(NEXT) | instid1(VALU_DEP_2)
	v_add_f64_e32 v[2:3], v[12:13], v[16:17]
	v_add_f64_e32 v[4:5], v[14:15], v[4:5]
	v_lshl_add_u64 v[12:13], v[58:59], 4, v[0:1]
	s_delay_alu instid0(VALU_DEP_1)
	v_add_nc_u64_e32 v[14:15], v[12:13], v[6:7]
	flat_store_b128 v[14:15], v[2:5]
	flat_load_b128 v[0:3], v[10:11] offset:256
	v_mul_f64_e32 v[4:5], s[8:9], v[82:83]
	s_wait_xcnt 0x0
	v_mul_f64_e32 v[10:11], s[6:7], v[82:83]
	s_delay_alu instid0(VALU_DEP_2) | instskip(NEXT) | instid1(VALU_DEP_2)
	v_fma_f64 v[4:5], s[6:7], v[80:81], -v[4:5]
	v_fmac_f64_e32 v[10:11], s[8:9], v[80:81]
	s_wait_loadcnt_dscnt 0x0
	v_mul_f64_e32 v[16:17], s[40:41], v[2:3]
	v_mul_f64_e32 v[2:3], s[38:39], v[2:3]
	s_delay_alu instid0(VALU_DEP_2) | instskip(NEXT) | instid1(VALU_DEP_2)
	v_fma_f64 v[16:17], s[38:39], v[0:1], -v[16:17]
	v_fmac_f64_e32 v[2:3], s[40:41], v[0:1]
	s_delay_alu instid0(VALU_DEP_2) | instskip(NEXT) | instid1(VALU_DEP_2)
	v_add_f64_e32 v[0:1], v[4:5], v[16:17]
	v_add_f64_e32 v[2:3], v[10:11], v[2:3]
	v_lshl_add_u64 v[4:5], s[22:23], 4, v[8:9]
	v_mul_f64_e32 v[8:9], s[8:9], v[78:79]
	v_mul_f64_e32 v[10:11], s[6:7], v[78:79]
	s_delay_alu instid0(VALU_DEP_3)
	v_add_nc_u64_e32 v[4:5], v[4:5], v[6:7]
	flat_store_b128 v[14:15], v[0:3] offset:256
	flat_load_b128 v[0:3], v[4:5]
	v_fma_f64 v[8:9], s[6:7], v[76:77], -v[8:9]
	v_fmac_f64_e32 v[10:11], s[8:9], v[76:77]
	s_wait_loadcnt_dscnt 0x0
	v_mul_f64_e32 v[14:15], s[40:41], v[2:3]
	v_mul_f64_e32 v[2:3], s[38:39], v[2:3]
	s_delay_alu instid0(VALU_DEP_2) | instskip(NEXT) | instid1(VALU_DEP_2)
	v_fma_f64 v[14:15], s[38:39], v[0:1], -v[14:15]
	v_fmac_f64_e32 v[2:3], s[40:41], v[0:1]
	s_delay_alu instid0(VALU_DEP_2) | instskip(NEXT) | instid1(VALU_DEP_2)
	v_add_f64_e32 v[0:1], v[8:9], v[14:15]
	v_add_f64_e32 v[2:3], v[10:11], v[2:3]
	v_lshl_add_u64 v[8:9], s[20:21], 4, v[12:13]
	s_delay_alu instid0(VALU_DEP_1)
	v_add_nc_u64_e32 v[6:7], v[8:9], v[6:7]
	v_mul_f64_e32 v[8:9], s[6:7], v[72:73]
	flat_store_b128 v[6:7], v[0:3]
	flat_load_b128 v[0:3], v[4:5] offset:256
	s_wait_xcnt 0x0
	v_mul_f64_e32 v[4:5], s[8:9], v[72:73]
	v_fmac_f64_e32 v[8:9], s[8:9], v[70:71]
	s_delay_alu instid0(VALU_DEP_2) | instskip(SKIP_3) | instid1(VALU_DEP_2)
	v_fma_f64 v[4:5], s[6:7], v[70:71], -v[4:5]
	s_wait_loadcnt_dscnt 0x0
	v_mul_f64_e32 v[10:11], s[40:41], v[2:3]
	v_mul_f64_e32 v[2:3], s[38:39], v[2:3]
	v_fma_f64 v[10:11], s[38:39], v[0:1], -v[10:11]
	s_delay_alu instid0(VALU_DEP_2) | instskip(NEXT) | instid1(VALU_DEP_2)
	v_fmac_f64_e32 v[2:3], s[40:41], v[0:1]
	v_add_f64_e32 v[0:1], v[4:5], v[10:11]
	s_delay_alu instid0(VALU_DEP_2)
	v_add_f64_e32 v[2:3], v[8:9], v[2:3]
	v_add_nc_u64_e32 v[4:5], 0x100, v[6:7]
	flat_store_b64 v[6:7], v[0:1] offset:256
	s_branch .LBB267_2
.LBB267_11:
	s_sendmsg sendmsg(MSG_DEALLOC_VGPRS)
	s_endpgm
	.section	.rodata,"a",@progbits
	.p2align	6, 0x0
	.amdhsa_kernel _ZN12_GLOBAL__N_127rocblas_gemm_batched_kernelI19rocblas_complex_numIdELi16ELi16ELi32ELi32ELi8ELi32ELi8ELi8ELi32ELc78ELc67EKPKS2_S5_KPS2_EEvlllT_PT11_llSA_llS8_PT12_llPT13_lli
		.amdhsa_group_segment_fixed_size 8192
		.amdhsa_private_segment_fixed_size 0
		.amdhsa_kernarg_size 156
		.amdhsa_user_sgpr_count 2
		.amdhsa_user_sgpr_dispatch_ptr 0
		.amdhsa_user_sgpr_queue_ptr 0
		.amdhsa_user_sgpr_kernarg_segment_ptr 1
		.amdhsa_user_sgpr_dispatch_id 0
		.amdhsa_user_sgpr_kernarg_preload_length 0
		.amdhsa_user_sgpr_kernarg_preload_offset 0
		.amdhsa_user_sgpr_private_segment_size 0
		.amdhsa_wavefront_size32 1
		.amdhsa_uses_dynamic_stack 0
		.amdhsa_enable_private_segment 0
		.amdhsa_system_sgpr_workgroup_id_x 1
		.amdhsa_system_sgpr_workgroup_id_y 1
		.amdhsa_system_sgpr_workgroup_id_z 1
		.amdhsa_system_sgpr_workgroup_info 0
		.amdhsa_system_vgpr_workitem_id 1
		.amdhsa_next_free_vgpr 196
		.amdhsa_next_free_sgpr 52
		.amdhsa_named_barrier_count 0
		.amdhsa_reserve_vcc 1
		.amdhsa_float_round_mode_32 0
		.amdhsa_float_round_mode_16_64 0
		.amdhsa_float_denorm_mode_32 3
		.amdhsa_float_denorm_mode_16_64 3
		.amdhsa_fp16_overflow 0
		.amdhsa_memory_ordered 1
		.amdhsa_forward_progress 1
		.amdhsa_inst_pref_size 22
		.amdhsa_round_robin_scheduling 0
		.amdhsa_exception_fp_ieee_invalid_op 0
		.amdhsa_exception_fp_denorm_src 0
		.amdhsa_exception_fp_ieee_div_zero 0
		.amdhsa_exception_fp_ieee_overflow 0
		.amdhsa_exception_fp_ieee_underflow 0
		.amdhsa_exception_fp_ieee_inexact 0
		.amdhsa_exception_int_div_zero 0
	.end_amdhsa_kernel
	.section	.text._ZN12_GLOBAL__N_127rocblas_gemm_batched_kernelI19rocblas_complex_numIdELi16ELi16ELi32ELi32ELi8ELi32ELi8ELi8ELi32ELc78ELc67EKPKS2_S5_KPS2_EEvlllT_PT11_llSA_llS8_PT12_llPT13_lli,"axG",@progbits,_ZN12_GLOBAL__N_127rocblas_gemm_batched_kernelI19rocblas_complex_numIdELi16ELi16ELi32ELi32ELi8ELi32ELi8ELi8ELi32ELc78ELc67EKPKS2_S5_KPS2_EEvlllT_PT11_llSA_llS8_PT12_llPT13_lli,comdat
.Lfunc_end267:
	.size	_ZN12_GLOBAL__N_127rocblas_gemm_batched_kernelI19rocblas_complex_numIdELi16ELi16ELi32ELi32ELi8ELi32ELi8ELi8ELi32ELc78ELc67EKPKS2_S5_KPS2_EEvlllT_PT11_llSA_llS8_PT12_llPT13_lli, .Lfunc_end267-_ZN12_GLOBAL__N_127rocblas_gemm_batched_kernelI19rocblas_complex_numIdELi16ELi16ELi32ELi32ELi8ELi32ELi8ELi8ELi32ELc78ELc67EKPKS2_S5_KPS2_EEvlllT_PT11_llSA_llS8_PT12_llPT13_lli
                                        ; -- End function
	.set _ZN12_GLOBAL__N_127rocblas_gemm_batched_kernelI19rocblas_complex_numIdELi16ELi16ELi32ELi32ELi8ELi32ELi8ELi8ELi32ELc78ELc67EKPKS2_S5_KPS2_EEvlllT_PT11_llSA_llS8_PT12_llPT13_lli.num_vgpr, 196
	.set _ZN12_GLOBAL__N_127rocblas_gemm_batched_kernelI19rocblas_complex_numIdELi16ELi16ELi32ELi32ELi8ELi32ELi8ELi8ELi32ELc78ELc67EKPKS2_S5_KPS2_EEvlllT_PT11_llSA_llS8_PT12_llPT13_lli.num_agpr, 0
	.set _ZN12_GLOBAL__N_127rocblas_gemm_batched_kernelI19rocblas_complex_numIdELi16ELi16ELi32ELi32ELi8ELi32ELi8ELi8ELi32ELc78ELc67EKPKS2_S5_KPS2_EEvlllT_PT11_llSA_llS8_PT12_llPT13_lli.numbered_sgpr, 52
	.set _ZN12_GLOBAL__N_127rocblas_gemm_batched_kernelI19rocblas_complex_numIdELi16ELi16ELi32ELi32ELi8ELi32ELi8ELi8ELi32ELc78ELc67EKPKS2_S5_KPS2_EEvlllT_PT11_llSA_llS8_PT12_llPT13_lli.num_named_barrier, 0
	.set _ZN12_GLOBAL__N_127rocblas_gemm_batched_kernelI19rocblas_complex_numIdELi16ELi16ELi32ELi32ELi8ELi32ELi8ELi8ELi32ELc78ELc67EKPKS2_S5_KPS2_EEvlllT_PT11_llSA_llS8_PT12_llPT13_lli.private_seg_size, 0
	.set _ZN12_GLOBAL__N_127rocblas_gemm_batched_kernelI19rocblas_complex_numIdELi16ELi16ELi32ELi32ELi8ELi32ELi8ELi8ELi32ELc78ELc67EKPKS2_S5_KPS2_EEvlllT_PT11_llSA_llS8_PT12_llPT13_lli.uses_vcc, 1
	.set _ZN12_GLOBAL__N_127rocblas_gemm_batched_kernelI19rocblas_complex_numIdELi16ELi16ELi32ELi32ELi8ELi32ELi8ELi8ELi32ELc78ELc67EKPKS2_S5_KPS2_EEvlllT_PT11_llSA_llS8_PT12_llPT13_lli.uses_flat_scratch, 1
	.set _ZN12_GLOBAL__N_127rocblas_gemm_batched_kernelI19rocblas_complex_numIdELi16ELi16ELi32ELi32ELi8ELi32ELi8ELi8ELi32ELc78ELc67EKPKS2_S5_KPS2_EEvlllT_PT11_llSA_llS8_PT12_llPT13_lli.has_dyn_sized_stack, 0
	.set _ZN12_GLOBAL__N_127rocblas_gemm_batched_kernelI19rocblas_complex_numIdELi16ELi16ELi32ELi32ELi8ELi32ELi8ELi8ELi32ELc78ELc67EKPKS2_S5_KPS2_EEvlllT_PT11_llSA_llS8_PT12_llPT13_lli.has_recursion, 0
	.set _ZN12_GLOBAL__N_127rocblas_gemm_batched_kernelI19rocblas_complex_numIdELi16ELi16ELi32ELi32ELi8ELi32ELi8ELi8ELi32ELc78ELc67EKPKS2_S5_KPS2_EEvlllT_PT11_llSA_llS8_PT12_llPT13_lli.has_indirect_call, 0
	.section	.AMDGPU.csdata,"",@progbits
; Kernel info:
; codeLenInByte = 2692
; TotalNumSgprs: 54
; NumVgprs: 196
; ScratchSize: 0
; MemoryBound: 0
; FloatMode: 240
; IeeeMode: 1
; LDSByteSize: 8192 bytes/workgroup (compile time only)
; SGPRBlocks: 0
; VGPRBlocks: 12
; NumSGPRsForWavesPerEU: 54
; NumVGPRsForWavesPerEU: 196
; NamedBarCnt: 0
; Occupancy: 4
; WaveLimiterHint : 1
; COMPUTE_PGM_RSRC2:SCRATCH_EN: 0
; COMPUTE_PGM_RSRC2:USER_SGPR: 2
; COMPUTE_PGM_RSRC2:TRAP_HANDLER: 0
; COMPUTE_PGM_RSRC2:TGID_X_EN: 1
; COMPUTE_PGM_RSRC2:TGID_Y_EN: 1
; COMPUTE_PGM_RSRC2:TGID_Z_EN: 1
; COMPUTE_PGM_RSRC2:TIDIG_COMP_CNT: 1
	.section	.text._ZN12_GLOBAL__N_127rocblas_gemm_batched_kernelI19rocblas_complex_numIdELi16ELi16ELi32ELi32ELi8ELi32ELi8ELi8ELi32ELc84ELc67EKPKS2_S5_KPS2_EEvlllT_PT11_llSA_llS8_PT12_llPT13_lli,"axG",@progbits,_ZN12_GLOBAL__N_127rocblas_gemm_batched_kernelI19rocblas_complex_numIdELi16ELi16ELi32ELi32ELi8ELi32ELi8ELi8ELi32ELc84ELc67EKPKS2_S5_KPS2_EEvlllT_PT11_llSA_llS8_PT12_llPT13_lli,comdat
	.globl	_ZN12_GLOBAL__N_127rocblas_gemm_batched_kernelI19rocblas_complex_numIdELi16ELi16ELi32ELi32ELi8ELi32ELi8ELi8ELi32ELc84ELc67EKPKS2_S5_KPS2_EEvlllT_PT11_llSA_llS8_PT12_llPT13_lli ; -- Begin function _ZN12_GLOBAL__N_127rocblas_gemm_batched_kernelI19rocblas_complex_numIdELi16ELi16ELi32ELi32ELi8ELi32ELi8ELi8ELi32ELc84ELc67EKPKS2_S5_KPS2_EEvlllT_PT11_llSA_llS8_PT12_llPT13_lli
	.p2align	8
	.type	_ZN12_GLOBAL__N_127rocblas_gemm_batched_kernelI19rocblas_complex_numIdELi16ELi16ELi32ELi32ELi8ELi32ELi8ELi8ELi32ELc84ELc67EKPKS2_S5_KPS2_EEvlllT_PT11_llSA_llS8_PT12_llPT13_lli,@function
_ZN12_GLOBAL__N_127rocblas_gemm_batched_kernelI19rocblas_complex_numIdELi16ELi16ELi32ELi32ELi8ELi32ELi8ELi8ELi32ELc84ELc67EKPKS2_S5_KPS2_EEvlllT_PT11_llSA_llS8_PT12_llPT13_lli: ; @_ZN12_GLOBAL__N_127rocblas_gemm_batched_kernelI19rocblas_complex_numIdELi16ELi16ELi32ELi32ELi8ELi32ELi8ELi8ELi32ELc84ELc67EKPKS2_S5_KPS2_EEvlllT_PT11_llSA_llS8_PT12_llPT13_lli
; %bb.0:
	s_load_b32 s26, s[0:1], 0x98
	s_bfe_u32 s2, ttmp6, 0x40014
	s_lshr_b32 s3, ttmp7, 16
	s_add_co_i32 s2, s2, 1
	s_bfe_u32 s4, ttmp6, 0x40008
	s_mul_i32 s2, s3, s2
	s_getreg_b32 s20, hwreg(HW_REG_IB_STS2, 6, 4)
	s_add_co_i32 s4, s4, s2
	s_cmp_eq_u32 s20, 0
	s_cselect_b32 s2, s3, s4
	s_mov_b32 s3, 0
	s_wait_kmcnt 0x0
	s_cmp_ge_i32 s2, s26
	s_cbranch_scc1 .LBB268_11
; %bb.1:
	v_bfe_u32 v56, v0, 10, 10
	v_and_b32_e32 v2, 0x3ff, v0
	s_bfe_u32 s22, ttmp6, 0x4000c
	s_bfe_u32 s23, ttmp6, 0x40010
	s_clause 0x1
	s_load_b512 s[4:19], s[0:1], 0x10
	s_load_b512 s[36:51], s[0:1], 0x50
	s_add_co_i32 s22, s22, 1
	s_and_b32 s24, ttmp7, 0xffff
	s_add_co_i32 s23, s23, 1
	s_and_b32 s21, ttmp6, 15
	s_mul_i32 s22, ttmp9, s22
	s_mul_i32 s23, s24, s23
	s_bfe_u32 s25, ttmp6, 0x40004
	v_lshl_add_u32 v10, v56, 4, v2
	s_add_co_i32 s21, s21, s22
	s_add_co_i32 s25, s25, s23
	s_cmp_eq_u32 s20, 0
	s_delay_alu instid0(VALU_DEP_1) | instskip(SKIP_3) | instid1(VALU_DEP_1)
	v_dual_mov_b32 v57, 0 :: v_dual_bitop2_b32 v11, 31, v10 bitop3:0x40
	s_cselect_b32 s20, ttmp9, s21
	s_cselect_b32 s22, s24, s25
	s_ashr_i32 s21, s20, 31
	v_dual_mov_b32 v5, v57 :: v_dual_lshrrev_b32 v4, 3, v10
	s_lshl_b64 s[20:21], s[20:21], 5
	s_lshl_b32 s22, s22, 5
	v_dual_mov_b32 v7, s21 :: v_dual_bitop2_b32 v6, s20, v11 bitop3:0x54
	s_mov_b32 s23, s3
	v_dual_lshlrev_b32 v92, 4, v2 :: v_dual_bitop2_b32 v3, 7, v0 bitop3:0x40
	v_add_nc_u64_e32 v[0:1], s[22:23], v[4:5]
	s_wait_kmcnt 0x0
	v_mul_u64_e32 v[6:7], s[12:13], v[6:7]
	v_add_nc_u64_e32 v[8:9], s[22:23], v[56:57]
	v_cmp_eq_f64_e64 s24, s[38:39], 0
	v_cmp_eq_f64_e64 s25, s[40:41], 0
	s_load_b64 s[22:23], s[0:1], 0x90
	v_lshlrev_b32_e32 v5, 4, v3
	v_mad_nc_u64_u32 v[0:1], s18, v3, v[0:1]
	s_wait_xcnt 0x0
	v_cmp_gt_i64_e64 s0, s[4:5], 0
	v_mul_u64_e32 v[58:59], s[50:51], v[8:9]
	v_mul_u64_e32 v[60:61], s[44:45], v[8:9]
	v_dual_lshrrev_b32 v8, 5, v10 :: v_dual_lshlrev_b32 v9, 4, v11
	s_lshl_b64 s[12:13], s[14:15], 4
	v_lshl_add_u32 v93, v56, 7, 0x1000
	s_lshl_b64 s[14:15], s[44:45], 4
	s_delay_alu instid0(VALU_DEP_2)
	v_lshlrev_b32_e32 v56, 4, v8
	v_lshl_or_b32 v94, v8, 9, v9
	v_mad_u32 v1, s19, v3, v1
	v_mov_b32_e32 v3, v57
	v_lshl_or_b32 v4, v4, 7, v5
	s_lshl_b64 s[18:19], s[18:19], 7
	s_delay_alu instid0(VALU_DEP_2) | instskip(NEXT) | instid1(VALU_DEP_2)
	v_add_nc_u64_e32 v[62:63], s[20:21], v[2:3]
	v_add_nc_u32_e32 v95, 0x1000, v4
	s_wait_kmcnt 0x0
	s_lshl_b64 s[20:21], s[22:23], 4
	s_lshl_b64 s[22:23], s[46:47], 4
	v_lshlrev_b64_e32 v[0:1], 4, v[0:1]
	v_lshl_add_u64 v[2:3], v[6:7], 4, s[12:13]
	s_lshl_b64 s[12:13], s[50:51], 4
	s_delay_alu instid0(VALU_DEP_2) | instskip(SKIP_1) | instid1(VALU_DEP_3)
	v_lshl_add_u64 v[64:65], s[36:37], 4, v[0:1]
	v_cndmask_b32_e64 v0, 0, 1, s0
	v_add_nc_u64_e32 v[66:67], v[2:3], v[56:57]
	s_and_b32 s1, s24, s25
	s_delay_alu instid0(VALU_DEP_3) | instskip(NEXT) | instid1(VALU_DEP_3)
	v_or_b32_e32 v64, 8, v64
	v_cmp_ne_u32_e64 s0, 1, v0
	s_branch .LBB268_3
.LBB268_2:                              ;   in Loop: Header=BB268_3 Depth=1
	s_add_co_i32 s2, s2, 0x10000
	flat_store_b64 v[4:5], v[2:3] offset:8
	s_cmp_lt_i32 s2, s26
	s_cbranch_scc0 .LBB268_11
.LBB268_3:                              ; =>This Loop Header: Depth=1
                                        ;     Child Loop BB268_5 Depth 2
	s_wait_xcnt 0x1
	v_mov_b32_e32 v0, s2
	s_delay_alu instid0(VALU_DEP_2)
	s_and_b32 vcc_lo, exec_lo, s0
	s_clause 0x1
	global_load_b64 v[68:69], v0, s[42:43] scale_offset
	global_load_b64 v[74:75], v0, s[48:49] scale_offset
	s_cbranch_vccnz .LBB268_8
; %bb.4:                                ;   in Loop: Header=BB268_3 Depth=1
	s_lshl_b64 s[24:25], s[2:3], 3
	v_mov_b64_e32 v[72:73], 0
	s_add_nc_u64 s[28:29], s[10:11], s[24:25]
	s_add_nc_u64 s[24:25], s[16:17], s[24:25]
	s_clause 0x1
	global_load_b64 v[0:1], v57, s[28:29]
	global_load_b64 v[2:3], v57, s[24:25]
	v_mov_b64_e32 v[70:71], 0
	v_mov_b64_e32 v[78:79], 0
	;; [unrolled: 1-line block ×7, first 2 shown]
	s_wait_xcnt 0x0
	s_mov_b64 s[24:25], 0
	s_wait_loadcnt 0x1
	v_add_nc_u64_e32 v[86:87], v[0:1], v[66:67]
	s_wait_loadcnt 0x0
	v_add_nc_u64_e32 v[88:89], v[2:3], v[64:65]
.LBB268_5:                              ;   Parent Loop BB268_3 Depth=1
                                        ; =>  This Inner Loop Header: Depth=2
	flat_load_b128 v[0:3], v[86:87]
	s_add_nc_u64 s[24:25], s[24:25], 8
	s_wait_xcnt 0x0
	v_add_nc_u64_e32 v[86:87], 0x80, v[86:87]
	v_cmp_lt_i64_e64 s27, s[24:25], s[4:5]
	s_and_b32 vcc_lo, exec_lo, s27
	s_wait_loadcnt_dscnt 0x0
	ds_store_2addr_b64 v94, v[0:1], v[2:3] offset1:1
	flat_load_b128 v[0:3], v[88:89] offset:-8
	s_wait_xcnt 0x0
	v_add_nc_u64_e32 v[88:89], s[18:19], v[88:89]
	s_wait_loadcnt_dscnt 0x0
	v_xor_b32_e32 v3, 0x80000000, v3
	ds_store_b128 v95, v[0:3]
	s_wait_dscnt 0x0
	s_barrier_signal -1
	s_barrier_wait -1
	ds_load_b128 v[0:3], v92
	ds_load_b128 v[8:11], v92 offset:256
	ds_load_b128 v[12:15], v93
	ds_load_b128 v[4:7], v93 offset:16
	ds_load_b128 v[16:19], v93 offset:2048
	;; [unrolled: 1-line block ×28, first 2 shown]
	s_wait_dscnt 0x1c
	v_mul_f64_e32 v[164:165], v[14:15], v[2:3]
	v_mul_f64_e32 v[166:167], v[12:13], v[2:3]
	;; [unrolled: 1-line block ×4, first 2 shown]
	s_wait_dscnt 0x1a
	v_mul_f64_e32 v[172:173], v[18:19], v[2:3]
	v_mul_f64_e32 v[2:3], v[16:17], v[2:3]
	;; [unrolled: 1-line block ×4, first 2 shown]
	s_wait_dscnt 0x18
	v_mul_f64_e32 v[176:177], v[6:7], v[26:27]
	v_mul_f64_e32 v[178:179], v[4:5], v[26:27]
	s_wait_dscnt 0x17
	v_mul_f64_e32 v[180:181], v[6:7], v[34:35]
	v_mul_f64_e32 v[182:183], v[4:5], v[34:35]
	;; [unrolled: 1-line block ×6, first 2 shown]
	s_wait_dscnt 0x14
	v_mul_f64_e32 v[188:189], v[38:39], v[42:43]
	v_mul_f64_e32 v[190:191], v[36:37], v[42:43]
	s_wait_dscnt 0x13
	v_mul_f64_e32 v[192:193], v[38:39], v[46:47]
	v_mul_f64_e32 v[194:195], v[36:37], v[46:47]
	v_fma_f64 v[164:165], v[12:13], v[0:1], -v[164:165]
	v_fmac_f64_e32 v[166:167], v[14:15], v[0:1]
	v_fma_f64 v[12:13], v[12:13], v[8:9], -v[168:169]
	v_fmac_f64_e32 v[170:171], v[14:15], v[8:9]
	;; [unrolled: 2-line block ×4, first 2 shown]
	s_wait_dscnt 0x12
	v_mul_f64_e32 v[14:15], v[50:51], v[42:43]
	v_mul_f64_e32 v[42:43], v[48:49], v[42:43]
	;; [unrolled: 1-line block ×4, first 2 shown]
	v_fma_f64 v[176:177], v[4:5], v[24:25], -v[176:177]
	v_fmac_f64_e32 v[178:179], v[6:7], v[24:25]
	v_fma_f64 v[4:5], v[4:5], v[32:33], -v[180:181]
	v_fmac_f64_e32 v[182:183], v[6:7], v[32:33]
	;; [unrolled: 2-line block ×4, first 2 shown]
	s_wait_dscnt 0x10
	v_mul_f64_e32 v[8:9], v[30:31], v[98:99]
	v_mul_f64_e32 v[18:19], v[28:29], v[98:99]
	s_wait_dscnt 0xf
	v_mul_f64_e32 v[172:173], v[30:31], v[102:103]
	v_mul_f64_e32 v[174:175], v[28:29], v[102:103]
	;; [unrolled: 1-line block ×6, first 2 shown]
	v_fmac_f64_e32 v[190:191], v[38:39], v[40:41]
	v_fmac_f64_e32 v[194:195], v[38:39], v[44:45]
	v_add_f64_e32 v[22:23], v[84:85], v[164:165]
	v_add_f64_e32 v[32:33], v[166:167], v[90:91]
	;; [unrolled: 1-line block ×8, first 2 shown]
	s_wait_dscnt 0xc
	v_mul_f64_e32 v[70:71], v[114:115], v[106:107]
	v_mul_f64_e32 v[72:73], v[112:113], v[106:107]
	s_wait_dscnt 0xa
	v_mul_f64_e32 v[84:85], v[122:123], v[106:107]
	v_mul_f64_e32 v[90:91], v[120:121], v[106:107]
	v_fma_f64 v[106:107], v[36:37], v[40:41], -v[188:189]
	v_fma_f64 v[36:37], v[36:37], v[44:45], -v[192:193]
	;; [unrolled: 1-line block ×3, first 2 shown]
	v_fmac_f64_e32 v[42:43], v[50:51], v[40:41]
	v_fma_f64 v[0:1], v[48:49], v[44:45], -v[0:1]
	v_fmac_f64_e32 v[46:47], v[50:51], v[44:45]
	v_mul_f64_e32 v[78:79], v[114:115], v[110:111]
	v_mul_f64_e32 v[82:83], v[112:113], v[110:111]
	v_fma_f64 v[8:9], v[28:29], v[96:97], -v[8:9]
	v_fmac_f64_e32 v[18:19], v[30:31], v[96:97]
	v_fma_f64 v[28:29], v[28:29], v[100:101], -v[172:173]
	v_fmac_f64_e32 v[174:175], v[30:31], v[100:101]
	;; [unrolled: 2-line block ×4, first 2 shown]
	s_wait_dscnt 0x8
	v_mul_f64_e32 v[40:41], v[116:117], v[130:131]
	s_wait_dscnt 0x7
	v_mul_f64_e32 v[44:45], v[118:119], v[134:135]
	v_mul_f64_e32 v[48:49], v[116:117], v[134:135]
	v_add_f64_e32 v[22:23], v[22:23], v[176:177]
	v_add_f64_e32 v[32:33], v[178:179], v[32:33]
	;; [unrolled: 1-line block ×8, first 2 shown]
	v_mul_f64_e32 v[20:21], v[122:123], v[110:111]
	v_mul_f64_e32 v[26:27], v[120:121], v[110:111]
	;; [unrolled: 1-line block ×3, first 2 shown]
	v_fma_f64 v[50:51], v[112:113], v[104:105], -v[70:71]
	v_fmac_f64_e32 v[72:73], v[114:115], v[104:105]
	v_fma_f64 v[54:55], v[120:121], v[104:105], -v[84:85]
	v_fmac_f64_e32 v[90:91], v[122:123], v[104:105]
	s_wait_dscnt 0x1
	v_mul_f64_e32 v[70:71], v[156:157], v[142:143]
	s_wait_dscnt 0x0
	v_mul_f64_e32 v[76:77], v[162:163], v[154:155]
	v_fma_f64 v[52:53], v[112:113], v[108:109], -v[78:79]
	v_fmac_f64_e32 v[82:83], v[114:115], v[108:109]
	v_mul_f64_e32 v[78:79], v[160:161], v[154:155]
	v_fmac_f64_e32 v[40:41], v[118:119], v[128:129]
	v_fma_f64 v[44:45], v[116:117], v[132:133], -v[44:45]
	v_fmac_f64_e32 v[48:49], v[118:119], v[132:133]
	v_add_f64_e32 v[22:23], v[22:23], v[106:107]
	v_add_f64_e32 v[30:31], v[190:191], v[32:33]
	;; [unrolled: 1-line block ×8, first 2 shown]
	v_mul_f64_e32 v[16:17], v[126:127], v[130:131]
	v_mul_f64_e32 v[32:33], v[124:125], v[130:131]
	;; [unrolled: 1-line block ×4, first 2 shown]
	v_fma_f64 v[20:21], v[120:121], v[108:109], -v[20:21]
	v_fmac_f64_e32 v[26:27], v[122:123], v[108:109]
	v_mul_f64_e32 v[42:43], v[146:147], v[138:139]
	v_mul_f64_e32 v[46:47], v[144:145], v[138:139]
	v_fma_f64 v[34:35], v[116:117], v[128:129], -v[34:35]
	v_fmac_f64_e32 v[70:71], v[158:159], v[140:141]
	v_fmac_f64_e32 v[78:79], v[162:163], v[152:153]
	v_add_f64_e32 v[8:9], v[22:23], v[8:9]
	v_add_f64_e32 v[18:19], v[18:19], v[30:31]
	;; [unrolled: 1-line block ×8, first 2 shown]
	v_mul_f64_e32 v[14:15], v[146:147], v[142:143]
	v_mul_f64_e32 v[22:23], v[144:145], v[142:143]
	;; [unrolled: 1-line block ×5, first 2 shown]
	v_fma_f64 v[16:17], v[124:125], v[128:129], -v[16:17]
	v_fmac_f64_e32 v[32:33], v[126:127], v[128:129]
	v_fma_f64 v[36:37], v[124:125], v[132:133], -v[36:37]
	v_fmac_f64_e32 v[38:39], v[126:127], v[132:133]
	;; [unrolled: 2-line block ×3, first 2 shown]
	v_add_f64_e32 v[8:9], v[8:9], v[50:51]
	v_add_f64_e32 v[18:19], v[72:73], v[18:19]
	;; [unrolled: 1-line block ×8, first 2 shown]
	ds_load_b128 v[0:3], v92 offset:3840
	v_mul_f64_e32 v[26:27], v[150:151], v[154:155]
	v_mul_f64_e32 v[52:53], v[148:149], v[154:155]
	v_fma_f64 v[14:15], v[144:145], v[140:141], -v[14:15]
	v_fmac_f64_e32 v[22:23], v[146:147], v[140:141]
	v_fma_f64 v[24:25], v[156:157], v[136:137], -v[24:25]
	v_fmac_f64_e32 v[28:29], v[158:159], v[136:137]
	v_fma_f64 v[30:31], v[156:157], v[140:141], -v[30:31]
	s_wait_dscnt 0x0
	s_barrier_signal -1
	s_barrier_wait -1
	v_mul_f64_e32 v[54:55], v[150:151], v[2:3]
	v_mul_f64_e32 v[72:73], v[148:149], v[2:3]
	;; [unrolled: 1-line block ×4, first 2 shown]
	v_add_f64_e32 v[8:9], v[8:9], v[34:35]
	v_add_f64_e32 v[18:19], v[40:41], v[18:19]
	;; [unrolled: 1-line block ×8, first 2 shown]
	v_fma_f64 v[34:35], v[160:161], v[152:153], -v[76:77]
	v_fma_f64 v[26:27], v[148:149], v[152:153], -v[26:27]
	v_fmac_f64_e32 v[52:53], v[150:151], v[152:153]
	v_fma_f64 v[32:33], v[148:149], v[0:1], -v[54:55]
	v_fmac_f64_e32 v[72:73], v[150:151], v[0:1]
	;; [unrolled: 2-line block ×3, first 2 shown]
	v_add_f64_e32 v[0:1], v[8:9], v[42:43]
	v_add_f64_e32 v[8:9], v[46:47], v[18:19]
	;; [unrolled: 1-line block ×16, first 2 shown]
	s_cbranch_vccnz .LBB268_5
; %bb.6:                                ;   in Loop: Header=BB268_3 Depth=1
	v_add_nc_u64_e32 v[0:1], s[20:21], v[74:75]
	s_and_not1_b32 vcc_lo, exec_lo, s1
	s_mov_b32 s24, -1
                                        ; implicit-def: $vgpr2_vgpr3
                                        ; implicit-def: $vgpr4_vgpr5
	s_cbranch_vccnz .LBB268_9
.LBB268_7:                              ;   in Loop: Header=BB268_3 Depth=1
	v_mul_f64_e32 v[4:5], s[8:9], v[90:91]
	v_mul_f64_e32 v[8:9], s[6:7], v[90:91]
	s_delay_alu instid0(VALU_DEP_4)
	v_mul_f64_e32 v[2:3], s[6:7], v[72:73]
	v_mul_f64_e32 v[10:11], s[8:9], v[82:83]
	;; [unrolled: 1-line block ×6, first 2 shown]
	v_lshlrev_b64_e32 v[20:21], 4, v[62:63]
	v_fma_f64 v[6:7], s[6:7], v[84:85], -v[4:5]
	v_fmac_f64_e32 v[8:9], s[8:9], v[84:85]
	v_fmac_f64_e32 v[2:3], s[8:9], v[70:71]
	v_fma_f64 v[10:11], s[6:7], v[80:81], -v[10:11]
	v_fmac_f64_e32 v[12:13], s[8:9], v[80:81]
	v_fma_f64 v[14:15], s[6:7], v[76:77], -v[14:15]
	;; [unrolled: 2-line block ×3, first 2 shown]
	v_lshl_add_u64 v[4:5], v[58:59], 4, v[0:1]
	s_delay_alu instid0(VALU_DEP_1) | instskip(NEXT) | instid1(VALU_DEP_1)
	v_lshl_add_u64 v[22:23], s[12:13], 4, v[4:5]
	v_add_nc_u64_e32 v[22:23], v[22:23], v[20:21]
	v_add_nc_u64_e32 v[20:21], v[4:5], v[20:21]
	s_clause 0x3
	flat_store_b128 v[20:21], v[6:9]
	flat_store_b128 v[20:21], v[10:13] offset:256
	flat_store_b128 v[22:23], v[14:17]
	flat_store_b64 v[22:23], v[18:19] offset:256
	v_add_nc_u64_e32 v[4:5], 0x100, v[22:23]
	s_cbranch_execnz .LBB268_2
	s_branch .LBB268_10
.LBB268_8:                              ;   in Loop: Header=BB268_3 Depth=1
	v_mov_b64_e32 v[84:85], 0
	v_mov_b64_e32 v[90:91], 0
	v_mov_b64_e32 v[80:81], 0
	v_mov_b64_e32 v[82:83], 0
	v_mov_b64_e32 v[76:77], 0
	v_mov_b64_e32 v[78:79], 0
	v_mov_b64_e32 v[70:71], 0
	v_mov_b64_e32 v[72:73], 0
	s_wait_loadcnt 0x0
	s_wait_xcnt 0x0
	v_add_nc_u64_e32 v[0:1], s[20:21], v[74:75]
	s_and_not1_b32 vcc_lo, exec_lo, s1
	s_mov_b32 s24, -1
                                        ; implicit-def: $vgpr2_vgpr3
                                        ; implicit-def: $vgpr4_vgpr5
	s_cbranch_vccz .LBB268_7
.LBB268_9:                              ;   in Loop: Header=BB268_3 Depth=1
	s_and_not1_b32 vcc_lo, exec_lo, s24
	s_cbranch_vccnz .LBB268_2
.LBB268_10:                             ;   in Loop: Header=BB268_3 Depth=1
	v_add_nc_u64_e32 v[2:3], s[22:23], v[68:69]
	s_wait_xcnt 0x3
	v_lshlrev_b64_e32 v[6:7], 4, v[62:63]
	s_wait_xcnt 0x2
	v_mul_f64_e32 v[12:13], s[8:9], v[90:91]
	s_wait_xcnt 0x1
	v_mul_f64_e32 v[14:15], s[6:7], v[90:91]
	v_lshl_add_u64 v[8:9], v[60:61], 4, v[2:3]
	s_delay_alu instid0(VALU_DEP_1)
	v_add_nc_u64_e32 v[10:11], v[8:9], v[6:7]
	flat_load_b128 v[2:5], v[10:11]
	v_fma_f64 v[12:13], s[6:7], v[84:85], -v[12:13]
	v_fmac_f64_e32 v[14:15], s[8:9], v[84:85]
	s_wait_loadcnt_dscnt 0x0
	v_mul_f64_e32 v[16:17], s[40:41], v[4:5]
	v_mul_f64_e32 v[4:5], s[38:39], v[4:5]
	s_delay_alu instid0(VALU_DEP_2) | instskip(NEXT) | instid1(VALU_DEP_2)
	v_fma_f64 v[16:17], s[38:39], v[2:3], -v[16:17]
	v_fmac_f64_e32 v[4:5], s[40:41], v[2:3]
	s_delay_alu instid0(VALU_DEP_2) | instskip(NEXT) | instid1(VALU_DEP_2)
	v_add_f64_e32 v[2:3], v[12:13], v[16:17]
	v_add_f64_e32 v[4:5], v[14:15], v[4:5]
	v_lshl_add_u64 v[12:13], v[58:59], 4, v[0:1]
	s_delay_alu instid0(VALU_DEP_1)
	v_add_nc_u64_e32 v[14:15], v[12:13], v[6:7]
	flat_store_b128 v[14:15], v[2:5]
	flat_load_b128 v[0:3], v[10:11] offset:256
	v_mul_f64_e32 v[4:5], s[8:9], v[82:83]
	s_wait_xcnt 0x0
	v_mul_f64_e32 v[10:11], s[6:7], v[82:83]
	s_delay_alu instid0(VALU_DEP_2) | instskip(NEXT) | instid1(VALU_DEP_2)
	v_fma_f64 v[4:5], s[6:7], v[80:81], -v[4:5]
	v_fmac_f64_e32 v[10:11], s[8:9], v[80:81]
	s_wait_loadcnt_dscnt 0x0
	v_mul_f64_e32 v[16:17], s[40:41], v[2:3]
	v_mul_f64_e32 v[2:3], s[38:39], v[2:3]
	s_delay_alu instid0(VALU_DEP_2) | instskip(NEXT) | instid1(VALU_DEP_2)
	v_fma_f64 v[16:17], s[38:39], v[0:1], -v[16:17]
	v_fmac_f64_e32 v[2:3], s[40:41], v[0:1]
	s_delay_alu instid0(VALU_DEP_2) | instskip(NEXT) | instid1(VALU_DEP_2)
	v_add_f64_e32 v[0:1], v[4:5], v[16:17]
	v_add_f64_e32 v[2:3], v[10:11], v[2:3]
	v_lshl_add_u64 v[4:5], s[14:15], 4, v[8:9]
	v_mul_f64_e32 v[8:9], s[8:9], v[78:79]
	v_mul_f64_e32 v[10:11], s[6:7], v[78:79]
	s_delay_alu instid0(VALU_DEP_3)
	v_add_nc_u64_e32 v[4:5], v[4:5], v[6:7]
	flat_store_b128 v[14:15], v[0:3] offset:256
	flat_load_b128 v[0:3], v[4:5]
	v_fma_f64 v[8:9], s[6:7], v[76:77], -v[8:9]
	v_fmac_f64_e32 v[10:11], s[8:9], v[76:77]
	s_wait_loadcnt_dscnt 0x0
	v_mul_f64_e32 v[14:15], s[40:41], v[2:3]
	v_mul_f64_e32 v[2:3], s[38:39], v[2:3]
	s_delay_alu instid0(VALU_DEP_2) | instskip(NEXT) | instid1(VALU_DEP_2)
	v_fma_f64 v[14:15], s[38:39], v[0:1], -v[14:15]
	v_fmac_f64_e32 v[2:3], s[40:41], v[0:1]
	s_delay_alu instid0(VALU_DEP_2) | instskip(NEXT) | instid1(VALU_DEP_2)
	v_add_f64_e32 v[0:1], v[8:9], v[14:15]
	v_add_f64_e32 v[2:3], v[10:11], v[2:3]
	v_lshl_add_u64 v[8:9], s[12:13], 4, v[12:13]
	s_delay_alu instid0(VALU_DEP_1)
	v_add_nc_u64_e32 v[6:7], v[8:9], v[6:7]
	v_mul_f64_e32 v[8:9], s[6:7], v[72:73]
	flat_store_b128 v[6:7], v[0:3]
	flat_load_b128 v[0:3], v[4:5] offset:256
	s_wait_xcnt 0x0
	v_mul_f64_e32 v[4:5], s[8:9], v[72:73]
	v_fmac_f64_e32 v[8:9], s[8:9], v[70:71]
	s_delay_alu instid0(VALU_DEP_2) | instskip(SKIP_3) | instid1(VALU_DEP_2)
	v_fma_f64 v[4:5], s[6:7], v[70:71], -v[4:5]
	s_wait_loadcnt_dscnt 0x0
	v_mul_f64_e32 v[10:11], s[40:41], v[2:3]
	v_mul_f64_e32 v[2:3], s[38:39], v[2:3]
	v_fma_f64 v[10:11], s[38:39], v[0:1], -v[10:11]
	s_delay_alu instid0(VALU_DEP_2) | instskip(NEXT) | instid1(VALU_DEP_2)
	v_fmac_f64_e32 v[2:3], s[40:41], v[0:1]
	v_add_f64_e32 v[0:1], v[4:5], v[10:11]
	s_delay_alu instid0(VALU_DEP_2)
	v_add_f64_e32 v[2:3], v[8:9], v[2:3]
	v_add_nc_u64_e32 v[4:5], 0x100, v[6:7]
	flat_store_b64 v[6:7], v[0:1] offset:256
	s_branch .LBB268_2
.LBB268_11:
	s_sendmsg sendmsg(MSG_DEALLOC_VGPRS)
	s_endpgm
	.section	.rodata,"a",@progbits
	.p2align	6, 0x0
	.amdhsa_kernel _ZN12_GLOBAL__N_127rocblas_gemm_batched_kernelI19rocblas_complex_numIdELi16ELi16ELi32ELi32ELi8ELi32ELi8ELi8ELi32ELc84ELc67EKPKS2_S5_KPS2_EEvlllT_PT11_llSA_llS8_PT12_llPT13_lli
		.amdhsa_group_segment_fixed_size 8192
		.amdhsa_private_segment_fixed_size 0
		.amdhsa_kernarg_size 156
		.amdhsa_user_sgpr_count 2
		.amdhsa_user_sgpr_dispatch_ptr 0
		.amdhsa_user_sgpr_queue_ptr 0
		.amdhsa_user_sgpr_kernarg_segment_ptr 1
		.amdhsa_user_sgpr_dispatch_id 0
		.amdhsa_user_sgpr_kernarg_preload_length 0
		.amdhsa_user_sgpr_kernarg_preload_offset 0
		.amdhsa_user_sgpr_private_segment_size 0
		.amdhsa_wavefront_size32 1
		.amdhsa_uses_dynamic_stack 0
		.amdhsa_enable_private_segment 0
		.amdhsa_system_sgpr_workgroup_id_x 1
		.amdhsa_system_sgpr_workgroup_id_y 1
		.amdhsa_system_sgpr_workgroup_id_z 1
		.amdhsa_system_sgpr_workgroup_info 0
		.amdhsa_system_vgpr_workitem_id 1
		.amdhsa_next_free_vgpr 196
		.amdhsa_next_free_sgpr 52
		.amdhsa_named_barrier_count 0
		.amdhsa_reserve_vcc 1
		.amdhsa_float_round_mode_32 0
		.amdhsa_float_round_mode_16_64 0
		.amdhsa_float_denorm_mode_32 3
		.amdhsa_float_denorm_mode_16_64 3
		.amdhsa_fp16_overflow 0
		.amdhsa_memory_ordered 1
		.amdhsa_forward_progress 1
		.amdhsa_inst_pref_size 22
		.amdhsa_round_robin_scheduling 0
		.amdhsa_exception_fp_ieee_invalid_op 0
		.amdhsa_exception_fp_denorm_src 0
		.amdhsa_exception_fp_ieee_div_zero 0
		.amdhsa_exception_fp_ieee_overflow 0
		.amdhsa_exception_fp_ieee_underflow 0
		.amdhsa_exception_fp_ieee_inexact 0
		.amdhsa_exception_int_div_zero 0
	.end_amdhsa_kernel
	.section	.text._ZN12_GLOBAL__N_127rocblas_gemm_batched_kernelI19rocblas_complex_numIdELi16ELi16ELi32ELi32ELi8ELi32ELi8ELi8ELi32ELc84ELc67EKPKS2_S5_KPS2_EEvlllT_PT11_llSA_llS8_PT12_llPT13_lli,"axG",@progbits,_ZN12_GLOBAL__N_127rocblas_gemm_batched_kernelI19rocblas_complex_numIdELi16ELi16ELi32ELi32ELi8ELi32ELi8ELi8ELi32ELc84ELc67EKPKS2_S5_KPS2_EEvlllT_PT11_llSA_llS8_PT12_llPT13_lli,comdat
.Lfunc_end268:
	.size	_ZN12_GLOBAL__N_127rocblas_gemm_batched_kernelI19rocblas_complex_numIdELi16ELi16ELi32ELi32ELi8ELi32ELi8ELi8ELi32ELc84ELc67EKPKS2_S5_KPS2_EEvlllT_PT11_llSA_llS8_PT12_llPT13_lli, .Lfunc_end268-_ZN12_GLOBAL__N_127rocblas_gemm_batched_kernelI19rocblas_complex_numIdELi16ELi16ELi32ELi32ELi8ELi32ELi8ELi8ELi32ELc84ELc67EKPKS2_S5_KPS2_EEvlllT_PT11_llSA_llS8_PT12_llPT13_lli
                                        ; -- End function
	.set _ZN12_GLOBAL__N_127rocblas_gemm_batched_kernelI19rocblas_complex_numIdELi16ELi16ELi32ELi32ELi8ELi32ELi8ELi8ELi32ELc84ELc67EKPKS2_S5_KPS2_EEvlllT_PT11_llSA_llS8_PT12_llPT13_lli.num_vgpr, 196
	.set _ZN12_GLOBAL__N_127rocblas_gemm_batched_kernelI19rocblas_complex_numIdELi16ELi16ELi32ELi32ELi8ELi32ELi8ELi8ELi32ELc84ELc67EKPKS2_S5_KPS2_EEvlllT_PT11_llSA_llS8_PT12_llPT13_lli.num_agpr, 0
	.set _ZN12_GLOBAL__N_127rocblas_gemm_batched_kernelI19rocblas_complex_numIdELi16ELi16ELi32ELi32ELi8ELi32ELi8ELi8ELi32ELc84ELc67EKPKS2_S5_KPS2_EEvlllT_PT11_llSA_llS8_PT12_llPT13_lli.numbered_sgpr, 52
	.set _ZN12_GLOBAL__N_127rocblas_gemm_batched_kernelI19rocblas_complex_numIdELi16ELi16ELi32ELi32ELi8ELi32ELi8ELi8ELi32ELc84ELc67EKPKS2_S5_KPS2_EEvlllT_PT11_llSA_llS8_PT12_llPT13_lli.num_named_barrier, 0
	.set _ZN12_GLOBAL__N_127rocblas_gemm_batched_kernelI19rocblas_complex_numIdELi16ELi16ELi32ELi32ELi8ELi32ELi8ELi8ELi32ELc84ELc67EKPKS2_S5_KPS2_EEvlllT_PT11_llSA_llS8_PT12_llPT13_lli.private_seg_size, 0
	.set _ZN12_GLOBAL__N_127rocblas_gemm_batched_kernelI19rocblas_complex_numIdELi16ELi16ELi32ELi32ELi8ELi32ELi8ELi8ELi32ELc84ELc67EKPKS2_S5_KPS2_EEvlllT_PT11_llSA_llS8_PT12_llPT13_lli.uses_vcc, 1
	.set _ZN12_GLOBAL__N_127rocblas_gemm_batched_kernelI19rocblas_complex_numIdELi16ELi16ELi32ELi32ELi8ELi32ELi8ELi8ELi32ELc84ELc67EKPKS2_S5_KPS2_EEvlllT_PT11_llSA_llS8_PT12_llPT13_lli.uses_flat_scratch, 1
	.set _ZN12_GLOBAL__N_127rocblas_gemm_batched_kernelI19rocblas_complex_numIdELi16ELi16ELi32ELi32ELi8ELi32ELi8ELi8ELi32ELc84ELc67EKPKS2_S5_KPS2_EEvlllT_PT11_llSA_llS8_PT12_llPT13_lli.has_dyn_sized_stack, 0
	.set _ZN12_GLOBAL__N_127rocblas_gemm_batched_kernelI19rocblas_complex_numIdELi16ELi16ELi32ELi32ELi8ELi32ELi8ELi8ELi32ELc84ELc67EKPKS2_S5_KPS2_EEvlllT_PT11_llSA_llS8_PT12_llPT13_lli.has_recursion, 0
	.set _ZN12_GLOBAL__N_127rocblas_gemm_batched_kernelI19rocblas_complex_numIdELi16ELi16ELi32ELi32ELi8ELi32ELi8ELi8ELi32ELc84ELc67EKPKS2_S5_KPS2_EEvlllT_PT11_llSA_llS8_PT12_llPT13_lli.has_indirect_call, 0
	.section	.AMDGPU.csdata,"",@progbits
; Kernel info:
; codeLenInByte = 2708
; TotalNumSgprs: 54
; NumVgprs: 196
; ScratchSize: 0
; MemoryBound: 0
; FloatMode: 240
; IeeeMode: 1
; LDSByteSize: 8192 bytes/workgroup (compile time only)
; SGPRBlocks: 0
; VGPRBlocks: 12
; NumSGPRsForWavesPerEU: 54
; NumVGPRsForWavesPerEU: 196
; NamedBarCnt: 0
; Occupancy: 4
; WaveLimiterHint : 1
; COMPUTE_PGM_RSRC2:SCRATCH_EN: 0
; COMPUTE_PGM_RSRC2:USER_SGPR: 2
; COMPUTE_PGM_RSRC2:TRAP_HANDLER: 0
; COMPUTE_PGM_RSRC2:TGID_X_EN: 1
; COMPUTE_PGM_RSRC2:TGID_Y_EN: 1
; COMPUTE_PGM_RSRC2:TGID_Z_EN: 1
; COMPUTE_PGM_RSRC2:TIDIG_COMP_CNT: 1
	.section	.text._ZN12_GLOBAL__N_135rocblas_gemm_batched_general_kernelI19rocblas_complex_numIdELi16ELi16ELi32ELi32ELi8ELi32ELi8ELi8ELi32ELc78ELc78EKPKS2_S5_KPS2_EEvlllT_PT11_llSA_llS8_PT12_llPT13_lli,"axG",@progbits,_ZN12_GLOBAL__N_135rocblas_gemm_batched_general_kernelI19rocblas_complex_numIdELi16ELi16ELi32ELi32ELi8ELi32ELi8ELi8ELi32ELc78ELc78EKPKS2_S5_KPS2_EEvlllT_PT11_llSA_llS8_PT12_llPT13_lli,comdat
	.globl	_ZN12_GLOBAL__N_135rocblas_gemm_batched_general_kernelI19rocblas_complex_numIdELi16ELi16ELi32ELi32ELi8ELi32ELi8ELi8ELi32ELc78ELc78EKPKS2_S5_KPS2_EEvlllT_PT11_llSA_llS8_PT12_llPT13_lli ; -- Begin function _ZN12_GLOBAL__N_135rocblas_gemm_batched_general_kernelI19rocblas_complex_numIdELi16ELi16ELi32ELi32ELi8ELi32ELi8ELi8ELi32ELc78ELc78EKPKS2_S5_KPS2_EEvlllT_PT11_llSA_llS8_PT12_llPT13_lli
	.p2align	8
	.type	_ZN12_GLOBAL__N_135rocblas_gemm_batched_general_kernelI19rocblas_complex_numIdELi16ELi16ELi32ELi32ELi8ELi32ELi8ELi8ELi32ELc78ELc78EKPKS2_S5_KPS2_EEvlllT_PT11_llSA_llS8_PT12_llPT13_lli,@function
_ZN12_GLOBAL__N_135rocblas_gemm_batched_general_kernelI19rocblas_complex_numIdELi16ELi16ELi32ELi32ELi8ELi32ELi8ELi8ELi32ELc78ELc78EKPKS2_S5_KPS2_EEvlllT_PT11_llSA_llS8_PT12_llPT13_lli: ; @_ZN12_GLOBAL__N_135rocblas_gemm_batched_general_kernelI19rocblas_complex_numIdELi16ELi16ELi32ELi32ELi8ELi32ELi8ELi8ELi32ELc78ELc78EKPKS2_S5_KPS2_EEvlllT_PT11_llSA_llS8_PT12_llPT13_lli
; %bb.0:
	s_load_b32 s28, s[0:1], 0x98
	s_bfe_u32 s2, ttmp6, 0x40014
	s_lshr_b32 s3, ttmp7, 16
	s_add_co_i32 s2, s2, 1
	s_bfe_u32 s5, ttmp6, 0x40008
	s_mul_i32 s4, s3, s2
	s_getreg_b32 s2, hwreg(HW_REG_IB_STS2, 6, 4)
	s_add_co_i32 s5, s5, s4
	s_cmp_eq_u32 s2, 0
	s_mov_b32 s7, 0
	s_cselect_b32 s6, s3, s5
	s_wait_kmcnt 0x0
	s_cmp_ge_i32 s6, s28
	s_cbranch_scc1 .LBB269_39
; %bb.1:
	v_bfe_u32 v4, v0, 10, 10
	v_and_b32_e32 v14, 0x3ff, v0
	s_clause 0x1
	s_load_b512 s[8:23], s[0:1], 0x0
	s_load_b512 s[36:51], s[0:1], 0x40
	s_bfe_u32 s4, ttmp6, 0x4000c
	s_bfe_u32 s5, ttmp6, 0x40010
	s_add_co_i32 s4, s4, 1
	s_and_b32 s24, ttmp7, 0xffff
	s_add_co_i32 s5, s5, 1
	v_lshl_add_u32 v1, v4, 4, v14
	v_mov_b32_e32 v2, 0
	s_and_b32 s3, ttmp6, 15
	s_mul_i32 s4, ttmp9, s4
	s_mul_i32 s5, s24, s5
	s_bfe_u32 s25, ttmp6, 0x40004
	s_add_co_i32 s3, s3, s4
	s_add_co_i32 s25, s25, s5
	s_cmp_eq_u32 s2, 0
	v_dual_mov_b32 v11, v2 :: v_dual_lshrrev_b32 v10, 3, v1
	v_lshrrev_b32_e32 v6, 5, v1
	s_cselect_b32 s2, s24, s25
	s_cselect_b32 s30, ttmp9, s3
	s_lshl_b32 s2, s2, 5
	s_mov_b32 s3, s7
	s_clause 0x1
	s_load_b64 s[34:35], s[0:1], 0x90
	s_load_b128 s[24:27], s[0:1], 0x80
	v_add_nc_u64_e32 v[16:17], s[2:3], v[10:11]
	v_dual_mov_b32 v7, v2 :: v_dual_mov_b32 v5, v2
	s_ashr_i32 s31, s30, 31
	v_dual_mov_b32 v15, v2 :: v_dual_bitop2_b32 v1, 31, v1 bitop3:0x40
	s_wait_kmcnt 0x0
	s_delay_alu instid0(VALU_DEP_2) | instskip(NEXT) | instid1(VALU_DEP_4)
	v_mul_u64_e32 v[20:21], s[20:21], v[6:7]
	v_mul_u64_e32 v[18:19], s[38:39], v[16:17]
	s_lshl_b64 s[0:1], s[30:31], 5
	s_delay_alu instid0(SALU_CYCLE_1) | instskip(SKIP_2) | instid1(VALU_DEP_3)
	v_dual_mov_b32 v13, s1 :: v_dual_bitop2_b32 v0, 7, v0 bitop3:0x40
	v_add_nc_u64_e32 v[24:25], s[2:3], v[4:5]
	v_dual_lshlrev_b32 v22, 4, v1 :: v_dual_bitop2_b32 v12, s0, v1 bitop3:0x54
	v_dual_mov_b32 v1, v2 :: v_dual_lshlrev_b32 v26, 4, v0
	v_cmp_eq_f64_e64 s5, s[42:43], 0
	v_cmp_eq_f64_e64 s29, s[44:45], 0
	s_delay_alu instid0(VALU_DEP_4) | instskip(NEXT) | instid1(VALU_DEP_4)
	v_cmp_gt_i64_e32 vcc_lo, s[8:9], v[12:13]
	v_lshl_or_b32 v3, v10, 7, v26
	v_mul_u64_e32 v[10:11], s[26:27], v[24:25]
	v_mul_u64_e32 v[12:13], s[48:49], v[24:25]
	v_add_nc_u64_e32 v[8:9], s[0:1], v[14:15]
	v_cmp_gt_i64_e64 s4, s[10:11], v[16:17]
	s_lshl_b64 s[30:31], s[30:31], 9
	s_lshl_b64 s[22:23], s[22:23], 4
	v_dual_mov_b32 v27, v2 :: v_dual_lshlrev_b32 v44, 4, v14
	v_lshl_add_u32 v45, v4, 7, 0x1000
	v_add_nc_u64_e32 v[16:17], 16, v[8:9]
	v_cmp_gt_i64_e64 s1, s[8:9], v[8:9]
	v_add_nc_u64_e32 v[4:5], 16, v[24:25]
	v_mov_b32_e32 v23, v2
	v_cmp_gt_i64_e64 s0, s[10:11], v[24:25]
	v_lshl_or_b32 v42, v6, 9, v22
	v_add_nc_u32_e32 v43, 0x1000, v3
	v_cmp_gt_i64_e64 s2, s[8:9], v[16:17]
	s_lshl_b64 s[8:9], s[40:41], 4
	v_cmp_gt_i64_e64 s3, s[10:11], v[4:5]
	v_lshl_add_u64 v[14:15], v[18:19], 4, s[8:9]
	s_add_nc_u64 s[8:9], s[22:23], s[30:31]
	v_cmp_gt_i64_e64 s30, s[12:13], 0
	v_lshl_add_u64 v[16:17], v[20:21], 4, s[8:9]
	s_lshl_b64 s[8:9], s[26:27], 4
	v_add_nc_u64_e32 v[14:15], v[14:15], v[26:27]
	s_lshl_b64 s[10:11], s[48:49], 4
	s_lshl_b64 s[20:21], s[20:21], 7
	v_add_nc_u64_e32 v[16:17], v[16:17], v[22:23]
	s_xor_b32 s31, vcc_lo, -1
	s_and_b32 s29, s5, s29
	s_xor_b32 s33, s4, -1
	s_lshl_b64 s[4:5], s[34:35], 4
	s_lshl_b64 s[22:23], s[50:51], 4
	s_branch .LBB269_4
.LBB269_2:                              ;   in Loop: Header=BB269_4 Depth=1
	s_wait_xcnt 0x0
	s_or_b32 exec_lo, exec_lo, s26
.LBB269_3:                              ;   in Loop: Header=BB269_4 Depth=1
	s_add_co_i32 s6, s6, 0x10000
	s_delay_alu instid0(SALU_CYCLE_1)
	s_cmp_lt_i32 s6, s28
	s_cbranch_scc0 .LBB269_39
.LBB269_4:                              ; =>This Loop Header: Depth=1
                                        ;     Child Loop BB269_7 Depth 2
	s_wait_xcnt 0x0
	v_mov_b32_e32 v3, s6
	s_and_not1_b32 vcc_lo, exec_lo, s30
	s_clause 0x1
	global_load_b64 v[18:19], v3, s[46:47] scale_offset
	global_load_b64 v[28:29], v3, s[24:25] scale_offset
	s_cbranch_vccnz .LBB269_15
; %bb.5:                                ;   in Loop: Header=BB269_4 Depth=1
	s_lshl_b64 s[26:27], s[6:7], 3
	v_mov_b64_e32 v[22:23], 0
	s_add_nc_u64 s[34:35], s[36:37], s[26:27]
	s_add_nc_u64 s[26:27], s[18:19], s[26:27]
	s_clause 0x1
	global_load_b64 v[4:5], v2, s[34:35]
	global_load_b64 v[34:35], v2, s[26:27]
	v_mov_b64_e32 v[20:21], 0
	v_mov_b64_e32 v[26:27], 0
	;; [unrolled: 1-line block ×6, first 2 shown]
	s_wait_xcnt 0x0
	s_mov_b64 s[26:27], 0
	s_wait_loadcnt 0x1
	v_add_nc_u64_e32 v[38:39], v[4:5], v[14:15]
	s_wait_loadcnt 0x0
	v_add_nc_u64_e32 v[40:41], v[34:35], v[16:17]
	v_mov_b64_e32 v[34:35], 0
	s_branch .LBB269_7
.LBB269_6:                              ;   in Loop: Header=BB269_7 Depth=2
	s_wait_xcnt 0x0
	s_or_b32 exec_lo, exec_lo, s34
	s_wait_dscnt 0x0
	s_barrier_signal -1
	s_barrier_wait -1
	ds_load_b128 v[46:49], v45
	ds_load_b128 v[50:53], v44
	ds_load_b128 v[54:57], v44 offset:256
	ds_load_b128 v[58:61], v45 offset:2048
	;; [unrolled: 1-line block ×10, first 2 shown]
	s_add_nc_u64 s[26:27], s[26:27], 8
	v_add_nc_u64_e32 v[38:39], 0x80, v[38:39]
	v_cmp_lt_i64_e64 s34, s[26:27], s[12:13]
	v_add_nc_u64_e32 v[40:41], s[20:21], v[40:41]
	s_and_b32 vcc_lo, exec_lo, s34
	s_wait_dscnt 0xa
	v_mul_f64_e32 v[4:5], v[48:49], v[52:53]
	v_mul_f64_e32 v[94:95], v[46:47], v[52:53]
	s_wait_dscnt 0x9
	v_mul_f64_e32 v[96:97], v[48:49], v[56:57]
	v_mul_f64_e32 v[98:99], v[46:47], v[56:57]
	s_wait_dscnt 0x8
	v_mul_f64_e32 v[100:101], v[60:61], v[52:53]
	v_mul_f64_e32 v[102:103], v[58:59], v[52:53]
	v_mul_f64_e32 v[52:53], v[60:61], v[56:57]
	v_mul_f64_e32 v[104:105], v[58:59], v[56:57]
	s_wait_dscnt 0x6
	v_mul_f64_e32 v[106:107], v[64:65], v[68:69]
	v_mul_f64_e32 v[108:109], v[62:63], v[68:69]
	s_wait_dscnt 0x5
	v_mul_f64_e32 v[110:111], v[64:65], v[72:73]
	v_mul_f64_e32 v[112:113], v[62:63], v[72:73]
	s_wait_dscnt 0x4
	v_mul_f64_e32 v[114:115], v[76:77], v[68:69]
	v_mul_f64_e32 v[68:69], v[74:75], v[68:69]
	v_mul_f64_e32 v[116:117], v[76:77], v[72:73]
	v_mul_f64_e32 v[72:73], v[74:75], v[72:73]
	;; [unrolled: 11-line block ×3, first 2 shown]
	v_fma_f64 v[4:5], v[46:47], v[50:51], -v[4:5]
	v_fmac_f64_e32 v[94:95], v[48:49], v[50:51]
	v_fma_f64 v[96:97], v[46:47], v[54:55], -v[96:97]
	v_fmac_f64_e32 v[98:99], v[48:49], v[54:55]
	;; [unrolled: 2-line block ×8, first 2 shown]
	ds_load_b128 v[46:49], v45 offset:48
	ds_load_b128 v[50:53], v45 offset:2096
	;; [unrolled: 1-line block ×4, first 2 shown]
	v_fma_f64 v[120:121], v[78:79], v[82:83], -v[120:121]
	v_fmac_f64_e32 v[122:123], v[80:81], v[82:83]
	v_fma_f64 v[78:79], v[78:79], v[86:87], -v[124:125]
	v_fmac_f64_e32 v[126:127], v[80:81], v[86:87]
	;; [unrolled: 2-line block ×4, first 2 shown]
	v_add_f64_e32 v[4:5], v[34:35], v[4:5]
	v_add_f64_e32 v[70:71], v[94:95], v[36:37]
	;; [unrolled: 1-line block ×8, first 2 shown]
	s_wait_dscnt 0x1
	v_mul_f64_e32 v[102:103], v[48:49], v[56:57]
	v_mul_f64_e32 v[104:105], v[46:47], v[56:57]
	s_wait_dscnt 0x0
	v_mul_f64_e32 v[110:111], v[48:49], v[60:61]
	v_mul_f64_e32 v[114:115], v[46:47], v[60:61]
	;; [unrolled: 1-line block ×6, first 2 shown]
	ds_load_b128 v[20:23], v45 offset:64
	ds_load_b128 v[24:27], v44 offset:2048
	;; [unrolled: 1-line block ×4, first 2 shown]
	v_add_f64_e32 v[4:5], v[4:5], v[106:107]
	v_add_f64_e32 v[86:87], v[108:109], v[70:71]
	;; [unrolled: 1-line block ×8, first 2 shown]
	s_wait_dscnt 0x2
	v_mul_f64_e32 v[100:101], v[22:23], v[26:27]
	v_mul_f64_e32 v[106:107], v[20:21], v[26:27]
	s_wait_dscnt 0x1
	v_mul_f64_e32 v[108:109], v[22:23], v[32:33]
	v_mul_f64_e32 v[112:113], v[20:21], v[32:33]
	;; [unrolled: 3-line block ×3, first 2 shown]
	v_mul_f64_e32 v[26:27], v[36:37], v[32:33]
	v_mul_f64_e32 v[130:131], v[34:35], v[32:33]
	v_fma_f64 v[32:33], v[46:47], v[54:55], -v[102:103]
	v_fmac_f64_e32 v[104:105], v[48:49], v[54:55]
	v_fma_f64 v[102:103], v[46:47], v[58:59], -v[110:111]
	v_fmac_f64_e32 v[114:115], v[48:49], v[58:59]
	;; [unrolled: 2-line block ×4, first 2 shown]
	ds_load_b128 v[60:63], v45 offset:80
	ds_load_b128 v[64:67], v45 offset:2128
	;; [unrolled: 1-line block ×4, first 2 shown]
	v_add_f64_e32 v[4:5], v[4:5], v[120:121]
	v_add_f64_e32 v[58:59], v[122:123], v[86:87]
	;; [unrolled: 1-line block ×8, first 2 shown]
	v_fma_f64 v[100:101], v[20:21], v[24:25], -v[100:101]
	v_fmac_f64_e32 v[106:107], v[22:23], v[24:25]
	v_fma_f64 v[108:109], v[20:21], v[30:31], -v[108:109]
	s_wait_dscnt 0x1
	v_mul_f64_e32 v[92:93], v[62:63], v[70:71]
	v_mul_f64_e32 v[94:95], v[60:61], v[70:71]
	s_wait_dscnt 0x0
	v_mul_f64_e32 v[96:97], v[62:63], v[74:75]
	v_mul_f64_e32 v[98:99], v[60:61], v[74:75]
	;; [unrolled: 1-line block ×6, first 2 shown]
	v_fmac_f64_e32 v[112:113], v[22:23], v[30:31]
	v_fma_f64 v[124:125], v[34:35], v[24:25], -v[124:125]
	v_fmac_f64_e32 v[128:129], v[36:37], v[24:25]
	v_fma_f64 v[126:127], v[34:35], v[30:31], -v[26:27]
	v_fmac_f64_e32 v[130:131], v[36:37], v[30:31]
	ds_load_b128 v[46:49], v45 offset:96
	ds_load_b128 v[50:53], v44 offset:3072
	;; [unrolled: 1-line block ×4, first 2 shown]
	v_add_f64_e32 v[4:5], v[4:5], v[32:33]
	v_add_f64_e32 v[58:59], v[104:105], v[58:59]
	;; [unrolled: 1-line block ×8, first 2 shown]
	ds_load_b128 v[20:23], v45 offset:112
	ds_load_b128 v[24:27], v45 offset:2160
	;; [unrolled: 1-line block ×4, first 2 shown]
	s_wait_dscnt 0x0
	v_mul_f64_e32 v[102:103], v[48:49], v[52:53]
	v_mul_f64_e32 v[104:105], v[46:47], v[52:53]
	;; [unrolled: 1-line block ×8, first 2 shown]
	v_fma_f64 v[92:93], v[60:61], v[68:69], -v[92:93]
	v_fmac_f64_e32 v[94:95], v[62:63], v[68:69]
	v_fma_f64 v[60:61], v[60:61], v[72:73], -v[96:97]
	v_fmac_f64_e32 v[98:99], v[62:63], v[72:73]
	;; [unrolled: 2-line block ×4, first 2 shown]
	s_barrier_signal -1
	s_barrier_wait -1
	v_mul_f64_e32 v[96:97], v[20:21], v[36:37]
	v_add_f64_e32 v[4:5], v[4:5], v[100:101]
	v_add_f64_e32 v[58:59], v[106:107], v[58:59]
	;; [unrolled: 1-line block ×8, first 2 shown]
	v_mul_f64_e32 v[86:87], v[22:23], v[32:33]
	v_mul_f64_e32 v[88:89], v[20:21], v[32:33]
	v_mul_f64_e32 v[90:91], v[22:23], v[36:37]
	v_mul_f64_e32 v[100:101], v[26:27], v[32:33]
	v_mul_f64_e32 v[106:107], v[24:25], v[32:33]
	v_mul_f64_e32 v[32:33], v[26:27], v[36:37]
	v_mul_f64_e32 v[108:109], v[24:25], v[36:37]
	v_fma_f64 v[36:37], v[46:47], v[50:51], -v[102:103]
	v_fmac_f64_e32 v[104:105], v[48:49], v[50:51]
	v_fma_f64 v[46:47], v[46:47], v[54:55], -v[110:111]
	v_fmac_f64_e32 v[114:115], v[48:49], v[54:55]
	;; [unrolled: 2-line block ×4, first 2 shown]
	v_fmac_f64_e32 v[96:97], v[22:23], v[34:35]
	v_add_f64_e32 v[4:5], v[4:5], v[92:93]
	v_add_f64_e32 v[54:55], v[94:95], v[58:59]
	;; [unrolled: 1-line block ×8, first 2 shown]
	v_fma_f64 v[70:71], v[20:21], v[30:31], -v[86:87]
	v_fmac_f64_e32 v[88:89], v[22:23], v[30:31]
	v_fma_f64 v[20:21], v[20:21], v[34:35], -v[90:91]
	v_fma_f64 v[22:23], v[24:25], v[30:31], -v[100:101]
	v_fmac_f64_e32 v[106:107], v[26:27], v[30:31]
	v_fma_f64 v[72:73], v[24:25], v[34:35], -v[32:33]
	v_fmac_f64_e32 v[108:109], v[26:27], v[34:35]
	v_add_f64_e32 v[4:5], v[4:5], v[36:37]
	v_add_f64_e32 v[24:25], v[104:105], v[54:55]
	;; [unrolled: 1-line block ×16, first 2 shown]
	s_cbranch_vccz .LBB269_16
.LBB269_7:                              ;   Parent Loop BB269_4 Depth=1
                                        ; =>  This Inner Loop Header: Depth=2
	v_add_nc_u64_e32 v[4:5], s[26:27], v[6:7]
	s_delay_alu instid0(VALU_DEP_1) | instskip(SKIP_1) | instid1(SALU_CYCLE_1)
	v_cmp_le_i64_e32 vcc_lo, s[12:13], v[4:5]
	s_or_b32 s34, s31, vcc_lo
	s_and_saveexec_b32 s35, s34
	s_delay_alu instid0(SALU_CYCLE_1)
	s_xor_b32 s34, exec_lo, s35
; %bb.8:                                ;   in Loop: Header=BB269_7 Depth=2
	v_dual_mov_b32 v3, v2 :: v_dual_mov_b32 v4, v2
	v_mov_b32_e32 v5, v2
	ds_store_b128 v42, v[2:5]
; %bb.9:                                ;   in Loop: Header=BB269_7 Depth=2
	s_and_not1_saveexec_b32 s34, s34
	s_cbranch_execz .LBB269_11
; %bb.10:                               ;   in Loop: Header=BB269_7 Depth=2
	flat_load_b128 v[46:49], v[40:41]
	s_wait_loadcnt_dscnt 0x0
	ds_store_2addr_b64 v42, v[46:47], v[48:49] offset1:1
.LBB269_11:                             ;   in Loop: Header=BB269_7 Depth=2
	s_wait_xcnt 0x0
	s_or_b32 exec_lo, exec_lo, s34
	v_add_nc_u64_e32 v[4:5], s[26:27], v[0:1]
	s_delay_alu instid0(VALU_DEP_1) | instskip(SKIP_1) | instid1(SALU_CYCLE_1)
	v_cmp_le_i64_e32 vcc_lo, s[12:13], v[4:5]
	s_or_b32 s34, vcc_lo, s33
	s_and_saveexec_b32 s35, s34
	s_delay_alu instid0(SALU_CYCLE_1)
	s_xor_b32 s34, exec_lo, s35
; %bb.12:                               ;   in Loop: Header=BB269_7 Depth=2
	v_dual_mov_b32 v3, v2 :: v_dual_mov_b32 v4, v2
	v_mov_b32_e32 v5, v2
	ds_store_b128 v43, v[2:5]
; %bb.13:                               ;   in Loop: Header=BB269_7 Depth=2
	s_and_not1_saveexec_b32 s34, s34
	s_cbranch_execz .LBB269_6
; %bb.14:                               ;   in Loop: Header=BB269_7 Depth=2
	flat_load_b128 v[46:49], v[38:39]
	s_wait_loadcnt_dscnt 0x0
	ds_store_2addr_b64 v43, v[46:47], v[48:49] offset1:1
	s_branch .LBB269_6
.LBB269_15:                             ;   in Loop: Header=BB269_4 Depth=1
	v_mov_b64_e32 v[34:35], 0
	v_mov_b64_e32 v[36:37], 0
	;; [unrolled: 1-line block ×8, first 2 shown]
.LBB269_16:                             ;   in Loop: Header=BB269_4 Depth=1
	s_wait_loadcnt 0x0
	v_add_nc_u64_e32 v[4:5], s[4:5], v[28:29]
	s_and_not1_b32 vcc_lo, exec_lo, s29
	s_mov_b32 s26, -1
	s_cbranch_vccz .LBB269_18
; %bb.17:                               ;   in Loop: Header=BB269_4 Depth=1
	s_and_not1_b32 vcc_lo, exec_lo, s26
	s_cbranch_vccnz .LBB269_3
	s_branch .LBB269_29
.LBB269_18:                             ;   in Loop: Header=BB269_4 Depth=1
	s_wait_xcnt 0x0
	s_and_saveexec_b32 s26, s0
	s_cbranch_execz .LBB269_28
; %bb.19:                               ;   in Loop: Header=BB269_4 Depth=1
	v_lshl_add_u64 v[28:29], v[10:11], 4, v[4:5]
	s_delay_alu instid0(VALU_DEP_1)
	v_lshl_add_u64 v[38:39], v[8:9], 4, v[28:29]
	s_and_saveexec_b32 s27, s1
	s_cbranch_execnz .LBB269_22
; %bb.20:                               ;   in Loop: Header=BB269_4 Depth=1
	s_or_b32 exec_lo, exec_lo, s27
	s_and_saveexec_b32 s27, s2
	s_cbranch_execnz .LBB269_23
.LBB269_21:                             ;   in Loop: Header=BB269_4 Depth=1
	s_or_b32 exec_lo, exec_lo, s27
	s_delay_alu instid0(SALU_CYCLE_1)
	s_and_b32 exec_lo, exec_lo, s3
	s_cbranch_execnz .LBB269_24
	s_branch .LBB269_28
.LBB269_22:                             ;   in Loop: Header=BB269_4 Depth=1
	v_mul_f64_e32 v[40:41], s[16:17], v[36:37]
	v_mul_f64_e32 v[48:49], s[14:15], v[36:37]
	s_delay_alu instid0(VALU_DEP_2) | instskip(NEXT) | instid1(VALU_DEP_2)
	v_fma_f64 v[46:47], s[14:15], v[34:35], -v[40:41]
	v_fmac_f64_e32 v[48:49], s[16:17], v[34:35]
	flat_store_b128 v[38:39], v[46:49]
	s_wait_xcnt 0x0
	s_or_b32 exec_lo, exec_lo, s27
	s_and_saveexec_b32 s27, s2
	s_cbranch_execz .LBB269_21
.LBB269_23:                             ;   in Loop: Header=BB269_4 Depth=1
	v_mul_f64_e32 v[40:41], s[16:17], v[32:33]
	v_mul_f64_e32 v[48:49], s[14:15], v[32:33]
	s_delay_alu instid0(VALU_DEP_2) | instskip(NEXT) | instid1(VALU_DEP_2)
	v_fma_f64 v[46:47], s[14:15], v[30:31], -v[40:41]
	v_fmac_f64_e32 v[48:49], s[16:17], v[30:31]
	flat_store_b128 v[38:39], v[46:49] offset:256
	s_wait_xcnt 0x0
	s_or_b32 exec_lo, exec_lo, s27
	s_delay_alu instid0(SALU_CYCLE_1)
	s_and_b32 exec_lo, exec_lo, s3
	s_cbranch_execz .LBB269_28
.LBB269_24:                             ;   in Loop: Header=BB269_4 Depth=1
	v_lshl_add_u64 v[28:29], s[8:9], 4, v[28:29]
	s_delay_alu instid0(VALU_DEP_1)
	v_lshl_add_u64 v[28:29], v[8:9], 4, v[28:29]
	s_and_saveexec_b32 s27, s1
	s_cbranch_execz .LBB269_26
; %bb.25:                               ;   in Loop: Header=BB269_4 Depth=1
	v_mul_f64_e32 v[38:39], s[16:17], v[26:27]
	v_mul_f64_e32 v[40:41], s[14:15], v[26:27]
	s_delay_alu instid0(VALU_DEP_2) | instskip(NEXT) | instid1(VALU_DEP_2)
	v_fma_f64 v[38:39], s[14:15], v[24:25], -v[38:39]
	v_fmac_f64_e32 v[40:41], s[16:17], v[24:25]
	flat_store_b128 v[28:29], v[38:41]
.LBB269_26:                             ;   in Loop: Header=BB269_4 Depth=1
	s_wait_xcnt 0x0
	s_or_b32 exec_lo, exec_lo, s27
	s_delay_alu instid0(SALU_CYCLE_1)
	s_and_b32 exec_lo, exec_lo, s2
	s_cbranch_execz .LBB269_28
; %bb.27:                               ;   in Loop: Header=BB269_4 Depth=1
	v_mul_f64_e32 v[38:39], s[16:17], v[22:23]
	v_mul_f64_e32 v[40:41], s[14:15], v[22:23]
	s_delay_alu instid0(VALU_DEP_2) | instskip(NEXT) | instid1(VALU_DEP_2)
	v_fma_f64 v[38:39], s[14:15], v[20:21], -v[38:39]
	v_fmac_f64_e32 v[40:41], s[16:17], v[20:21]
	flat_store_b128 v[28:29], v[38:41] offset:256
.LBB269_28:                             ;   in Loop: Header=BB269_4 Depth=1
	s_wait_xcnt 0x0
	s_or_b32 exec_lo, exec_lo, s26
	s_cbranch_execnz .LBB269_3
.LBB269_29:                             ;   in Loop: Header=BB269_4 Depth=1
	s_wait_xcnt 0x0
	s_and_saveexec_b32 s26, s0
	s_cbranch_execz .LBB269_2
; %bb.30:                               ;   in Loop: Header=BB269_4 Depth=1
	v_add_nc_u64_e32 v[28:29], s[22:23], v[18:19]
	v_lshlrev_b64_e32 v[18:19], 4, v[8:9]
	v_lshl_add_u64 v[4:5], v[10:11], 4, v[4:5]
	s_delay_alu instid0(VALU_DEP_3) | instskip(NEXT) | instid1(VALU_DEP_2)
	v_lshl_add_u64 v[28:29], v[12:13], 4, v[28:29]
	v_add_nc_u64_e32 v[38:39], v[4:5], v[18:19]
	s_delay_alu instid0(VALU_DEP_2)
	v_add_nc_u64_e32 v[40:41], v[28:29], v[18:19]
	s_and_saveexec_b32 s27, s1
	s_cbranch_execnz .LBB269_33
; %bb.31:                               ;   in Loop: Header=BB269_4 Depth=1
	s_or_b32 exec_lo, exec_lo, s27
	s_and_saveexec_b32 s27, s2
	s_cbranch_execnz .LBB269_34
.LBB269_32:                             ;   in Loop: Header=BB269_4 Depth=1
	s_or_b32 exec_lo, exec_lo, s27
	s_delay_alu instid0(SALU_CYCLE_1)
	s_and_b32 exec_lo, exec_lo, s3
	s_cbranch_execz .LBB269_2
	s_branch .LBB269_35
.LBB269_33:                             ;   in Loop: Header=BB269_4 Depth=1
	flat_load_b128 v[46:49], v[40:41]
	v_mul_f64_e32 v[50:51], s[16:17], v[36:37]
	v_mul_f64_e32 v[36:37], s[14:15], v[36:37]
	s_delay_alu instid0(VALU_DEP_2) | instskip(NEXT) | instid1(VALU_DEP_2)
	v_fma_f64 v[50:51], s[14:15], v[34:35], -v[50:51]
	v_fmac_f64_e32 v[36:37], s[16:17], v[34:35]
	s_wait_loadcnt_dscnt 0x0
	v_mul_f64_e32 v[52:53], s[44:45], v[48:49]
	v_mul_f64_e32 v[48:49], s[42:43], v[48:49]
	s_delay_alu instid0(VALU_DEP_2) | instskip(NEXT) | instid1(VALU_DEP_2)
	v_fma_f64 v[34:35], s[42:43], v[46:47], -v[52:53]
	v_fmac_f64_e32 v[48:49], s[44:45], v[46:47]
	s_delay_alu instid0(VALU_DEP_2) | instskip(NEXT) | instid1(VALU_DEP_2)
	v_add_f64_e32 v[34:35], v[50:51], v[34:35]
	v_add_f64_e32 v[36:37], v[36:37], v[48:49]
	flat_store_b128 v[38:39], v[34:37]
	s_wait_xcnt 0x0
	s_or_b32 exec_lo, exec_lo, s27
	s_and_saveexec_b32 s27, s2
	s_cbranch_execz .LBB269_32
.LBB269_34:                             ;   in Loop: Header=BB269_4 Depth=1
	flat_load_b128 v[34:37], v[40:41] offset:256
	s_wait_xcnt 0x0
	v_mul_f64_e32 v[40:41], s[16:17], v[32:33]
	v_mul_f64_e32 v[32:33], s[14:15], v[32:33]
	s_delay_alu instid0(VALU_DEP_2) | instskip(NEXT) | instid1(VALU_DEP_2)
	v_fma_f64 v[40:41], s[14:15], v[30:31], -v[40:41]
	v_fmac_f64_e32 v[32:33], s[16:17], v[30:31]
	s_wait_loadcnt_dscnt 0x0
	v_mul_f64_e32 v[46:47], s[44:45], v[36:37]
	v_mul_f64_e32 v[36:37], s[42:43], v[36:37]
	s_delay_alu instid0(VALU_DEP_2) | instskip(NEXT) | instid1(VALU_DEP_2)
	v_fma_f64 v[30:31], s[42:43], v[34:35], -v[46:47]
	v_fmac_f64_e32 v[36:37], s[44:45], v[34:35]
	s_delay_alu instid0(VALU_DEP_2) | instskip(NEXT) | instid1(VALU_DEP_2)
	v_add_f64_e32 v[30:31], v[40:41], v[30:31]
	v_add_f64_e32 v[32:33], v[32:33], v[36:37]
	flat_store_b128 v[38:39], v[30:33] offset:256
	s_wait_xcnt 0x0
	s_or_b32 exec_lo, exec_lo, s27
	s_delay_alu instid0(SALU_CYCLE_1)
	s_and_b32 exec_lo, exec_lo, s3
	s_cbranch_execz .LBB269_2
.LBB269_35:                             ;   in Loop: Header=BB269_4 Depth=1
	v_lshl_add_u64 v[28:29], s[10:11], 4, v[28:29]
	v_lshl_add_u64 v[4:5], s[8:9], 4, v[4:5]
	s_delay_alu instid0(VALU_DEP_2) | instskip(NEXT) | instid1(VALU_DEP_2)
	v_add_nc_u64_e32 v[28:29], v[28:29], v[18:19]
	v_add_nc_u64_e32 v[4:5], v[4:5], v[18:19]
	s_and_saveexec_b32 s27, s1
	s_cbranch_execz .LBB269_37
; %bb.36:                               ;   in Loop: Header=BB269_4 Depth=1
	flat_load_b128 v[30:33], v[28:29]
	v_mul_f64_e32 v[18:19], s[16:17], v[26:27]
	v_mul_f64_e32 v[26:27], s[14:15], v[26:27]
	s_delay_alu instid0(VALU_DEP_2) | instskip(NEXT) | instid1(VALU_DEP_2)
	v_fma_f64 v[18:19], s[14:15], v[24:25], -v[18:19]
	v_fmac_f64_e32 v[26:27], s[16:17], v[24:25]
	s_wait_loadcnt_dscnt 0x0
	v_mul_f64_e32 v[34:35], s[44:45], v[32:33]
	v_mul_f64_e32 v[32:33], s[42:43], v[32:33]
	s_delay_alu instid0(VALU_DEP_2) | instskip(NEXT) | instid1(VALU_DEP_2)
	v_fma_f64 v[24:25], s[42:43], v[30:31], -v[34:35]
	v_fmac_f64_e32 v[32:33], s[44:45], v[30:31]
	s_delay_alu instid0(VALU_DEP_2) | instskip(NEXT) | instid1(VALU_DEP_2)
	v_add_f64_e32 v[24:25], v[18:19], v[24:25]
	v_add_f64_e32 v[26:27], v[26:27], v[32:33]
	flat_store_b128 v[4:5], v[24:27]
.LBB269_37:                             ;   in Loop: Header=BB269_4 Depth=1
	s_wait_xcnt 0x0
	s_or_b32 exec_lo, exec_lo, s27
	s_delay_alu instid0(SALU_CYCLE_1)
	s_and_b32 exec_lo, exec_lo, s2
	s_cbranch_execz .LBB269_2
; %bb.38:                               ;   in Loop: Header=BB269_4 Depth=1
	flat_load_b128 v[24:27], v[28:29] offset:256
	v_mul_f64_e32 v[18:19], s[16:17], v[22:23]
	v_mul_f64_e32 v[22:23], s[14:15], v[22:23]
	s_delay_alu instid0(VALU_DEP_2) | instskip(NEXT) | instid1(VALU_DEP_2)
	v_fma_f64 v[18:19], s[14:15], v[20:21], -v[18:19]
	v_fmac_f64_e32 v[22:23], s[16:17], v[20:21]
	s_wait_loadcnt_dscnt 0x0
	v_mul_f64_e32 v[28:29], s[44:45], v[26:27]
	v_mul_f64_e32 v[26:27], s[42:43], v[26:27]
	s_delay_alu instid0(VALU_DEP_2) | instskip(NEXT) | instid1(VALU_DEP_2)
	v_fma_f64 v[20:21], s[42:43], v[24:25], -v[28:29]
	v_fmac_f64_e32 v[26:27], s[44:45], v[24:25]
	s_delay_alu instid0(VALU_DEP_2) | instskip(NEXT) | instid1(VALU_DEP_2)
	v_add_f64_e32 v[18:19], v[18:19], v[20:21]
	v_add_f64_e32 v[20:21], v[22:23], v[26:27]
	flat_store_b128 v[4:5], v[18:21] offset:256
	s_branch .LBB269_2
.LBB269_39:
	s_sendmsg sendmsg(MSG_DEALLOC_VGPRS)
	s_endpgm
	.section	.rodata,"a",@progbits
	.p2align	6, 0x0
	.amdhsa_kernel _ZN12_GLOBAL__N_135rocblas_gemm_batched_general_kernelI19rocblas_complex_numIdELi16ELi16ELi32ELi32ELi8ELi32ELi8ELi8ELi32ELc78ELc78EKPKS2_S5_KPS2_EEvlllT_PT11_llSA_llS8_PT12_llPT13_lli
		.amdhsa_group_segment_fixed_size 8192
		.amdhsa_private_segment_fixed_size 0
		.amdhsa_kernarg_size 156
		.amdhsa_user_sgpr_count 2
		.amdhsa_user_sgpr_dispatch_ptr 0
		.amdhsa_user_sgpr_queue_ptr 0
		.amdhsa_user_sgpr_kernarg_segment_ptr 1
		.amdhsa_user_sgpr_dispatch_id 0
		.amdhsa_user_sgpr_kernarg_preload_length 0
		.amdhsa_user_sgpr_kernarg_preload_offset 0
		.amdhsa_user_sgpr_private_segment_size 0
		.amdhsa_wavefront_size32 1
		.amdhsa_uses_dynamic_stack 0
		.amdhsa_enable_private_segment 0
		.amdhsa_system_sgpr_workgroup_id_x 1
		.amdhsa_system_sgpr_workgroup_id_y 1
		.amdhsa_system_sgpr_workgroup_id_z 1
		.amdhsa_system_sgpr_workgroup_info 0
		.amdhsa_system_vgpr_workitem_id 1
		.amdhsa_next_free_vgpr 134
		.amdhsa_next_free_sgpr 52
		.amdhsa_named_barrier_count 0
		.amdhsa_reserve_vcc 1
		.amdhsa_float_round_mode_32 0
		.amdhsa_float_round_mode_16_64 0
		.amdhsa_float_denorm_mode_32 3
		.amdhsa_float_denorm_mode_16_64 3
		.amdhsa_fp16_overflow 0
		.amdhsa_memory_ordered 1
		.amdhsa_forward_progress 1
		.amdhsa_inst_pref_size 25
		.amdhsa_round_robin_scheduling 0
		.amdhsa_exception_fp_ieee_invalid_op 0
		.amdhsa_exception_fp_denorm_src 0
		.amdhsa_exception_fp_ieee_div_zero 0
		.amdhsa_exception_fp_ieee_overflow 0
		.amdhsa_exception_fp_ieee_underflow 0
		.amdhsa_exception_fp_ieee_inexact 0
		.amdhsa_exception_int_div_zero 0
	.end_amdhsa_kernel
	.section	.text._ZN12_GLOBAL__N_135rocblas_gemm_batched_general_kernelI19rocblas_complex_numIdELi16ELi16ELi32ELi32ELi8ELi32ELi8ELi8ELi32ELc78ELc78EKPKS2_S5_KPS2_EEvlllT_PT11_llSA_llS8_PT12_llPT13_lli,"axG",@progbits,_ZN12_GLOBAL__N_135rocblas_gemm_batched_general_kernelI19rocblas_complex_numIdELi16ELi16ELi32ELi32ELi8ELi32ELi8ELi8ELi32ELc78ELc78EKPKS2_S5_KPS2_EEvlllT_PT11_llSA_llS8_PT12_llPT13_lli,comdat
.Lfunc_end269:
	.size	_ZN12_GLOBAL__N_135rocblas_gemm_batched_general_kernelI19rocblas_complex_numIdELi16ELi16ELi32ELi32ELi8ELi32ELi8ELi8ELi32ELc78ELc78EKPKS2_S5_KPS2_EEvlllT_PT11_llSA_llS8_PT12_llPT13_lli, .Lfunc_end269-_ZN12_GLOBAL__N_135rocblas_gemm_batched_general_kernelI19rocblas_complex_numIdELi16ELi16ELi32ELi32ELi8ELi32ELi8ELi8ELi32ELc78ELc78EKPKS2_S5_KPS2_EEvlllT_PT11_llSA_llS8_PT12_llPT13_lli
                                        ; -- End function
	.set _ZN12_GLOBAL__N_135rocblas_gemm_batched_general_kernelI19rocblas_complex_numIdELi16ELi16ELi32ELi32ELi8ELi32ELi8ELi8ELi32ELc78ELc78EKPKS2_S5_KPS2_EEvlllT_PT11_llSA_llS8_PT12_llPT13_lli.num_vgpr, 134
	.set _ZN12_GLOBAL__N_135rocblas_gemm_batched_general_kernelI19rocblas_complex_numIdELi16ELi16ELi32ELi32ELi8ELi32ELi8ELi8ELi32ELc78ELc78EKPKS2_S5_KPS2_EEvlllT_PT11_llSA_llS8_PT12_llPT13_lli.num_agpr, 0
	.set _ZN12_GLOBAL__N_135rocblas_gemm_batched_general_kernelI19rocblas_complex_numIdELi16ELi16ELi32ELi32ELi8ELi32ELi8ELi8ELi32ELc78ELc78EKPKS2_S5_KPS2_EEvlllT_PT11_llSA_llS8_PT12_llPT13_lli.numbered_sgpr, 52
	.set _ZN12_GLOBAL__N_135rocblas_gemm_batched_general_kernelI19rocblas_complex_numIdELi16ELi16ELi32ELi32ELi8ELi32ELi8ELi8ELi32ELc78ELc78EKPKS2_S5_KPS2_EEvlllT_PT11_llSA_llS8_PT12_llPT13_lli.num_named_barrier, 0
	.set _ZN12_GLOBAL__N_135rocblas_gemm_batched_general_kernelI19rocblas_complex_numIdELi16ELi16ELi32ELi32ELi8ELi32ELi8ELi8ELi32ELc78ELc78EKPKS2_S5_KPS2_EEvlllT_PT11_llSA_llS8_PT12_llPT13_lli.private_seg_size, 0
	.set _ZN12_GLOBAL__N_135rocblas_gemm_batched_general_kernelI19rocblas_complex_numIdELi16ELi16ELi32ELi32ELi8ELi32ELi8ELi8ELi32ELc78ELc78EKPKS2_S5_KPS2_EEvlllT_PT11_llSA_llS8_PT12_llPT13_lli.uses_vcc, 1
	.set _ZN12_GLOBAL__N_135rocblas_gemm_batched_general_kernelI19rocblas_complex_numIdELi16ELi16ELi32ELi32ELi8ELi32ELi8ELi8ELi32ELc78ELc78EKPKS2_S5_KPS2_EEvlllT_PT11_llSA_llS8_PT12_llPT13_lli.uses_flat_scratch, 0
	.set _ZN12_GLOBAL__N_135rocblas_gemm_batched_general_kernelI19rocblas_complex_numIdELi16ELi16ELi32ELi32ELi8ELi32ELi8ELi8ELi32ELc78ELc78EKPKS2_S5_KPS2_EEvlllT_PT11_llSA_llS8_PT12_llPT13_lli.has_dyn_sized_stack, 0
	.set _ZN12_GLOBAL__N_135rocblas_gemm_batched_general_kernelI19rocblas_complex_numIdELi16ELi16ELi32ELi32ELi8ELi32ELi8ELi8ELi32ELc78ELc78EKPKS2_S5_KPS2_EEvlllT_PT11_llSA_llS8_PT12_llPT13_lli.has_recursion, 0
	.set _ZN12_GLOBAL__N_135rocblas_gemm_batched_general_kernelI19rocblas_complex_numIdELi16ELi16ELi32ELi32ELi8ELi32ELi8ELi8ELi32ELc78ELc78EKPKS2_S5_KPS2_EEvlllT_PT11_llSA_llS8_PT12_llPT13_lli.has_indirect_call, 0
	.section	.AMDGPU.csdata,"",@progbits
; Kernel info:
; codeLenInByte = 3088
; TotalNumSgprs: 54
; NumVgprs: 134
; ScratchSize: 0
; MemoryBound: 0
; FloatMode: 240
; IeeeMode: 1
; LDSByteSize: 8192 bytes/workgroup (compile time only)
; SGPRBlocks: 0
; VGPRBlocks: 8
; NumSGPRsForWavesPerEU: 54
; NumVGPRsForWavesPerEU: 134
; NamedBarCnt: 0
; Occupancy: 7
; WaveLimiterHint : 1
; COMPUTE_PGM_RSRC2:SCRATCH_EN: 0
; COMPUTE_PGM_RSRC2:USER_SGPR: 2
; COMPUTE_PGM_RSRC2:TRAP_HANDLER: 0
; COMPUTE_PGM_RSRC2:TGID_X_EN: 1
; COMPUTE_PGM_RSRC2:TGID_Y_EN: 1
; COMPUTE_PGM_RSRC2:TGID_Z_EN: 1
; COMPUTE_PGM_RSRC2:TIDIG_COMP_CNT: 1
	.section	.text._ZN12_GLOBAL__N_135rocblas_gemm_batched_general_kernelI19rocblas_complex_numIdELi16ELi16ELi32ELi32ELi8ELi32ELi8ELi8ELi32ELc84ELc78EKPKS2_S5_KPS2_EEvlllT_PT11_llSA_llS8_PT12_llPT13_lli,"axG",@progbits,_ZN12_GLOBAL__N_135rocblas_gemm_batched_general_kernelI19rocblas_complex_numIdELi16ELi16ELi32ELi32ELi8ELi32ELi8ELi8ELi32ELc84ELc78EKPKS2_S5_KPS2_EEvlllT_PT11_llSA_llS8_PT12_llPT13_lli,comdat
	.globl	_ZN12_GLOBAL__N_135rocblas_gemm_batched_general_kernelI19rocblas_complex_numIdELi16ELi16ELi32ELi32ELi8ELi32ELi8ELi8ELi32ELc84ELc78EKPKS2_S5_KPS2_EEvlllT_PT11_llSA_llS8_PT12_llPT13_lli ; -- Begin function _ZN12_GLOBAL__N_135rocblas_gemm_batched_general_kernelI19rocblas_complex_numIdELi16ELi16ELi32ELi32ELi8ELi32ELi8ELi8ELi32ELc84ELc78EKPKS2_S5_KPS2_EEvlllT_PT11_llSA_llS8_PT12_llPT13_lli
	.p2align	8
	.type	_ZN12_GLOBAL__N_135rocblas_gemm_batched_general_kernelI19rocblas_complex_numIdELi16ELi16ELi32ELi32ELi8ELi32ELi8ELi8ELi32ELc84ELc78EKPKS2_S5_KPS2_EEvlllT_PT11_llSA_llS8_PT12_llPT13_lli,@function
_ZN12_GLOBAL__N_135rocblas_gemm_batched_general_kernelI19rocblas_complex_numIdELi16ELi16ELi32ELi32ELi8ELi32ELi8ELi8ELi32ELc84ELc78EKPKS2_S5_KPS2_EEvlllT_PT11_llSA_llS8_PT12_llPT13_lli: ; @_ZN12_GLOBAL__N_135rocblas_gemm_batched_general_kernelI19rocblas_complex_numIdELi16ELi16ELi32ELi32ELi8ELi32ELi8ELi8ELi32ELc84ELc78EKPKS2_S5_KPS2_EEvlllT_PT11_llSA_llS8_PT12_llPT13_lli
; %bb.0:
	s_load_b32 s28, s[0:1], 0x98
	s_bfe_u32 s2, ttmp6, 0x40014
	s_lshr_b32 s3, ttmp7, 16
	s_add_co_i32 s2, s2, 1
	s_bfe_u32 s5, ttmp6, 0x40008
	s_mul_i32 s4, s3, s2
	s_getreg_b32 s2, hwreg(HW_REG_IB_STS2, 6, 4)
	s_add_co_i32 s5, s5, s4
	s_cmp_eq_u32 s2, 0
	s_mov_b32 s7, 0
	s_cselect_b32 s6, s3, s5
	s_wait_kmcnt 0x0
	s_cmp_ge_i32 s6, s28
	s_cbranch_scc1 .LBB270_39
; %bb.1:
	v_bfe_u32 v4, v0, 10, 10
	v_and_b32_e32 v14, 0x3ff, v0
	s_clause 0x1
	s_load_b512 s[8:23], s[0:1], 0x0
	s_load_b512 s[36:51], s[0:1], 0x40
	s_bfe_u32 s3, ttmp6, 0x4000c
	s_bfe_u32 s5, ttmp6, 0x40010
	s_add_co_i32 s3, s3, 1
	s_and_b32 s24, ttmp7, 0xffff
	s_add_co_i32 s5, s5, 1
	v_lshl_add_u32 v1, v4, 4, v14
	v_mov_b32_e32 v2, 0
	s_and_b32 s4, ttmp6, 15
	s_mul_i32 s3, ttmp9, s3
	s_mul_i32 s5, s24, s5
	s_bfe_u32 s25, ttmp6, 0x40004
	s_add_co_i32 s4, s4, s3
	s_add_co_i32 s25, s25, s5
	s_cmp_eq_u32 s2, 0
	v_dual_lshrrev_b32 v10, 3, v1 :: v_dual_bitop2_b32 v3, 31, v1 bitop3:0x40
	v_mov_b32_e32 v11, v2
	s_cselect_b32 s3, s24, s25
	s_cselect_b32 s2, ttmp9, s4
	s_lshl_b32 s4, s3, 5
	s_mov_b32 s5, s7
	s_ashr_i32 s3, s2, 31
	v_add_nc_u64_e32 v[16:17], s[4:5], v[10:11]
	s_load_b128 s[24:27], s[0:1], 0x80
	s_lshl_b64 s[2:3], s[2:3], 5
	v_dual_mov_b32 v5, v2 :: v_dual_bitop2_b32 v0, 7, v0 bitop3:0x40
	v_dual_mov_b32 v19, s3 :: v_dual_bitop2_b32 v18, s2, v3 bitop3:0x54
	s_wait_kmcnt 0x0
	s_delay_alu instid0(VALU_DEP_3) | instskip(NEXT) | instid1(VALU_DEP_3)
	v_mul_u64_e32 v[20:21], s[38:39], v[16:17]
	v_add_nc_u64_e32 v[24:25], s[4:5], v[4:5]
	v_dual_mov_b32 v7, v2 :: v_dual_lshlrev_b32 v26, 4, v0
	v_mul_u64_e32 v[22:23], s[20:21], v[18:19]
	v_dual_mov_b32 v15, v2 :: v_dual_lshrrev_b32 v6, 5, v1
	v_cmp_eq_f64_e64 s29, s[42:43], 0
	v_cmp_eq_f64_e64 s30, s[44:45], 0
	s_load_b64 s[20:21], s[0:1], 0x90
	v_lshl_or_b32 v5, v10, 7, v26
	v_mul_u64_e32 v[12:13], s[48:49], v[24:25]
	v_add_nc_u64_e32 v[8:9], s[2:3], v[14:15]
	v_cmp_gt_i64_e64 s4, s[10:11], v[16:17]
	v_mul_u64_e32 v[10:11], s[26:27], v[24:25]
	v_cmp_gt_i64_e32 vcc_lo, s[8:9], v[18:19]
	v_add_nc_u32_e32 v43, 0x1000, v5
	v_dual_mov_b32 v27, v2 :: v_dual_lshlrev_b32 v44, 4, v14
	v_add_nc_u64_e32 v[16:17], 16, v[8:9]
	s_wait_xcnt 0x0
	v_cmp_gt_i64_e64 s1, s[8:9], v[8:9]
	v_lshl_add_u32 v45, v4, 7, 0x1000
	v_add_nc_u64_e32 v[4:5], 16, v[24:25]
	v_dual_mov_b32 v19, v2 :: v_dual_lshlrev_b32 v18, 4, v6
	v_dual_mov_b32 v1, v2 :: v_dual_lshlrev_b32 v3, 4, v3
	v_cmp_gt_i64_e64 s2, s[8:9], v[16:17]
	s_lshl_b64 s[8:9], s[40:41], 4
	v_cmp_gt_i64_e64 s0, s[10:11], v[24:25]
	v_cmp_gt_i64_e64 s3, s[10:11], v[4:5]
	v_lshl_or_b32 v42, v6, 9, v3
	v_lshl_add_u64 v[14:15], v[20:21], 4, s[8:9]
	s_lshl_b64 s[8:9], s[22:23], 4
	s_lshl_b64 s[10:11], s[48:49], 4
	v_lshl_add_u64 v[16:17], v[22:23], 4, s[8:9]
	s_lshl_b64 s[8:9], s[26:27], 4
	v_add_nc_u64_e32 v[14:15], v[14:15], v[26:27]
	v_cmp_gt_i64_e64 s26, s[12:13], 0
	s_and_b32 s29, s29, s30
	v_add_nc_u64_e32 v[16:17], v[16:17], v[18:19]
	s_xor_b32 s27, vcc_lo, -1
	s_xor_b32 s30, s4, -1
	s_wait_kmcnt 0x0
	s_lshl_b64 s[4:5], s[20:21], 4
	s_lshl_b64 s[20:21], s[50:51], 4
	s_branch .LBB270_4
.LBB270_2:                              ;   in Loop: Header=BB270_4 Depth=1
	s_wait_xcnt 0x0
	s_or_b32 exec_lo, exec_lo, s22
.LBB270_3:                              ;   in Loop: Header=BB270_4 Depth=1
	s_add_co_i32 s6, s6, 0x10000
	s_delay_alu instid0(SALU_CYCLE_1)
	s_cmp_lt_i32 s6, s28
	s_cbranch_scc0 .LBB270_39
.LBB270_4:                              ; =>This Loop Header: Depth=1
                                        ;     Child Loop BB270_7 Depth 2
	s_wait_xcnt 0x0
	v_mov_b32_e32 v3, s6
	s_and_not1_b32 vcc_lo, exec_lo, s26
	s_clause 0x1
	global_load_b64 v[18:19], v3, s[46:47] scale_offset
	global_load_b64 v[28:29], v3, s[24:25] scale_offset
	s_cbranch_vccnz .LBB270_15
; %bb.5:                                ;   in Loop: Header=BB270_4 Depth=1
	s_lshl_b64 s[22:23], s[6:7], 3
	v_mov_b64_e32 v[22:23], 0
	s_add_nc_u64 s[34:35], s[36:37], s[22:23]
	s_add_nc_u64 s[22:23], s[18:19], s[22:23]
	s_clause 0x1
	global_load_b64 v[4:5], v2, s[34:35]
	global_load_b64 v[34:35], v2, s[22:23]
	v_mov_b64_e32 v[20:21], 0
	v_mov_b64_e32 v[26:27], 0
	;; [unrolled: 1-line block ×6, first 2 shown]
	s_wait_xcnt 0x0
	s_mov_b64 s[22:23], 0
	s_wait_loadcnt 0x1
	v_add_nc_u64_e32 v[38:39], v[4:5], v[14:15]
	s_wait_loadcnt 0x0
	v_add_nc_u64_e32 v[40:41], v[34:35], v[16:17]
	v_mov_b64_e32 v[34:35], 0
	s_branch .LBB270_7
.LBB270_6:                              ;   in Loop: Header=BB270_7 Depth=2
	s_wait_xcnt 0x0
	s_or_b32 exec_lo, exec_lo, s31
	s_wait_dscnt 0x0
	s_barrier_signal -1
	s_barrier_wait -1
	ds_load_b128 v[46:49], v45
	ds_load_b128 v[50:53], v44
	ds_load_b128 v[54:57], v44 offset:256
	ds_load_b128 v[58:61], v45 offset:2048
	;; [unrolled: 1-line block ×10, first 2 shown]
	s_add_nc_u64 s[22:23], s[22:23], 8
	v_add_nc_u64_e32 v[38:39], 0x80, v[38:39]
	v_cmp_lt_i64_e64 s31, s[22:23], s[12:13]
	v_add_nc_u64_e32 v[40:41], 0x80, v[40:41]
	s_and_b32 vcc_lo, exec_lo, s31
	s_wait_dscnt 0xa
	v_mul_f64_e32 v[4:5], v[48:49], v[52:53]
	v_mul_f64_e32 v[94:95], v[46:47], v[52:53]
	s_wait_dscnt 0x9
	v_mul_f64_e32 v[96:97], v[48:49], v[56:57]
	v_mul_f64_e32 v[98:99], v[46:47], v[56:57]
	s_wait_dscnt 0x8
	v_mul_f64_e32 v[100:101], v[60:61], v[52:53]
	v_mul_f64_e32 v[102:103], v[58:59], v[52:53]
	v_mul_f64_e32 v[52:53], v[60:61], v[56:57]
	v_mul_f64_e32 v[104:105], v[58:59], v[56:57]
	s_wait_dscnt 0x6
	v_mul_f64_e32 v[106:107], v[64:65], v[68:69]
	v_mul_f64_e32 v[108:109], v[62:63], v[68:69]
	s_wait_dscnt 0x5
	v_mul_f64_e32 v[110:111], v[64:65], v[72:73]
	v_mul_f64_e32 v[112:113], v[62:63], v[72:73]
	s_wait_dscnt 0x4
	v_mul_f64_e32 v[114:115], v[76:77], v[68:69]
	v_mul_f64_e32 v[68:69], v[74:75], v[68:69]
	v_mul_f64_e32 v[116:117], v[76:77], v[72:73]
	v_mul_f64_e32 v[72:73], v[74:75], v[72:73]
	;; [unrolled: 11-line block ×3, first 2 shown]
	v_fma_f64 v[4:5], v[46:47], v[50:51], -v[4:5]
	v_fmac_f64_e32 v[94:95], v[48:49], v[50:51]
	v_fma_f64 v[96:97], v[46:47], v[54:55], -v[96:97]
	v_fmac_f64_e32 v[98:99], v[48:49], v[54:55]
	;; [unrolled: 2-line block ×8, first 2 shown]
	ds_load_b128 v[46:49], v45 offset:48
	ds_load_b128 v[50:53], v45 offset:2096
	;; [unrolled: 1-line block ×4, first 2 shown]
	v_fma_f64 v[120:121], v[78:79], v[82:83], -v[120:121]
	v_fmac_f64_e32 v[122:123], v[80:81], v[82:83]
	v_fma_f64 v[78:79], v[78:79], v[86:87], -v[124:125]
	v_fmac_f64_e32 v[126:127], v[80:81], v[86:87]
	;; [unrolled: 2-line block ×4, first 2 shown]
	v_add_f64_e32 v[4:5], v[34:35], v[4:5]
	v_add_f64_e32 v[70:71], v[94:95], v[36:37]
	;; [unrolled: 1-line block ×8, first 2 shown]
	s_wait_dscnt 0x1
	v_mul_f64_e32 v[102:103], v[48:49], v[56:57]
	v_mul_f64_e32 v[104:105], v[46:47], v[56:57]
	s_wait_dscnt 0x0
	v_mul_f64_e32 v[110:111], v[48:49], v[60:61]
	v_mul_f64_e32 v[114:115], v[46:47], v[60:61]
	;; [unrolled: 1-line block ×6, first 2 shown]
	ds_load_b128 v[20:23], v45 offset:64
	ds_load_b128 v[24:27], v44 offset:2048
	;; [unrolled: 1-line block ×4, first 2 shown]
	v_add_f64_e32 v[4:5], v[4:5], v[106:107]
	v_add_f64_e32 v[86:87], v[108:109], v[70:71]
	;; [unrolled: 1-line block ×8, first 2 shown]
	s_wait_dscnt 0x2
	v_mul_f64_e32 v[100:101], v[22:23], v[26:27]
	v_mul_f64_e32 v[106:107], v[20:21], v[26:27]
	s_wait_dscnt 0x1
	v_mul_f64_e32 v[108:109], v[22:23], v[32:33]
	v_mul_f64_e32 v[112:113], v[20:21], v[32:33]
	s_wait_dscnt 0x0
	v_mul_f64_e32 v[124:125], v[36:37], v[26:27]
	v_mul_f64_e32 v[128:129], v[34:35], v[26:27]
	v_mul_f64_e32 v[26:27], v[36:37], v[32:33]
	v_mul_f64_e32 v[130:131], v[34:35], v[32:33]
	v_fma_f64 v[32:33], v[46:47], v[54:55], -v[102:103]
	v_fmac_f64_e32 v[104:105], v[48:49], v[54:55]
	v_fma_f64 v[102:103], v[46:47], v[58:59], -v[110:111]
	v_fmac_f64_e32 v[114:115], v[48:49], v[58:59]
	;; [unrolled: 2-line block ×4, first 2 shown]
	ds_load_b128 v[60:63], v45 offset:80
	ds_load_b128 v[64:67], v45 offset:2128
	;; [unrolled: 1-line block ×4, first 2 shown]
	v_add_f64_e32 v[4:5], v[4:5], v[120:121]
	v_add_f64_e32 v[58:59], v[122:123], v[86:87]
	;; [unrolled: 1-line block ×8, first 2 shown]
	v_fma_f64 v[100:101], v[20:21], v[24:25], -v[100:101]
	v_fmac_f64_e32 v[106:107], v[22:23], v[24:25]
	v_fma_f64 v[108:109], v[20:21], v[30:31], -v[108:109]
	s_wait_dscnt 0x1
	v_mul_f64_e32 v[92:93], v[62:63], v[70:71]
	v_mul_f64_e32 v[94:95], v[60:61], v[70:71]
	s_wait_dscnt 0x0
	v_mul_f64_e32 v[96:97], v[62:63], v[74:75]
	v_mul_f64_e32 v[98:99], v[60:61], v[74:75]
	;; [unrolled: 1-line block ×6, first 2 shown]
	v_fmac_f64_e32 v[112:113], v[22:23], v[30:31]
	v_fma_f64 v[124:125], v[34:35], v[24:25], -v[124:125]
	v_fmac_f64_e32 v[128:129], v[36:37], v[24:25]
	v_fma_f64 v[126:127], v[34:35], v[30:31], -v[26:27]
	v_fmac_f64_e32 v[130:131], v[36:37], v[30:31]
	ds_load_b128 v[46:49], v45 offset:96
	ds_load_b128 v[50:53], v44 offset:3072
	;; [unrolled: 1-line block ×4, first 2 shown]
	v_add_f64_e32 v[4:5], v[4:5], v[32:33]
	v_add_f64_e32 v[58:59], v[104:105], v[58:59]
	;; [unrolled: 1-line block ×8, first 2 shown]
	ds_load_b128 v[20:23], v45 offset:112
	ds_load_b128 v[24:27], v45 offset:2160
	;; [unrolled: 1-line block ×4, first 2 shown]
	s_wait_dscnt 0x0
	v_mul_f64_e32 v[102:103], v[48:49], v[52:53]
	v_mul_f64_e32 v[104:105], v[46:47], v[52:53]
	;; [unrolled: 1-line block ×8, first 2 shown]
	v_fma_f64 v[92:93], v[60:61], v[68:69], -v[92:93]
	v_fmac_f64_e32 v[94:95], v[62:63], v[68:69]
	v_fma_f64 v[60:61], v[60:61], v[72:73], -v[96:97]
	v_fmac_f64_e32 v[98:99], v[62:63], v[72:73]
	;; [unrolled: 2-line block ×4, first 2 shown]
	s_barrier_signal -1
	s_barrier_wait -1
	v_mul_f64_e32 v[96:97], v[20:21], v[36:37]
	v_add_f64_e32 v[4:5], v[4:5], v[100:101]
	v_add_f64_e32 v[58:59], v[106:107], v[58:59]
	;; [unrolled: 1-line block ×8, first 2 shown]
	v_mul_f64_e32 v[86:87], v[22:23], v[32:33]
	v_mul_f64_e32 v[88:89], v[20:21], v[32:33]
	;; [unrolled: 1-line block ×7, first 2 shown]
	v_fma_f64 v[36:37], v[46:47], v[50:51], -v[102:103]
	v_fmac_f64_e32 v[104:105], v[48:49], v[50:51]
	v_fma_f64 v[46:47], v[46:47], v[54:55], -v[110:111]
	v_fmac_f64_e32 v[114:115], v[48:49], v[54:55]
	;; [unrolled: 2-line block ×4, first 2 shown]
	v_fmac_f64_e32 v[96:97], v[22:23], v[34:35]
	v_add_f64_e32 v[4:5], v[4:5], v[92:93]
	v_add_f64_e32 v[54:55], v[94:95], v[58:59]
	;; [unrolled: 1-line block ×8, first 2 shown]
	v_fma_f64 v[70:71], v[20:21], v[30:31], -v[86:87]
	v_fmac_f64_e32 v[88:89], v[22:23], v[30:31]
	v_fma_f64 v[20:21], v[20:21], v[34:35], -v[90:91]
	v_fma_f64 v[22:23], v[24:25], v[30:31], -v[100:101]
	v_fmac_f64_e32 v[106:107], v[26:27], v[30:31]
	v_fma_f64 v[72:73], v[24:25], v[34:35], -v[32:33]
	v_fmac_f64_e32 v[108:109], v[26:27], v[34:35]
	v_add_f64_e32 v[4:5], v[4:5], v[36:37]
	v_add_f64_e32 v[24:25], v[104:105], v[54:55]
	;; [unrolled: 1-line block ×16, first 2 shown]
	s_cbranch_vccz .LBB270_16
.LBB270_7:                              ;   Parent Loop BB270_4 Depth=1
                                        ; =>  This Inner Loop Header: Depth=2
	v_add_nc_u64_e32 v[4:5], s[22:23], v[6:7]
	s_delay_alu instid0(VALU_DEP_1) | instskip(SKIP_1) | instid1(SALU_CYCLE_1)
	v_cmp_le_i64_e32 vcc_lo, s[12:13], v[4:5]
	s_or_b32 s31, s27, vcc_lo
	s_and_saveexec_b32 s33, s31
	s_delay_alu instid0(SALU_CYCLE_1)
	s_xor_b32 s31, exec_lo, s33
; %bb.8:                                ;   in Loop: Header=BB270_7 Depth=2
	v_dual_mov_b32 v3, v2 :: v_dual_mov_b32 v4, v2
	v_mov_b32_e32 v5, v2
	ds_store_b128 v42, v[2:5]
; %bb.9:                                ;   in Loop: Header=BB270_7 Depth=2
	s_and_not1_saveexec_b32 s31, s31
	s_cbranch_execz .LBB270_11
; %bb.10:                               ;   in Loop: Header=BB270_7 Depth=2
	flat_load_b128 v[46:49], v[40:41]
	s_wait_loadcnt_dscnt 0x0
	ds_store_2addr_b64 v42, v[46:47], v[48:49] offset1:1
.LBB270_11:                             ;   in Loop: Header=BB270_7 Depth=2
	s_wait_xcnt 0x0
	s_or_b32 exec_lo, exec_lo, s31
	v_add_nc_u64_e32 v[4:5], s[22:23], v[0:1]
	s_delay_alu instid0(VALU_DEP_1) | instskip(SKIP_1) | instid1(SALU_CYCLE_1)
	v_cmp_le_i64_e32 vcc_lo, s[12:13], v[4:5]
	s_or_b32 s31, vcc_lo, s30
	s_and_saveexec_b32 s33, s31
	s_delay_alu instid0(SALU_CYCLE_1)
	s_xor_b32 s31, exec_lo, s33
; %bb.12:                               ;   in Loop: Header=BB270_7 Depth=2
	v_dual_mov_b32 v3, v2 :: v_dual_mov_b32 v4, v2
	v_mov_b32_e32 v5, v2
	ds_store_b128 v43, v[2:5]
; %bb.13:                               ;   in Loop: Header=BB270_7 Depth=2
	s_and_not1_saveexec_b32 s31, s31
	s_cbranch_execz .LBB270_6
; %bb.14:                               ;   in Loop: Header=BB270_7 Depth=2
	flat_load_b128 v[46:49], v[38:39]
	s_wait_loadcnt_dscnt 0x0
	ds_store_2addr_b64 v43, v[46:47], v[48:49] offset1:1
	s_branch .LBB270_6
.LBB270_15:                             ;   in Loop: Header=BB270_4 Depth=1
	v_mov_b64_e32 v[34:35], 0
	v_mov_b64_e32 v[36:37], 0
	;; [unrolled: 1-line block ×8, first 2 shown]
.LBB270_16:                             ;   in Loop: Header=BB270_4 Depth=1
	s_wait_loadcnt 0x0
	v_add_nc_u64_e32 v[4:5], s[4:5], v[28:29]
	s_and_not1_b32 vcc_lo, exec_lo, s29
	s_mov_b32 s22, -1
	s_cbranch_vccz .LBB270_18
; %bb.17:                               ;   in Loop: Header=BB270_4 Depth=1
	s_and_not1_b32 vcc_lo, exec_lo, s22
	s_cbranch_vccnz .LBB270_3
	s_branch .LBB270_29
.LBB270_18:                             ;   in Loop: Header=BB270_4 Depth=1
	s_wait_xcnt 0x0
	s_and_saveexec_b32 s22, s0
	s_cbranch_execz .LBB270_28
; %bb.19:                               ;   in Loop: Header=BB270_4 Depth=1
	v_lshl_add_u64 v[28:29], v[10:11], 4, v[4:5]
	s_delay_alu instid0(VALU_DEP_1)
	v_lshl_add_u64 v[38:39], v[8:9], 4, v[28:29]
	s_and_saveexec_b32 s23, s1
	s_cbranch_execnz .LBB270_22
; %bb.20:                               ;   in Loop: Header=BB270_4 Depth=1
	s_or_b32 exec_lo, exec_lo, s23
	s_and_saveexec_b32 s23, s2
	s_cbranch_execnz .LBB270_23
.LBB270_21:                             ;   in Loop: Header=BB270_4 Depth=1
	s_or_b32 exec_lo, exec_lo, s23
	s_delay_alu instid0(SALU_CYCLE_1)
	s_and_b32 exec_lo, exec_lo, s3
	s_cbranch_execnz .LBB270_24
	s_branch .LBB270_28
.LBB270_22:                             ;   in Loop: Header=BB270_4 Depth=1
	v_mul_f64_e32 v[40:41], s[16:17], v[36:37]
	v_mul_f64_e32 v[48:49], s[14:15], v[36:37]
	s_delay_alu instid0(VALU_DEP_2) | instskip(NEXT) | instid1(VALU_DEP_2)
	v_fma_f64 v[46:47], s[14:15], v[34:35], -v[40:41]
	v_fmac_f64_e32 v[48:49], s[16:17], v[34:35]
	flat_store_b128 v[38:39], v[46:49]
	s_wait_xcnt 0x0
	s_or_b32 exec_lo, exec_lo, s23
	s_and_saveexec_b32 s23, s2
	s_cbranch_execz .LBB270_21
.LBB270_23:                             ;   in Loop: Header=BB270_4 Depth=1
	v_mul_f64_e32 v[40:41], s[16:17], v[32:33]
	v_mul_f64_e32 v[48:49], s[14:15], v[32:33]
	s_delay_alu instid0(VALU_DEP_2) | instskip(NEXT) | instid1(VALU_DEP_2)
	v_fma_f64 v[46:47], s[14:15], v[30:31], -v[40:41]
	v_fmac_f64_e32 v[48:49], s[16:17], v[30:31]
	flat_store_b128 v[38:39], v[46:49] offset:256
	s_wait_xcnt 0x0
	s_or_b32 exec_lo, exec_lo, s23
	s_delay_alu instid0(SALU_CYCLE_1)
	s_and_b32 exec_lo, exec_lo, s3
	s_cbranch_execz .LBB270_28
.LBB270_24:                             ;   in Loop: Header=BB270_4 Depth=1
	v_lshl_add_u64 v[28:29], s[8:9], 4, v[28:29]
	s_delay_alu instid0(VALU_DEP_1)
	v_lshl_add_u64 v[28:29], v[8:9], 4, v[28:29]
	s_and_saveexec_b32 s23, s1
	s_cbranch_execz .LBB270_26
; %bb.25:                               ;   in Loop: Header=BB270_4 Depth=1
	v_mul_f64_e32 v[38:39], s[16:17], v[26:27]
	v_mul_f64_e32 v[40:41], s[14:15], v[26:27]
	s_delay_alu instid0(VALU_DEP_2) | instskip(NEXT) | instid1(VALU_DEP_2)
	v_fma_f64 v[38:39], s[14:15], v[24:25], -v[38:39]
	v_fmac_f64_e32 v[40:41], s[16:17], v[24:25]
	flat_store_b128 v[28:29], v[38:41]
.LBB270_26:                             ;   in Loop: Header=BB270_4 Depth=1
	s_wait_xcnt 0x0
	s_or_b32 exec_lo, exec_lo, s23
	s_delay_alu instid0(SALU_CYCLE_1)
	s_and_b32 exec_lo, exec_lo, s2
	s_cbranch_execz .LBB270_28
; %bb.27:                               ;   in Loop: Header=BB270_4 Depth=1
	v_mul_f64_e32 v[38:39], s[16:17], v[22:23]
	v_mul_f64_e32 v[40:41], s[14:15], v[22:23]
	s_delay_alu instid0(VALU_DEP_2) | instskip(NEXT) | instid1(VALU_DEP_2)
	v_fma_f64 v[38:39], s[14:15], v[20:21], -v[38:39]
	v_fmac_f64_e32 v[40:41], s[16:17], v[20:21]
	flat_store_b128 v[28:29], v[38:41] offset:256
.LBB270_28:                             ;   in Loop: Header=BB270_4 Depth=1
	s_wait_xcnt 0x0
	s_or_b32 exec_lo, exec_lo, s22
	s_cbranch_execnz .LBB270_3
.LBB270_29:                             ;   in Loop: Header=BB270_4 Depth=1
	s_wait_xcnt 0x0
	s_and_saveexec_b32 s22, s0
	s_cbranch_execz .LBB270_2
; %bb.30:                               ;   in Loop: Header=BB270_4 Depth=1
	v_add_nc_u64_e32 v[28:29], s[20:21], v[18:19]
	v_lshlrev_b64_e32 v[18:19], 4, v[8:9]
	v_lshl_add_u64 v[4:5], v[10:11], 4, v[4:5]
	s_delay_alu instid0(VALU_DEP_3) | instskip(NEXT) | instid1(VALU_DEP_2)
	v_lshl_add_u64 v[28:29], v[12:13], 4, v[28:29]
	v_add_nc_u64_e32 v[38:39], v[4:5], v[18:19]
	s_delay_alu instid0(VALU_DEP_2)
	v_add_nc_u64_e32 v[40:41], v[28:29], v[18:19]
	s_and_saveexec_b32 s23, s1
	s_cbranch_execnz .LBB270_33
; %bb.31:                               ;   in Loop: Header=BB270_4 Depth=1
	s_or_b32 exec_lo, exec_lo, s23
	s_and_saveexec_b32 s23, s2
	s_cbranch_execnz .LBB270_34
.LBB270_32:                             ;   in Loop: Header=BB270_4 Depth=1
	s_or_b32 exec_lo, exec_lo, s23
	s_delay_alu instid0(SALU_CYCLE_1)
	s_and_b32 exec_lo, exec_lo, s3
	s_cbranch_execz .LBB270_2
	s_branch .LBB270_35
.LBB270_33:                             ;   in Loop: Header=BB270_4 Depth=1
	flat_load_b128 v[46:49], v[40:41]
	v_mul_f64_e32 v[50:51], s[16:17], v[36:37]
	v_mul_f64_e32 v[36:37], s[14:15], v[36:37]
	s_delay_alu instid0(VALU_DEP_2) | instskip(NEXT) | instid1(VALU_DEP_2)
	v_fma_f64 v[50:51], s[14:15], v[34:35], -v[50:51]
	v_fmac_f64_e32 v[36:37], s[16:17], v[34:35]
	s_wait_loadcnt_dscnt 0x0
	v_mul_f64_e32 v[52:53], s[44:45], v[48:49]
	v_mul_f64_e32 v[48:49], s[42:43], v[48:49]
	s_delay_alu instid0(VALU_DEP_2) | instskip(NEXT) | instid1(VALU_DEP_2)
	v_fma_f64 v[34:35], s[42:43], v[46:47], -v[52:53]
	v_fmac_f64_e32 v[48:49], s[44:45], v[46:47]
	s_delay_alu instid0(VALU_DEP_2) | instskip(NEXT) | instid1(VALU_DEP_2)
	v_add_f64_e32 v[34:35], v[50:51], v[34:35]
	v_add_f64_e32 v[36:37], v[36:37], v[48:49]
	flat_store_b128 v[38:39], v[34:37]
	s_wait_xcnt 0x0
	s_or_b32 exec_lo, exec_lo, s23
	s_and_saveexec_b32 s23, s2
	s_cbranch_execz .LBB270_32
.LBB270_34:                             ;   in Loop: Header=BB270_4 Depth=1
	flat_load_b128 v[34:37], v[40:41] offset:256
	s_wait_xcnt 0x0
	v_mul_f64_e32 v[40:41], s[16:17], v[32:33]
	v_mul_f64_e32 v[32:33], s[14:15], v[32:33]
	s_delay_alu instid0(VALU_DEP_2) | instskip(NEXT) | instid1(VALU_DEP_2)
	v_fma_f64 v[40:41], s[14:15], v[30:31], -v[40:41]
	v_fmac_f64_e32 v[32:33], s[16:17], v[30:31]
	s_wait_loadcnt_dscnt 0x0
	v_mul_f64_e32 v[46:47], s[44:45], v[36:37]
	v_mul_f64_e32 v[36:37], s[42:43], v[36:37]
	s_delay_alu instid0(VALU_DEP_2) | instskip(NEXT) | instid1(VALU_DEP_2)
	v_fma_f64 v[30:31], s[42:43], v[34:35], -v[46:47]
	v_fmac_f64_e32 v[36:37], s[44:45], v[34:35]
	s_delay_alu instid0(VALU_DEP_2) | instskip(NEXT) | instid1(VALU_DEP_2)
	v_add_f64_e32 v[30:31], v[40:41], v[30:31]
	v_add_f64_e32 v[32:33], v[32:33], v[36:37]
	flat_store_b128 v[38:39], v[30:33] offset:256
	s_wait_xcnt 0x0
	s_or_b32 exec_lo, exec_lo, s23
	s_delay_alu instid0(SALU_CYCLE_1)
	s_and_b32 exec_lo, exec_lo, s3
	s_cbranch_execz .LBB270_2
.LBB270_35:                             ;   in Loop: Header=BB270_4 Depth=1
	v_lshl_add_u64 v[28:29], s[10:11], 4, v[28:29]
	v_lshl_add_u64 v[4:5], s[8:9], 4, v[4:5]
	s_delay_alu instid0(VALU_DEP_2) | instskip(NEXT) | instid1(VALU_DEP_2)
	v_add_nc_u64_e32 v[28:29], v[28:29], v[18:19]
	v_add_nc_u64_e32 v[4:5], v[4:5], v[18:19]
	s_and_saveexec_b32 s23, s1
	s_cbranch_execz .LBB270_37
; %bb.36:                               ;   in Loop: Header=BB270_4 Depth=1
	flat_load_b128 v[30:33], v[28:29]
	v_mul_f64_e32 v[18:19], s[16:17], v[26:27]
	v_mul_f64_e32 v[26:27], s[14:15], v[26:27]
	s_delay_alu instid0(VALU_DEP_2) | instskip(NEXT) | instid1(VALU_DEP_2)
	v_fma_f64 v[18:19], s[14:15], v[24:25], -v[18:19]
	v_fmac_f64_e32 v[26:27], s[16:17], v[24:25]
	s_wait_loadcnt_dscnt 0x0
	v_mul_f64_e32 v[34:35], s[44:45], v[32:33]
	v_mul_f64_e32 v[32:33], s[42:43], v[32:33]
	s_delay_alu instid0(VALU_DEP_2) | instskip(NEXT) | instid1(VALU_DEP_2)
	v_fma_f64 v[24:25], s[42:43], v[30:31], -v[34:35]
	v_fmac_f64_e32 v[32:33], s[44:45], v[30:31]
	s_delay_alu instid0(VALU_DEP_2) | instskip(NEXT) | instid1(VALU_DEP_2)
	v_add_f64_e32 v[24:25], v[18:19], v[24:25]
	v_add_f64_e32 v[26:27], v[26:27], v[32:33]
	flat_store_b128 v[4:5], v[24:27]
.LBB270_37:                             ;   in Loop: Header=BB270_4 Depth=1
	s_wait_xcnt 0x0
	s_or_b32 exec_lo, exec_lo, s23
	s_delay_alu instid0(SALU_CYCLE_1)
	s_and_b32 exec_lo, exec_lo, s2
	s_cbranch_execz .LBB270_2
; %bb.38:                               ;   in Loop: Header=BB270_4 Depth=1
	flat_load_b128 v[24:27], v[28:29] offset:256
	v_mul_f64_e32 v[18:19], s[16:17], v[22:23]
	v_mul_f64_e32 v[22:23], s[14:15], v[22:23]
	s_delay_alu instid0(VALU_DEP_2) | instskip(NEXT) | instid1(VALU_DEP_2)
	v_fma_f64 v[18:19], s[14:15], v[20:21], -v[18:19]
	v_fmac_f64_e32 v[22:23], s[16:17], v[20:21]
	s_wait_loadcnt_dscnt 0x0
	v_mul_f64_e32 v[28:29], s[44:45], v[26:27]
	v_mul_f64_e32 v[26:27], s[42:43], v[26:27]
	s_delay_alu instid0(VALU_DEP_2) | instskip(NEXT) | instid1(VALU_DEP_2)
	v_fma_f64 v[20:21], s[42:43], v[24:25], -v[28:29]
	v_fmac_f64_e32 v[26:27], s[44:45], v[24:25]
	s_delay_alu instid0(VALU_DEP_2) | instskip(NEXT) | instid1(VALU_DEP_2)
	v_add_f64_e32 v[18:19], v[18:19], v[20:21]
	v_add_f64_e32 v[20:21], v[22:23], v[26:27]
	flat_store_b128 v[4:5], v[18:21] offset:256
	s_branch .LBB270_2
.LBB270_39:
	s_sendmsg sendmsg(MSG_DEALLOC_VGPRS)
	s_endpgm
	.section	.rodata,"a",@progbits
	.p2align	6, 0x0
	.amdhsa_kernel _ZN12_GLOBAL__N_135rocblas_gemm_batched_general_kernelI19rocblas_complex_numIdELi16ELi16ELi32ELi32ELi8ELi32ELi8ELi8ELi32ELc84ELc78EKPKS2_S5_KPS2_EEvlllT_PT11_llSA_llS8_PT12_llPT13_lli
		.amdhsa_group_segment_fixed_size 8192
		.amdhsa_private_segment_fixed_size 0
		.amdhsa_kernarg_size 156
		.amdhsa_user_sgpr_count 2
		.amdhsa_user_sgpr_dispatch_ptr 0
		.amdhsa_user_sgpr_queue_ptr 0
		.amdhsa_user_sgpr_kernarg_segment_ptr 1
		.amdhsa_user_sgpr_dispatch_id 0
		.amdhsa_user_sgpr_kernarg_preload_length 0
		.amdhsa_user_sgpr_kernarg_preload_offset 0
		.amdhsa_user_sgpr_private_segment_size 0
		.amdhsa_wavefront_size32 1
		.amdhsa_uses_dynamic_stack 0
		.amdhsa_enable_private_segment 0
		.amdhsa_system_sgpr_workgroup_id_x 1
		.amdhsa_system_sgpr_workgroup_id_y 1
		.amdhsa_system_sgpr_workgroup_id_z 1
		.amdhsa_system_sgpr_workgroup_info 0
		.amdhsa_system_vgpr_workitem_id 1
		.amdhsa_next_free_vgpr 134
		.amdhsa_next_free_sgpr 52
		.amdhsa_named_barrier_count 0
		.amdhsa_reserve_vcc 1
		.amdhsa_float_round_mode_32 0
		.amdhsa_float_round_mode_16_64 0
		.amdhsa_float_denorm_mode_32 3
		.amdhsa_float_denorm_mode_16_64 3
		.amdhsa_fp16_overflow 0
		.amdhsa_memory_ordered 1
		.amdhsa_forward_progress 1
		.amdhsa_inst_pref_size 25
		.amdhsa_round_robin_scheduling 0
		.amdhsa_exception_fp_ieee_invalid_op 0
		.amdhsa_exception_fp_denorm_src 0
		.amdhsa_exception_fp_ieee_div_zero 0
		.amdhsa_exception_fp_ieee_overflow 0
		.amdhsa_exception_fp_ieee_underflow 0
		.amdhsa_exception_fp_ieee_inexact 0
		.amdhsa_exception_int_div_zero 0
	.end_amdhsa_kernel
	.section	.text._ZN12_GLOBAL__N_135rocblas_gemm_batched_general_kernelI19rocblas_complex_numIdELi16ELi16ELi32ELi32ELi8ELi32ELi8ELi8ELi32ELc84ELc78EKPKS2_S5_KPS2_EEvlllT_PT11_llSA_llS8_PT12_llPT13_lli,"axG",@progbits,_ZN12_GLOBAL__N_135rocblas_gemm_batched_general_kernelI19rocblas_complex_numIdELi16ELi16ELi32ELi32ELi8ELi32ELi8ELi8ELi32ELc84ELc78EKPKS2_S5_KPS2_EEvlllT_PT11_llSA_llS8_PT12_llPT13_lli,comdat
.Lfunc_end270:
	.size	_ZN12_GLOBAL__N_135rocblas_gemm_batched_general_kernelI19rocblas_complex_numIdELi16ELi16ELi32ELi32ELi8ELi32ELi8ELi8ELi32ELc84ELc78EKPKS2_S5_KPS2_EEvlllT_PT11_llSA_llS8_PT12_llPT13_lli, .Lfunc_end270-_ZN12_GLOBAL__N_135rocblas_gemm_batched_general_kernelI19rocblas_complex_numIdELi16ELi16ELi32ELi32ELi8ELi32ELi8ELi8ELi32ELc84ELc78EKPKS2_S5_KPS2_EEvlllT_PT11_llSA_llS8_PT12_llPT13_lli
                                        ; -- End function
	.set _ZN12_GLOBAL__N_135rocblas_gemm_batched_general_kernelI19rocblas_complex_numIdELi16ELi16ELi32ELi32ELi8ELi32ELi8ELi8ELi32ELc84ELc78EKPKS2_S5_KPS2_EEvlllT_PT11_llSA_llS8_PT12_llPT13_lli.num_vgpr, 134
	.set _ZN12_GLOBAL__N_135rocblas_gemm_batched_general_kernelI19rocblas_complex_numIdELi16ELi16ELi32ELi32ELi8ELi32ELi8ELi8ELi32ELc84ELc78EKPKS2_S5_KPS2_EEvlllT_PT11_llSA_llS8_PT12_llPT13_lli.num_agpr, 0
	.set _ZN12_GLOBAL__N_135rocblas_gemm_batched_general_kernelI19rocblas_complex_numIdELi16ELi16ELi32ELi32ELi8ELi32ELi8ELi8ELi32ELc84ELc78EKPKS2_S5_KPS2_EEvlllT_PT11_llSA_llS8_PT12_llPT13_lli.numbered_sgpr, 52
	.set _ZN12_GLOBAL__N_135rocblas_gemm_batched_general_kernelI19rocblas_complex_numIdELi16ELi16ELi32ELi32ELi8ELi32ELi8ELi8ELi32ELc84ELc78EKPKS2_S5_KPS2_EEvlllT_PT11_llSA_llS8_PT12_llPT13_lli.num_named_barrier, 0
	.set _ZN12_GLOBAL__N_135rocblas_gemm_batched_general_kernelI19rocblas_complex_numIdELi16ELi16ELi32ELi32ELi8ELi32ELi8ELi8ELi32ELc84ELc78EKPKS2_S5_KPS2_EEvlllT_PT11_llSA_llS8_PT12_llPT13_lli.private_seg_size, 0
	.set _ZN12_GLOBAL__N_135rocblas_gemm_batched_general_kernelI19rocblas_complex_numIdELi16ELi16ELi32ELi32ELi8ELi32ELi8ELi8ELi32ELc84ELc78EKPKS2_S5_KPS2_EEvlllT_PT11_llSA_llS8_PT12_llPT13_lli.uses_vcc, 1
	.set _ZN12_GLOBAL__N_135rocblas_gemm_batched_general_kernelI19rocblas_complex_numIdELi16ELi16ELi32ELi32ELi8ELi32ELi8ELi8ELi32ELc84ELc78EKPKS2_S5_KPS2_EEvlllT_PT11_llSA_llS8_PT12_llPT13_lli.uses_flat_scratch, 0
	.set _ZN12_GLOBAL__N_135rocblas_gemm_batched_general_kernelI19rocblas_complex_numIdELi16ELi16ELi32ELi32ELi8ELi32ELi8ELi8ELi32ELc84ELc78EKPKS2_S5_KPS2_EEvlllT_PT11_llSA_llS8_PT12_llPT13_lli.has_dyn_sized_stack, 0
	.set _ZN12_GLOBAL__N_135rocblas_gemm_batched_general_kernelI19rocblas_complex_numIdELi16ELi16ELi32ELi32ELi8ELi32ELi8ELi8ELi32ELc84ELc78EKPKS2_S5_KPS2_EEvlllT_PT11_llSA_llS8_PT12_llPT13_lli.has_recursion, 0
	.set _ZN12_GLOBAL__N_135rocblas_gemm_batched_general_kernelI19rocblas_complex_numIdELi16ELi16ELi32ELi32ELi8ELi32ELi8ELi8ELi32ELc84ELc78EKPKS2_S5_KPS2_EEvlllT_PT11_llSA_llS8_PT12_llPT13_lli.has_indirect_call, 0
	.section	.AMDGPU.csdata,"",@progbits
; Kernel info:
; codeLenInByte = 3080
; TotalNumSgprs: 54
; NumVgprs: 134
; ScratchSize: 0
; MemoryBound: 0
; FloatMode: 240
; IeeeMode: 1
; LDSByteSize: 8192 bytes/workgroup (compile time only)
; SGPRBlocks: 0
; VGPRBlocks: 8
; NumSGPRsForWavesPerEU: 54
; NumVGPRsForWavesPerEU: 134
; NamedBarCnt: 0
; Occupancy: 7
; WaveLimiterHint : 1
; COMPUTE_PGM_RSRC2:SCRATCH_EN: 0
; COMPUTE_PGM_RSRC2:USER_SGPR: 2
; COMPUTE_PGM_RSRC2:TRAP_HANDLER: 0
; COMPUTE_PGM_RSRC2:TGID_X_EN: 1
; COMPUTE_PGM_RSRC2:TGID_Y_EN: 1
; COMPUTE_PGM_RSRC2:TGID_Z_EN: 1
; COMPUTE_PGM_RSRC2:TIDIG_COMP_CNT: 1
	.section	.text._ZN12_GLOBAL__N_135rocblas_gemm_batched_general_kernelI19rocblas_complex_numIdELi16ELi16ELi32ELi32ELi8ELi32ELi8ELi8ELi32ELc78ELc84EKPKS2_S5_KPS2_EEvlllT_PT11_llSA_llS8_PT12_llPT13_lli,"axG",@progbits,_ZN12_GLOBAL__N_135rocblas_gemm_batched_general_kernelI19rocblas_complex_numIdELi16ELi16ELi32ELi32ELi8ELi32ELi8ELi8ELi32ELc78ELc84EKPKS2_S5_KPS2_EEvlllT_PT11_llSA_llS8_PT12_llPT13_lli,comdat
	.globl	_ZN12_GLOBAL__N_135rocblas_gemm_batched_general_kernelI19rocblas_complex_numIdELi16ELi16ELi32ELi32ELi8ELi32ELi8ELi8ELi32ELc78ELc84EKPKS2_S5_KPS2_EEvlllT_PT11_llSA_llS8_PT12_llPT13_lli ; -- Begin function _ZN12_GLOBAL__N_135rocblas_gemm_batched_general_kernelI19rocblas_complex_numIdELi16ELi16ELi32ELi32ELi8ELi32ELi8ELi8ELi32ELc78ELc84EKPKS2_S5_KPS2_EEvlllT_PT11_llSA_llS8_PT12_llPT13_lli
	.p2align	8
	.type	_ZN12_GLOBAL__N_135rocblas_gemm_batched_general_kernelI19rocblas_complex_numIdELi16ELi16ELi32ELi32ELi8ELi32ELi8ELi8ELi32ELc78ELc84EKPKS2_S5_KPS2_EEvlllT_PT11_llSA_llS8_PT12_llPT13_lli,@function
_ZN12_GLOBAL__N_135rocblas_gemm_batched_general_kernelI19rocblas_complex_numIdELi16ELi16ELi32ELi32ELi8ELi32ELi8ELi8ELi32ELc78ELc84EKPKS2_S5_KPS2_EEvlllT_PT11_llSA_llS8_PT12_llPT13_lli: ; @_ZN12_GLOBAL__N_135rocblas_gemm_batched_general_kernelI19rocblas_complex_numIdELi16ELi16ELi32ELi32ELi8ELi32ELi8ELi8ELi32ELc78ELc84EKPKS2_S5_KPS2_EEvlllT_PT11_llSA_llS8_PT12_llPT13_lli
; %bb.0:
	s_load_b32 s30, s[0:1], 0x98
	s_bfe_u32 s2, ttmp6, 0x40014
	s_lshr_b32 s3, ttmp7, 16
	s_add_co_i32 s2, s2, 1
	s_bfe_u32 s5, ttmp6, 0x40008
	s_mul_i32 s4, s3, s2
	s_getreg_b32 s2, hwreg(HW_REG_IB_STS2, 6, 4)
	s_add_co_i32 s5, s5, s4
	s_cmp_eq_u32 s2, 0
	s_mov_b32 s7, 0
	s_cselect_b32 s6, s3, s5
	s_wait_kmcnt 0x0
	s_cmp_ge_i32 s6, s30
	s_cbranch_scc1 .LBB271_39
; %bb.1:
	s_clause 0x3
	s_load_b512 s[8:23], s[0:1], 0x40
	s_load_b512 s[36:51], s[0:1], 0x0
	s_load_b64 s[28:29], s[0:1], 0x90
	s_load_b128 s[24:27], s[0:1], 0x80
	v_bfe_u32 v4, v0, 10, 10
	v_and_b32_e32 v10, 0x3ff, v0
	s_wait_xcnt 0x0
	s_bfe_u32 s1, ttmp6, 0x4000c
	s_bfe_u32 s4, ttmp6, 0x40010
	s_and_b32 s3, ttmp7, 0xffff
	s_add_co_i32 s1, s1, 1
	v_lshl_add_u32 v3, v4, 4, v10
	v_mov_b32_e32 v2, 0
	s_add_co_i32 s4, s4, 1
	s_and_b32 s0, ttmp6, 15
	s_bfe_u32 s5, ttmp6, 0x40004
	s_mul_i32 s1, ttmp9, s1
	s_mul_i32 s4, s3, s4
	v_and_b32_e32 v5, 31, v3
	s_add_co_i32 s0, s0, s1
	s_add_co_i32 s5, s5, s4
	v_dual_mov_b32 v1, v2 :: v_dual_bitop2_b32 v0, 7, v0 bitop3:0x40
	s_cmp_eq_u32 s2, 0
	v_dual_mov_b32 v7, v2 :: v_dual_lshrrev_b32 v6, 5, v3
	s_cselect_b32 s34, ttmp9, s0
	s_cselect_b32 s5, s3, s5
	s_ashr_i32 s35, s34, 31
	s_wait_kmcnt 0x0
	v_mul_u64_e32 v[16:17], s[10:11], v[0:1]
	s_lshl_b64 s[0:1], s[34:35], 5
	v_dual_mov_b32 v15, v2 :: v_dual_lshrrev_b32 v14, 3, v3
	v_dual_mov_b32 v9, s1 :: v_dual_bitop2_b32 v8, s0, v5 bitop3:0x54
	v_dual_lshlrev_b32 v3, 4, v0 :: v_dual_lshlrev_b32 v20, 4, v5
	v_mul_u64_e32 v[18:19], s[48:49], v[6:7]
	v_dual_mov_b32 v5, v2 :: v_dual_mov_b32 v11, v2
	s_lshl_b32 s2, s5, 5
	s_mov_b32 s3, s7
	v_cmp_eq_f64_e64 s31, s[14:15], 0
	v_cmp_eq_f64_e64 s33, s[16:17], 0
	v_add_nc_u64_e32 v[12:13], s[2:3], v[14:15]
	v_add_nc_u64_e32 v[22:23], s[2:3], v[4:5]
	v_cmp_gt_i64_e32 vcc_lo, s[36:37], v[8:9]
	v_add_nc_u64_e32 v[8:9], s[0:1], v[10:11]
	v_dual_mov_b32 v21, v2 :: v_dual_lshlrev_b32 v44, 4, v10
	v_lshl_add_u32 v45, v4, 7, 0x1000
	v_cmp_gt_i64_e64 s4, s[38:39], v[12:13]
	v_mul_u64_e32 v[10:11], s[26:27], v[22:23]
	v_mul_u64_e32 v[12:13], s[20:21], v[22:23]
	v_add_nc_u64_e32 v[4:5], 16, v[8:9]
	s_lshl_b32 s52, s5, 9
	s_mov_b32 s53, s7
	s_lshl_b64 s[12:13], s[12:13], 4
	v_cmp_gt_i64_e64 s0, s[38:39], v[22:23]
	s_add_nc_u64 s[12:13], s[12:13], s[52:53]
	v_add_nc_u64_e32 v[22:23], 16, v[22:23]
	v_cmp_gt_i64_e64 s2, s[36:37], v[4:5]
	v_lshl_add_u64 v[4:5], v[16:17], 4, s[12:13]
	s_lshl_b64 s[12:13], s[34:35], 9
	s_lshl_b64 s[34:35], s[50:51], 4
	v_lshl_or_b32 v3, v14, 7, v3
	s_add_nc_u64 s[12:13], s[34:35], s[12:13]
	v_lshlrev_b32_e32 v14, 4, v14
	v_cmp_gt_i64_e64 s1, s[36:37], v[8:9]
	v_lshl_add_u64 v[16:17], v[18:19], 4, s[12:13]
	v_cmp_gt_i64_e64 s3, s[38:39], v[22:23]
	v_lshl_or_b32 v42, v6, 9, v20
	v_add_nc_u64_e32 v[14:15], v[4:5], v[14:15]
	v_add_nc_u32_e32 v43, 0x1000, v3
	v_add_nc_u64_e32 v[16:17], v[16:17], v[20:21]
	s_and_b32 s31, s31, s33
	v_cmp_gt_i64_e64 s33, s[40:41], 0
	s_lshl_b64 s[12:13], s[26:27], 4
	s_lshl_b64 s[20:21], s[20:21], 4
	;; [unrolled: 1-line block ×4, first 2 shown]
	s_xor_b32 s34, vcc_lo, -1
	s_xor_b32 s35, s4, -1
	s_lshl_b64 s[4:5], s[28:29], 4
	s_lshl_b64 s[22:23], s[22:23], 4
	s_branch .LBB271_4
.LBB271_2:                              ;   in Loop: Header=BB271_4 Depth=1
	s_wait_xcnt 0x0
	s_or_b32 exec_lo, exec_lo, s28
.LBB271_3:                              ;   in Loop: Header=BB271_4 Depth=1
	s_add_co_i32 s6, s6, 0x10000
	s_delay_alu instid0(SALU_CYCLE_1)
	s_cmp_lt_i32 s6, s30
	s_cbranch_scc0 .LBB271_39
.LBB271_4:                              ; =>This Loop Header: Depth=1
                                        ;     Child Loop BB271_7 Depth 2
	s_wait_xcnt 0x0
	v_mov_b32_e32 v3, s6
	s_and_not1_b32 vcc_lo, exec_lo, s33
	s_clause 0x1
	global_load_b64 v[18:19], v3, s[18:19] scale_offset
	global_load_b64 v[28:29], v3, s[24:25] scale_offset
	s_cbranch_vccnz .LBB271_15
; %bb.5:                                ;   in Loop: Header=BB271_4 Depth=1
	s_lshl_b64 s[28:29], s[6:7], 3
	v_mov_b64_e32 v[22:23], 0
	s_add_nc_u64 s[36:37], s[8:9], s[28:29]
	s_add_nc_u64 s[28:29], s[46:47], s[28:29]
	s_clause 0x1
	global_load_b64 v[4:5], v2, s[36:37]
	global_load_b64 v[34:35], v2, s[28:29]
	v_mov_b64_e32 v[20:21], 0
	v_mov_b64_e32 v[26:27], 0
	;; [unrolled: 1-line block ×6, first 2 shown]
	s_wait_xcnt 0x0
	s_mov_b64 s[28:29], 0
	s_wait_loadcnt 0x1
	v_add_nc_u64_e32 v[38:39], v[4:5], v[14:15]
	s_wait_loadcnt 0x0
	v_add_nc_u64_e32 v[40:41], v[34:35], v[16:17]
	v_mov_b64_e32 v[34:35], 0
	s_branch .LBB271_7
.LBB271_6:                              ;   in Loop: Header=BB271_7 Depth=2
	s_wait_xcnt 0x0
	s_or_b32 exec_lo, exec_lo, s36
	s_wait_dscnt 0x0
	s_barrier_signal -1
	s_barrier_wait -1
	ds_load_b128 v[46:49], v45
	ds_load_b128 v[50:53], v44
	ds_load_b128 v[54:57], v44 offset:256
	ds_load_b128 v[58:61], v45 offset:2048
	;; [unrolled: 1-line block ×10, first 2 shown]
	s_add_nc_u64 s[28:29], s[28:29], 8
	v_add_nc_u64_e32 v[38:39], s[10:11], v[38:39]
	v_cmp_lt_i64_e64 s36, s[28:29], s[40:41]
	v_add_nc_u64_e32 v[40:41], s[26:27], v[40:41]
	s_and_b32 vcc_lo, exec_lo, s36
	s_wait_dscnt 0xa
	v_mul_f64_e32 v[4:5], v[48:49], v[52:53]
	v_mul_f64_e32 v[94:95], v[46:47], v[52:53]
	s_wait_dscnt 0x9
	v_mul_f64_e32 v[96:97], v[48:49], v[56:57]
	v_mul_f64_e32 v[98:99], v[46:47], v[56:57]
	s_wait_dscnt 0x8
	v_mul_f64_e32 v[100:101], v[60:61], v[52:53]
	v_mul_f64_e32 v[102:103], v[58:59], v[52:53]
	v_mul_f64_e32 v[52:53], v[60:61], v[56:57]
	v_mul_f64_e32 v[104:105], v[58:59], v[56:57]
	s_wait_dscnt 0x6
	v_mul_f64_e32 v[106:107], v[64:65], v[68:69]
	v_mul_f64_e32 v[108:109], v[62:63], v[68:69]
	s_wait_dscnt 0x5
	v_mul_f64_e32 v[110:111], v[64:65], v[72:73]
	v_mul_f64_e32 v[112:113], v[62:63], v[72:73]
	s_wait_dscnt 0x4
	v_mul_f64_e32 v[114:115], v[76:77], v[68:69]
	v_mul_f64_e32 v[68:69], v[74:75], v[68:69]
	v_mul_f64_e32 v[116:117], v[76:77], v[72:73]
	v_mul_f64_e32 v[72:73], v[74:75], v[72:73]
	;; [unrolled: 11-line block ×3, first 2 shown]
	v_fma_f64 v[4:5], v[46:47], v[50:51], -v[4:5]
	v_fmac_f64_e32 v[94:95], v[48:49], v[50:51]
	v_fma_f64 v[96:97], v[46:47], v[54:55], -v[96:97]
	v_fmac_f64_e32 v[98:99], v[48:49], v[54:55]
	;; [unrolled: 2-line block ×8, first 2 shown]
	ds_load_b128 v[46:49], v45 offset:48
	ds_load_b128 v[50:53], v45 offset:2096
	;; [unrolled: 1-line block ×4, first 2 shown]
	v_fma_f64 v[120:121], v[78:79], v[82:83], -v[120:121]
	v_fmac_f64_e32 v[122:123], v[80:81], v[82:83]
	v_fma_f64 v[78:79], v[78:79], v[86:87], -v[124:125]
	v_fmac_f64_e32 v[126:127], v[80:81], v[86:87]
	;; [unrolled: 2-line block ×4, first 2 shown]
	v_add_f64_e32 v[4:5], v[34:35], v[4:5]
	v_add_f64_e32 v[70:71], v[94:95], v[36:37]
	;; [unrolled: 1-line block ×8, first 2 shown]
	s_wait_dscnt 0x1
	v_mul_f64_e32 v[102:103], v[48:49], v[56:57]
	v_mul_f64_e32 v[104:105], v[46:47], v[56:57]
	s_wait_dscnt 0x0
	v_mul_f64_e32 v[110:111], v[48:49], v[60:61]
	v_mul_f64_e32 v[114:115], v[46:47], v[60:61]
	;; [unrolled: 1-line block ×6, first 2 shown]
	ds_load_b128 v[20:23], v45 offset:64
	ds_load_b128 v[24:27], v44 offset:2048
	;; [unrolled: 1-line block ×4, first 2 shown]
	v_add_f64_e32 v[4:5], v[4:5], v[106:107]
	v_add_f64_e32 v[86:87], v[108:109], v[70:71]
	;; [unrolled: 1-line block ×8, first 2 shown]
	s_wait_dscnt 0x2
	v_mul_f64_e32 v[100:101], v[22:23], v[26:27]
	v_mul_f64_e32 v[106:107], v[20:21], v[26:27]
	s_wait_dscnt 0x1
	v_mul_f64_e32 v[108:109], v[22:23], v[32:33]
	v_mul_f64_e32 v[112:113], v[20:21], v[32:33]
	;; [unrolled: 3-line block ×3, first 2 shown]
	v_mul_f64_e32 v[26:27], v[36:37], v[32:33]
	v_mul_f64_e32 v[130:131], v[34:35], v[32:33]
	v_fma_f64 v[32:33], v[46:47], v[54:55], -v[102:103]
	v_fmac_f64_e32 v[104:105], v[48:49], v[54:55]
	v_fma_f64 v[102:103], v[46:47], v[58:59], -v[110:111]
	v_fmac_f64_e32 v[114:115], v[48:49], v[58:59]
	v_fma_f64 v[110:111], v[50:51], v[54:55], -v[116:117]
	v_fmac_f64_e32 v[118:119], v[52:53], v[54:55]
	v_fma_f64 v[116:117], v[50:51], v[58:59], -v[56:57]
	v_fmac_f64_e32 v[132:133], v[52:53], v[58:59]
	ds_load_b128 v[60:63], v45 offset:80
	ds_load_b128 v[64:67], v45 offset:2128
	;; [unrolled: 1-line block ×4, first 2 shown]
	v_add_f64_e32 v[4:5], v[4:5], v[120:121]
	v_add_f64_e32 v[58:59], v[122:123], v[86:87]
	;; [unrolled: 1-line block ×8, first 2 shown]
	v_fma_f64 v[100:101], v[20:21], v[24:25], -v[100:101]
	v_fmac_f64_e32 v[106:107], v[22:23], v[24:25]
	v_fma_f64 v[108:109], v[20:21], v[30:31], -v[108:109]
	s_wait_dscnt 0x1
	v_mul_f64_e32 v[92:93], v[62:63], v[70:71]
	v_mul_f64_e32 v[94:95], v[60:61], v[70:71]
	s_wait_dscnt 0x0
	v_mul_f64_e32 v[96:97], v[62:63], v[74:75]
	v_mul_f64_e32 v[98:99], v[60:61], v[74:75]
	;; [unrolled: 1-line block ×6, first 2 shown]
	v_fmac_f64_e32 v[112:113], v[22:23], v[30:31]
	v_fma_f64 v[124:125], v[34:35], v[24:25], -v[124:125]
	v_fmac_f64_e32 v[128:129], v[36:37], v[24:25]
	v_fma_f64 v[126:127], v[34:35], v[30:31], -v[26:27]
	v_fmac_f64_e32 v[130:131], v[36:37], v[30:31]
	ds_load_b128 v[46:49], v45 offset:96
	ds_load_b128 v[50:53], v44 offset:3072
	;; [unrolled: 1-line block ×4, first 2 shown]
	v_add_f64_e32 v[4:5], v[4:5], v[32:33]
	v_add_f64_e32 v[58:59], v[104:105], v[58:59]
	;; [unrolled: 1-line block ×8, first 2 shown]
	ds_load_b128 v[20:23], v45 offset:112
	ds_load_b128 v[24:27], v45 offset:2160
	;; [unrolled: 1-line block ×4, first 2 shown]
	s_wait_dscnt 0x0
	v_mul_f64_e32 v[102:103], v[48:49], v[52:53]
	v_mul_f64_e32 v[104:105], v[46:47], v[52:53]
	;; [unrolled: 1-line block ×8, first 2 shown]
	v_fma_f64 v[92:93], v[60:61], v[68:69], -v[92:93]
	v_fmac_f64_e32 v[94:95], v[62:63], v[68:69]
	v_fma_f64 v[60:61], v[60:61], v[72:73], -v[96:97]
	v_fmac_f64_e32 v[98:99], v[62:63], v[72:73]
	;; [unrolled: 2-line block ×4, first 2 shown]
	s_barrier_signal -1
	s_barrier_wait -1
	v_mul_f64_e32 v[96:97], v[20:21], v[36:37]
	v_add_f64_e32 v[4:5], v[4:5], v[100:101]
	v_add_f64_e32 v[58:59], v[106:107], v[58:59]
	;; [unrolled: 1-line block ×8, first 2 shown]
	v_mul_f64_e32 v[86:87], v[22:23], v[32:33]
	v_mul_f64_e32 v[88:89], v[20:21], v[32:33]
	;; [unrolled: 1-line block ×7, first 2 shown]
	v_fma_f64 v[36:37], v[46:47], v[50:51], -v[102:103]
	v_fmac_f64_e32 v[104:105], v[48:49], v[50:51]
	v_fma_f64 v[46:47], v[46:47], v[54:55], -v[110:111]
	v_fmac_f64_e32 v[114:115], v[48:49], v[54:55]
	;; [unrolled: 2-line block ×4, first 2 shown]
	v_fmac_f64_e32 v[96:97], v[22:23], v[34:35]
	v_add_f64_e32 v[4:5], v[4:5], v[92:93]
	v_add_f64_e32 v[54:55], v[94:95], v[58:59]
	;; [unrolled: 1-line block ×8, first 2 shown]
	v_fma_f64 v[70:71], v[20:21], v[30:31], -v[86:87]
	v_fmac_f64_e32 v[88:89], v[22:23], v[30:31]
	v_fma_f64 v[20:21], v[20:21], v[34:35], -v[90:91]
	v_fma_f64 v[22:23], v[24:25], v[30:31], -v[100:101]
	v_fmac_f64_e32 v[106:107], v[26:27], v[30:31]
	v_fma_f64 v[72:73], v[24:25], v[34:35], -v[32:33]
	v_fmac_f64_e32 v[108:109], v[26:27], v[34:35]
	v_add_f64_e32 v[4:5], v[4:5], v[36:37]
	v_add_f64_e32 v[24:25], v[104:105], v[54:55]
	;; [unrolled: 1-line block ×16, first 2 shown]
	s_cbranch_vccz .LBB271_16
.LBB271_7:                              ;   Parent Loop BB271_4 Depth=1
                                        ; =>  This Inner Loop Header: Depth=2
	v_add_nc_u64_e32 v[4:5], s[28:29], v[6:7]
	s_delay_alu instid0(VALU_DEP_1) | instskip(SKIP_1) | instid1(SALU_CYCLE_1)
	v_cmp_le_i64_e32 vcc_lo, s[40:41], v[4:5]
	s_or_b32 s36, s34, vcc_lo
	s_and_saveexec_b32 s37, s36
	s_delay_alu instid0(SALU_CYCLE_1)
	s_xor_b32 s36, exec_lo, s37
; %bb.8:                                ;   in Loop: Header=BB271_7 Depth=2
	v_dual_mov_b32 v3, v2 :: v_dual_mov_b32 v4, v2
	v_mov_b32_e32 v5, v2
	ds_store_b128 v42, v[2:5]
; %bb.9:                                ;   in Loop: Header=BB271_7 Depth=2
	s_and_not1_saveexec_b32 s36, s36
	s_cbranch_execz .LBB271_11
; %bb.10:                               ;   in Loop: Header=BB271_7 Depth=2
	flat_load_b128 v[46:49], v[40:41]
	s_wait_loadcnt_dscnt 0x0
	ds_store_2addr_b64 v42, v[46:47], v[48:49] offset1:1
.LBB271_11:                             ;   in Loop: Header=BB271_7 Depth=2
	s_wait_xcnt 0x0
	s_or_b32 exec_lo, exec_lo, s36
	v_add_nc_u64_e32 v[4:5], s[28:29], v[0:1]
	s_delay_alu instid0(VALU_DEP_1) | instskip(SKIP_1) | instid1(SALU_CYCLE_1)
	v_cmp_le_i64_e32 vcc_lo, s[40:41], v[4:5]
	s_or_b32 s36, vcc_lo, s35
	s_and_saveexec_b32 s37, s36
	s_delay_alu instid0(SALU_CYCLE_1)
	s_xor_b32 s36, exec_lo, s37
; %bb.12:                               ;   in Loop: Header=BB271_7 Depth=2
	v_dual_mov_b32 v3, v2 :: v_dual_mov_b32 v4, v2
	v_mov_b32_e32 v5, v2
	ds_store_b128 v43, v[2:5]
; %bb.13:                               ;   in Loop: Header=BB271_7 Depth=2
	s_and_not1_saveexec_b32 s36, s36
	s_cbranch_execz .LBB271_6
; %bb.14:                               ;   in Loop: Header=BB271_7 Depth=2
	flat_load_b128 v[46:49], v[38:39]
	s_wait_loadcnt_dscnt 0x0
	ds_store_2addr_b64 v43, v[46:47], v[48:49] offset1:1
	s_branch .LBB271_6
.LBB271_15:                             ;   in Loop: Header=BB271_4 Depth=1
	v_mov_b64_e32 v[34:35], 0
	v_mov_b64_e32 v[36:37], 0
	;; [unrolled: 1-line block ×8, first 2 shown]
.LBB271_16:                             ;   in Loop: Header=BB271_4 Depth=1
	s_wait_loadcnt 0x0
	v_add_nc_u64_e32 v[4:5], s[4:5], v[28:29]
	s_and_not1_b32 vcc_lo, exec_lo, s31
	s_mov_b32 s28, -1
	s_cbranch_vccz .LBB271_18
; %bb.17:                               ;   in Loop: Header=BB271_4 Depth=1
	s_and_not1_b32 vcc_lo, exec_lo, s28
	s_cbranch_vccnz .LBB271_3
	s_branch .LBB271_29
.LBB271_18:                             ;   in Loop: Header=BB271_4 Depth=1
	s_wait_xcnt 0x0
	s_and_saveexec_b32 s28, s0
	s_cbranch_execz .LBB271_28
; %bb.19:                               ;   in Loop: Header=BB271_4 Depth=1
	v_lshl_add_u64 v[28:29], v[10:11], 4, v[4:5]
	s_delay_alu instid0(VALU_DEP_1)
	v_lshl_add_u64 v[38:39], v[8:9], 4, v[28:29]
	s_and_saveexec_b32 s29, s1
	s_cbranch_execnz .LBB271_22
; %bb.20:                               ;   in Loop: Header=BB271_4 Depth=1
	s_or_b32 exec_lo, exec_lo, s29
	s_and_saveexec_b32 s29, s2
	s_cbranch_execnz .LBB271_23
.LBB271_21:                             ;   in Loop: Header=BB271_4 Depth=1
	s_or_b32 exec_lo, exec_lo, s29
	s_delay_alu instid0(SALU_CYCLE_1)
	s_and_b32 exec_lo, exec_lo, s3
	s_cbranch_execnz .LBB271_24
	s_branch .LBB271_28
.LBB271_22:                             ;   in Loop: Header=BB271_4 Depth=1
	v_mul_f64_e32 v[40:41], s[44:45], v[36:37]
	v_mul_f64_e32 v[48:49], s[42:43], v[36:37]
	s_delay_alu instid0(VALU_DEP_2) | instskip(NEXT) | instid1(VALU_DEP_2)
	v_fma_f64 v[46:47], s[42:43], v[34:35], -v[40:41]
	v_fmac_f64_e32 v[48:49], s[44:45], v[34:35]
	flat_store_b128 v[38:39], v[46:49]
	s_wait_xcnt 0x0
	s_or_b32 exec_lo, exec_lo, s29
	s_and_saveexec_b32 s29, s2
	s_cbranch_execz .LBB271_21
.LBB271_23:                             ;   in Loop: Header=BB271_4 Depth=1
	v_mul_f64_e32 v[40:41], s[44:45], v[32:33]
	v_mul_f64_e32 v[48:49], s[42:43], v[32:33]
	s_delay_alu instid0(VALU_DEP_2) | instskip(NEXT) | instid1(VALU_DEP_2)
	v_fma_f64 v[46:47], s[42:43], v[30:31], -v[40:41]
	v_fmac_f64_e32 v[48:49], s[44:45], v[30:31]
	flat_store_b128 v[38:39], v[46:49] offset:256
	s_wait_xcnt 0x0
	s_or_b32 exec_lo, exec_lo, s29
	s_delay_alu instid0(SALU_CYCLE_1)
	s_and_b32 exec_lo, exec_lo, s3
	s_cbranch_execz .LBB271_28
.LBB271_24:                             ;   in Loop: Header=BB271_4 Depth=1
	v_lshl_add_u64 v[28:29], s[12:13], 4, v[28:29]
	s_delay_alu instid0(VALU_DEP_1)
	v_lshl_add_u64 v[28:29], v[8:9], 4, v[28:29]
	s_and_saveexec_b32 s29, s1
	s_cbranch_execz .LBB271_26
; %bb.25:                               ;   in Loop: Header=BB271_4 Depth=1
	v_mul_f64_e32 v[38:39], s[44:45], v[26:27]
	v_mul_f64_e32 v[40:41], s[42:43], v[26:27]
	s_delay_alu instid0(VALU_DEP_2) | instskip(NEXT) | instid1(VALU_DEP_2)
	v_fma_f64 v[38:39], s[42:43], v[24:25], -v[38:39]
	v_fmac_f64_e32 v[40:41], s[44:45], v[24:25]
	flat_store_b128 v[28:29], v[38:41]
.LBB271_26:                             ;   in Loop: Header=BB271_4 Depth=1
	s_wait_xcnt 0x0
	s_or_b32 exec_lo, exec_lo, s29
	s_delay_alu instid0(SALU_CYCLE_1)
	s_and_b32 exec_lo, exec_lo, s2
	s_cbranch_execz .LBB271_28
; %bb.27:                               ;   in Loop: Header=BB271_4 Depth=1
	v_mul_f64_e32 v[38:39], s[44:45], v[22:23]
	v_mul_f64_e32 v[40:41], s[42:43], v[22:23]
	s_delay_alu instid0(VALU_DEP_2) | instskip(NEXT) | instid1(VALU_DEP_2)
	v_fma_f64 v[38:39], s[42:43], v[20:21], -v[38:39]
	v_fmac_f64_e32 v[40:41], s[44:45], v[20:21]
	flat_store_b128 v[28:29], v[38:41] offset:256
.LBB271_28:                             ;   in Loop: Header=BB271_4 Depth=1
	s_wait_xcnt 0x0
	s_or_b32 exec_lo, exec_lo, s28
	s_cbranch_execnz .LBB271_3
.LBB271_29:                             ;   in Loop: Header=BB271_4 Depth=1
	s_wait_xcnt 0x0
	s_and_saveexec_b32 s28, s0
	s_cbranch_execz .LBB271_2
; %bb.30:                               ;   in Loop: Header=BB271_4 Depth=1
	v_add_nc_u64_e32 v[28:29], s[22:23], v[18:19]
	v_lshlrev_b64_e32 v[18:19], 4, v[8:9]
	v_lshl_add_u64 v[4:5], v[10:11], 4, v[4:5]
	s_delay_alu instid0(VALU_DEP_3) | instskip(NEXT) | instid1(VALU_DEP_2)
	v_lshl_add_u64 v[28:29], v[12:13], 4, v[28:29]
	v_add_nc_u64_e32 v[38:39], v[4:5], v[18:19]
	s_delay_alu instid0(VALU_DEP_2)
	v_add_nc_u64_e32 v[40:41], v[28:29], v[18:19]
	s_and_saveexec_b32 s29, s1
	s_cbranch_execnz .LBB271_33
; %bb.31:                               ;   in Loop: Header=BB271_4 Depth=1
	s_or_b32 exec_lo, exec_lo, s29
	s_and_saveexec_b32 s29, s2
	s_cbranch_execnz .LBB271_34
.LBB271_32:                             ;   in Loop: Header=BB271_4 Depth=1
	s_or_b32 exec_lo, exec_lo, s29
	s_delay_alu instid0(SALU_CYCLE_1)
	s_and_b32 exec_lo, exec_lo, s3
	s_cbranch_execz .LBB271_2
	s_branch .LBB271_35
.LBB271_33:                             ;   in Loop: Header=BB271_4 Depth=1
	flat_load_b128 v[46:49], v[40:41]
	v_mul_f64_e32 v[50:51], s[44:45], v[36:37]
	v_mul_f64_e32 v[36:37], s[42:43], v[36:37]
	s_delay_alu instid0(VALU_DEP_2) | instskip(NEXT) | instid1(VALU_DEP_2)
	v_fma_f64 v[50:51], s[42:43], v[34:35], -v[50:51]
	v_fmac_f64_e32 v[36:37], s[44:45], v[34:35]
	s_wait_loadcnt_dscnt 0x0
	v_mul_f64_e32 v[52:53], s[16:17], v[48:49]
	v_mul_f64_e32 v[48:49], s[14:15], v[48:49]
	s_delay_alu instid0(VALU_DEP_2) | instskip(NEXT) | instid1(VALU_DEP_2)
	v_fma_f64 v[34:35], s[14:15], v[46:47], -v[52:53]
	v_fmac_f64_e32 v[48:49], s[16:17], v[46:47]
	s_delay_alu instid0(VALU_DEP_2) | instskip(NEXT) | instid1(VALU_DEP_2)
	v_add_f64_e32 v[34:35], v[50:51], v[34:35]
	v_add_f64_e32 v[36:37], v[36:37], v[48:49]
	flat_store_b128 v[38:39], v[34:37]
	s_wait_xcnt 0x0
	s_or_b32 exec_lo, exec_lo, s29
	s_and_saveexec_b32 s29, s2
	s_cbranch_execz .LBB271_32
.LBB271_34:                             ;   in Loop: Header=BB271_4 Depth=1
	flat_load_b128 v[34:37], v[40:41] offset:256
	s_wait_xcnt 0x0
	v_mul_f64_e32 v[40:41], s[44:45], v[32:33]
	v_mul_f64_e32 v[32:33], s[42:43], v[32:33]
	s_delay_alu instid0(VALU_DEP_2) | instskip(NEXT) | instid1(VALU_DEP_2)
	v_fma_f64 v[40:41], s[42:43], v[30:31], -v[40:41]
	v_fmac_f64_e32 v[32:33], s[44:45], v[30:31]
	s_wait_loadcnt_dscnt 0x0
	v_mul_f64_e32 v[46:47], s[16:17], v[36:37]
	v_mul_f64_e32 v[36:37], s[14:15], v[36:37]
	s_delay_alu instid0(VALU_DEP_2) | instskip(NEXT) | instid1(VALU_DEP_2)
	v_fma_f64 v[30:31], s[14:15], v[34:35], -v[46:47]
	v_fmac_f64_e32 v[36:37], s[16:17], v[34:35]
	s_delay_alu instid0(VALU_DEP_2) | instskip(NEXT) | instid1(VALU_DEP_2)
	v_add_f64_e32 v[30:31], v[40:41], v[30:31]
	v_add_f64_e32 v[32:33], v[32:33], v[36:37]
	flat_store_b128 v[38:39], v[30:33] offset:256
	s_wait_xcnt 0x0
	s_or_b32 exec_lo, exec_lo, s29
	s_delay_alu instid0(SALU_CYCLE_1)
	s_and_b32 exec_lo, exec_lo, s3
	s_cbranch_execz .LBB271_2
.LBB271_35:                             ;   in Loop: Header=BB271_4 Depth=1
	v_lshl_add_u64 v[28:29], s[20:21], 4, v[28:29]
	v_lshl_add_u64 v[4:5], s[12:13], 4, v[4:5]
	s_delay_alu instid0(VALU_DEP_2) | instskip(NEXT) | instid1(VALU_DEP_2)
	v_add_nc_u64_e32 v[28:29], v[28:29], v[18:19]
	v_add_nc_u64_e32 v[4:5], v[4:5], v[18:19]
	s_and_saveexec_b32 s29, s1
	s_cbranch_execz .LBB271_37
; %bb.36:                               ;   in Loop: Header=BB271_4 Depth=1
	flat_load_b128 v[30:33], v[28:29]
	v_mul_f64_e32 v[18:19], s[44:45], v[26:27]
	v_mul_f64_e32 v[26:27], s[42:43], v[26:27]
	s_delay_alu instid0(VALU_DEP_2) | instskip(NEXT) | instid1(VALU_DEP_2)
	v_fma_f64 v[18:19], s[42:43], v[24:25], -v[18:19]
	v_fmac_f64_e32 v[26:27], s[44:45], v[24:25]
	s_wait_loadcnt_dscnt 0x0
	v_mul_f64_e32 v[34:35], s[16:17], v[32:33]
	v_mul_f64_e32 v[32:33], s[14:15], v[32:33]
	s_delay_alu instid0(VALU_DEP_2) | instskip(NEXT) | instid1(VALU_DEP_2)
	v_fma_f64 v[24:25], s[14:15], v[30:31], -v[34:35]
	v_fmac_f64_e32 v[32:33], s[16:17], v[30:31]
	s_delay_alu instid0(VALU_DEP_2) | instskip(NEXT) | instid1(VALU_DEP_2)
	v_add_f64_e32 v[24:25], v[18:19], v[24:25]
	v_add_f64_e32 v[26:27], v[26:27], v[32:33]
	flat_store_b128 v[4:5], v[24:27]
.LBB271_37:                             ;   in Loop: Header=BB271_4 Depth=1
	s_wait_xcnt 0x0
	s_or_b32 exec_lo, exec_lo, s29
	s_delay_alu instid0(SALU_CYCLE_1)
	s_and_b32 exec_lo, exec_lo, s2
	s_cbranch_execz .LBB271_2
; %bb.38:                               ;   in Loop: Header=BB271_4 Depth=1
	flat_load_b128 v[24:27], v[28:29] offset:256
	v_mul_f64_e32 v[18:19], s[44:45], v[22:23]
	v_mul_f64_e32 v[22:23], s[42:43], v[22:23]
	s_delay_alu instid0(VALU_DEP_2) | instskip(NEXT) | instid1(VALU_DEP_2)
	v_fma_f64 v[18:19], s[42:43], v[20:21], -v[18:19]
	v_fmac_f64_e32 v[22:23], s[44:45], v[20:21]
	s_wait_loadcnt_dscnt 0x0
	v_mul_f64_e32 v[28:29], s[16:17], v[26:27]
	v_mul_f64_e32 v[26:27], s[14:15], v[26:27]
	s_delay_alu instid0(VALU_DEP_2) | instskip(NEXT) | instid1(VALU_DEP_2)
	v_fma_f64 v[20:21], s[14:15], v[24:25], -v[28:29]
	v_fmac_f64_e32 v[26:27], s[16:17], v[24:25]
	s_delay_alu instid0(VALU_DEP_2) | instskip(NEXT) | instid1(VALU_DEP_2)
	v_add_f64_e32 v[18:19], v[18:19], v[20:21]
	v_add_f64_e32 v[20:21], v[22:23], v[26:27]
	flat_store_b128 v[4:5], v[18:21] offset:256
	s_branch .LBB271_2
.LBB271_39:
	s_sendmsg sendmsg(MSG_DEALLOC_VGPRS)
	s_endpgm
	.section	.rodata,"a",@progbits
	.p2align	6, 0x0
	.amdhsa_kernel _ZN12_GLOBAL__N_135rocblas_gemm_batched_general_kernelI19rocblas_complex_numIdELi16ELi16ELi32ELi32ELi8ELi32ELi8ELi8ELi32ELc78ELc84EKPKS2_S5_KPS2_EEvlllT_PT11_llSA_llS8_PT12_llPT13_lli
		.amdhsa_group_segment_fixed_size 8192
		.amdhsa_private_segment_fixed_size 0
		.amdhsa_kernarg_size 156
		.amdhsa_user_sgpr_count 2
		.amdhsa_user_sgpr_dispatch_ptr 0
		.amdhsa_user_sgpr_queue_ptr 0
		.amdhsa_user_sgpr_kernarg_segment_ptr 1
		.amdhsa_user_sgpr_dispatch_id 0
		.amdhsa_user_sgpr_kernarg_preload_length 0
		.amdhsa_user_sgpr_kernarg_preload_offset 0
		.amdhsa_user_sgpr_private_segment_size 0
		.amdhsa_wavefront_size32 1
		.amdhsa_uses_dynamic_stack 0
		.amdhsa_enable_private_segment 0
		.amdhsa_system_sgpr_workgroup_id_x 1
		.amdhsa_system_sgpr_workgroup_id_y 1
		.amdhsa_system_sgpr_workgroup_id_z 1
		.amdhsa_system_sgpr_workgroup_info 0
		.amdhsa_system_vgpr_workitem_id 1
		.amdhsa_next_free_vgpr 134
		.amdhsa_next_free_sgpr 54
		.amdhsa_named_barrier_count 0
		.amdhsa_reserve_vcc 1
		.amdhsa_float_round_mode_32 0
		.amdhsa_float_round_mode_16_64 0
		.amdhsa_float_denorm_mode_32 3
		.amdhsa_float_denorm_mode_16_64 3
		.amdhsa_fp16_overflow 0
		.amdhsa_memory_ordered 1
		.amdhsa_forward_progress 1
		.amdhsa_inst_pref_size 25
		.amdhsa_round_robin_scheduling 0
		.amdhsa_exception_fp_ieee_invalid_op 0
		.amdhsa_exception_fp_denorm_src 0
		.amdhsa_exception_fp_ieee_div_zero 0
		.amdhsa_exception_fp_ieee_overflow 0
		.amdhsa_exception_fp_ieee_underflow 0
		.amdhsa_exception_fp_ieee_inexact 0
		.amdhsa_exception_int_div_zero 0
	.end_amdhsa_kernel
	.section	.text._ZN12_GLOBAL__N_135rocblas_gemm_batched_general_kernelI19rocblas_complex_numIdELi16ELi16ELi32ELi32ELi8ELi32ELi8ELi8ELi32ELc78ELc84EKPKS2_S5_KPS2_EEvlllT_PT11_llSA_llS8_PT12_llPT13_lli,"axG",@progbits,_ZN12_GLOBAL__N_135rocblas_gemm_batched_general_kernelI19rocblas_complex_numIdELi16ELi16ELi32ELi32ELi8ELi32ELi8ELi8ELi32ELc78ELc84EKPKS2_S5_KPS2_EEvlllT_PT11_llSA_llS8_PT12_llPT13_lli,comdat
.Lfunc_end271:
	.size	_ZN12_GLOBAL__N_135rocblas_gemm_batched_general_kernelI19rocblas_complex_numIdELi16ELi16ELi32ELi32ELi8ELi32ELi8ELi8ELi32ELc78ELc84EKPKS2_S5_KPS2_EEvlllT_PT11_llSA_llS8_PT12_llPT13_lli, .Lfunc_end271-_ZN12_GLOBAL__N_135rocblas_gemm_batched_general_kernelI19rocblas_complex_numIdELi16ELi16ELi32ELi32ELi8ELi32ELi8ELi8ELi32ELc78ELc84EKPKS2_S5_KPS2_EEvlllT_PT11_llSA_llS8_PT12_llPT13_lli
                                        ; -- End function
	.set _ZN12_GLOBAL__N_135rocblas_gemm_batched_general_kernelI19rocblas_complex_numIdELi16ELi16ELi32ELi32ELi8ELi32ELi8ELi8ELi32ELc78ELc84EKPKS2_S5_KPS2_EEvlllT_PT11_llSA_llS8_PT12_llPT13_lli.num_vgpr, 134
	.set _ZN12_GLOBAL__N_135rocblas_gemm_batched_general_kernelI19rocblas_complex_numIdELi16ELi16ELi32ELi32ELi8ELi32ELi8ELi8ELi32ELc78ELc84EKPKS2_S5_KPS2_EEvlllT_PT11_llSA_llS8_PT12_llPT13_lli.num_agpr, 0
	.set _ZN12_GLOBAL__N_135rocblas_gemm_batched_general_kernelI19rocblas_complex_numIdELi16ELi16ELi32ELi32ELi8ELi32ELi8ELi8ELi32ELc78ELc84EKPKS2_S5_KPS2_EEvlllT_PT11_llSA_llS8_PT12_llPT13_lli.numbered_sgpr, 54
	.set _ZN12_GLOBAL__N_135rocblas_gemm_batched_general_kernelI19rocblas_complex_numIdELi16ELi16ELi32ELi32ELi8ELi32ELi8ELi8ELi32ELc78ELc84EKPKS2_S5_KPS2_EEvlllT_PT11_llSA_llS8_PT12_llPT13_lli.num_named_barrier, 0
	.set _ZN12_GLOBAL__N_135rocblas_gemm_batched_general_kernelI19rocblas_complex_numIdELi16ELi16ELi32ELi32ELi8ELi32ELi8ELi8ELi32ELc78ELc84EKPKS2_S5_KPS2_EEvlllT_PT11_llSA_llS8_PT12_llPT13_lli.private_seg_size, 0
	.set _ZN12_GLOBAL__N_135rocblas_gemm_batched_general_kernelI19rocblas_complex_numIdELi16ELi16ELi32ELi32ELi8ELi32ELi8ELi8ELi32ELc78ELc84EKPKS2_S5_KPS2_EEvlllT_PT11_llSA_llS8_PT12_llPT13_lli.uses_vcc, 1
	.set _ZN12_GLOBAL__N_135rocblas_gemm_batched_general_kernelI19rocblas_complex_numIdELi16ELi16ELi32ELi32ELi8ELi32ELi8ELi8ELi32ELc78ELc84EKPKS2_S5_KPS2_EEvlllT_PT11_llSA_llS8_PT12_llPT13_lli.uses_flat_scratch, 0
	.set _ZN12_GLOBAL__N_135rocblas_gemm_batched_general_kernelI19rocblas_complex_numIdELi16ELi16ELi32ELi32ELi8ELi32ELi8ELi8ELi32ELc78ELc84EKPKS2_S5_KPS2_EEvlllT_PT11_llSA_llS8_PT12_llPT13_lli.has_dyn_sized_stack, 0
	.set _ZN12_GLOBAL__N_135rocblas_gemm_batched_general_kernelI19rocblas_complex_numIdELi16ELi16ELi32ELi32ELi8ELi32ELi8ELi8ELi32ELc78ELc84EKPKS2_S5_KPS2_EEvlllT_PT11_llSA_llS8_PT12_llPT13_lli.has_recursion, 0
	.set _ZN12_GLOBAL__N_135rocblas_gemm_batched_general_kernelI19rocblas_complex_numIdELi16ELi16ELi32ELi32ELi8ELi32ELi8ELi8ELi32ELc78ELc84EKPKS2_S5_KPS2_EEvlllT_PT11_llSA_llS8_PT12_llPT13_lli.has_indirect_call, 0
	.section	.AMDGPU.csdata,"",@progbits
; Kernel info:
; codeLenInByte = 3088
; TotalNumSgprs: 56
; NumVgprs: 134
; ScratchSize: 0
; MemoryBound: 0
; FloatMode: 240
; IeeeMode: 1
; LDSByteSize: 8192 bytes/workgroup (compile time only)
; SGPRBlocks: 0
; VGPRBlocks: 8
; NumSGPRsForWavesPerEU: 56
; NumVGPRsForWavesPerEU: 134
; NamedBarCnt: 0
; Occupancy: 7
; WaveLimiterHint : 1
; COMPUTE_PGM_RSRC2:SCRATCH_EN: 0
; COMPUTE_PGM_RSRC2:USER_SGPR: 2
; COMPUTE_PGM_RSRC2:TRAP_HANDLER: 0
; COMPUTE_PGM_RSRC2:TGID_X_EN: 1
; COMPUTE_PGM_RSRC2:TGID_Y_EN: 1
; COMPUTE_PGM_RSRC2:TGID_Z_EN: 1
; COMPUTE_PGM_RSRC2:TIDIG_COMP_CNT: 1
	.section	.text._ZN12_GLOBAL__N_135rocblas_gemm_batched_general_kernelI19rocblas_complex_numIdELi16ELi16ELi32ELi32ELi8ELi32ELi8ELi8ELi32ELc84ELc84EKPKS2_S5_KPS2_EEvlllT_PT11_llSA_llS8_PT12_llPT13_lli,"axG",@progbits,_ZN12_GLOBAL__N_135rocblas_gemm_batched_general_kernelI19rocblas_complex_numIdELi16ELi16ELi32ELi32ELi8ELi32ELi8ELi8ELi32ELc84ELc84EKPKS2_S5_KPS2_EEvlllT_PT11_llSA_llS8_PT12_llPT13_lli,comdat
	.globl	_ZN12_GLOBAL__N_135rocblas_gemm_batched_general_kernelI19rocblas_complex_numIdELi16ELi16ELi32ELi32ELi8ELi32ELi8ELi8ELi32ELc84ELc84EKPKS2_S5_KPS2_EEvlllT_PT11_llSA_llS8_PT12_llPT13_lli ; -- Begin function _ZN12_GLOBAL__N_135rocblas_gemm_batched_general_kernelI19rocblas_complex_numIdELi16ELi16ELi32ELi32ELi8ELi32ELi8ELi8ELi32ELc84ELc84EKPKS2_S5_KPS2_EEvlllT_PT11_llSA_llS8_PT12_llPT13_lli
	.p2align	8
	.type	_ZN12_GLOBAL__N_135rocblas_gemm_batched_general_kernelI19rocblas_complex_numIdELi16ELi16ELi32ELi32ELi8ELi32ELi8ELi8ELi32ELc84ELc84EKPKS2_S5_KPS2_EEvlllT_PT11_llSA_llS8_PT12_llPT13_lli,@function
_ZN12_GLOBAL__N_135rocblas_gemm_batched_general_kernelI19rocblas_complex_numIdELi16ELi16ELi32ELi32ELi8ELi32ELi8ELi8ELi32ELc84ELc84EKPKS2_S5_KPS2_EEvlllT_PT11_llSA_llS8_PT12_llPT13_lli: ; @_ZN12_GLOBAL__N_135rocblas_gemm_batched_general_kernelI19rocblas_complex_numIdELi16ELi16ELi32ELi32ELi8ELi32ELi8ELi8ELi32ELc84ELc84EKPKS2_S5_KPS2_EEvlllT_PT11_llSA_llS8_PT12_llPT13_lli
; %bb.0:
	s_load_b32 s30, s[0:1], 0x98
	s_bfe_u32 s2, ttmp6, 0x40014
	s_lshr_b32 s3, ttmp7, 16
	s_add_co_i32 s2, s2, 1
	s_bfe_u32 s5, ttmp6, 0x40008
	s_mul_i32 s4, s3, s2
	s_getreg_b32 s2, hwreg(HW_REG_IB_STS2, 6, 4)
	s_add_co_i32 s5, s5, s4
	s_cmp_eq_u32 s2, 0
	s_mov_b32 s7, 0
	s_cselect_b32 s6, s3, s5
	s_wait_kmcnt 0x0
	s_cmp_ge_i32 s6, s30
	s_cbranch_scc1 .LBB272_39
; %bb.1:
	s_load_b512 s[8:23], s[0:1], 0x40
	v_bfe_u32 v4, v0, 10, 10
	v_and_b32_e32 v10, 0x3ff, v0
	s_clause 0x2
	s_load_b512 s[36:51], s[0:1], 0x0
	s_load_b64 s[28:29], s[0:1], 0x90
	s_load_b128 s[24:27], s[0:1], 0x80
	s_wait_xcnt 0x0
	s_bfe_u32 s0, ttmp6, 0x4000c
	s_bfe_u32 s3, ttmp6, 0x40010
	s_add_co_i32 s0, s0, 1
	s_and_b32 s4, ttmp7, 0xffff
	s_add_co_i32 s3, s3, 1
	s_and_b32 s1, ttmp6, 15
	s_mul_i32 s0, ttmp9, s0
	s_mul_i32 s3, s4, s3
	s_bfe_u32 s5, ttmp6, 0x40004
	v_lshl_add_u32 v3, v4, 4, v10
	s_add_co_i32 s1, s1, s0
	s_add_co_i32 s5, s5, s3
	s_cmp_eq_u32 s2, 0
	s_delay_alu instid0(VALU_DEP_1) | instskip(SKIP_3) | instid1(VALU_DEP_1)
	v_dual_mov_b32 v2, 0 :: v_dual_bitop2_b32 v7, 31, v3 bitop3:0x40
	s_cselect_b32 s0, ttmp9, s1
	s_cselect_b32 s5, s4, s5
	s_ashr_i32 s1, s0, 31
	v_dual_mov_b32 v1, v2 :: v_dual_bitop2_b32 v0, 7, v0 bitop3:0x40
	s_lshl_b64 s[0:1], s[0:1], 5
	s_delay_alu instid0(SALU_CYCLE_1) | instskip(SKIP_4) | instid1(VALU_DEP_3)
	v_dual_mov_b32 v9, s1 :: v_dual_lshrrev_b32 v14, 3, v3
	v_dual_mov_b32 v15, v2 :: v_dual_bitop2_b32 v8, s0, v7 bitop3:0x54
	s_wait_kmcnt 0x0
	v_mul_u64_e32 v[16:17], s[10:11], v[0:1]
	v_dual_mov_b32 v5, v2 :: v_dual_mov_b32 v11, v2
	v_mul_u64_e32 v[18:19], s[48:49], v[8:9]
	v_dual_lshlrev_b32 v20, 4, v0 :: v_dual_lshrrev_b32 v6, 5, v3
	s_lshl_b32 s2, s5, 5
	s_mov_b32 s3, s7
	v_cmp_eq_f64_e64 s31, s[14:15], 0
	v_cmp_eq_f64_e64 s33, s[16:17], 0
	v_add_nc_u64_e32 v[12:13], s[2:3], v[14:15]
	v_lshl_or_b32 v15, v14, 7, v20
	v_add_nc_u64_e32 v[20:21], s[2:3], v[4:5]
	v_cmp_gt_i64_e32 vcc_lo, s[36:37], v[8:9]
	v_add_nc_u64_e32 v[8:9], s[0:1], v[10:11]
	v_lshlrev_b32_e32 v44, 4, v10
	v_lshl_add_u32 v45, v4, 7, 0x1000
	v_cmp_gt_i64_e64 s4, s[38:39], v[12:13]
	s_lshl_b32 s34, s5, 9
	v_mul_u64_e32 v[10:11], s[26:27], v[20:21]
	v_mul_u64_e32 v[12:13], s[20:21], v[20:21]
	v_add_nc_u64_e32 v[4:5], 16, v[8:9]
	s_mov_b32 s35, s7
	s_lshl_b64 s[12:13], s[12:13], 4
	v_cmp_gt_i64_e64 s0, s[38:39], v[20:21]
	s_add_nc_u64 s[12:13], s[12:13], s[34:35]
	v_add_nc_u64_e32 v[20:21], 16, v[20:21]
	v_add_nc_u32_e32 v43, 0x1000, v15
	v_cmp_gt_i64_e64 s2, s[36:37], v[4:5]
	v_dual_mov_b32 v15, v2 :: v_dual_lshlrev_b32 v14, 4, v14
	v_dual_lshlrev_b32 v3, 4, v7 :: v_dual_mov_b32 v7, v2
	v_lshl_add_u64 v[4:5], v[16:17], 4, s[12:13]
	s_lshl_b64 s[12:13], s[50:51], 4
	v_cmp_gt_i64_e64 s1, s[36:37], v[8:9]
	v_lshl_add_u64 v[16:17], v[18:19], 4, s[12:13]
	v_dual_mov_b32 v19, v2 :: v_dual_lshlrev_b32 v18, 4, v6
	v_cmp_gt_i64_e64 s3, s[38:39], v[20:21]
	v_add_nc_u64_e32 v[14:15], v[4:5], v[14:15]
	s_and_b32 s31, s31, s33
	v_cmp_gt_i64_e64 s33, s[40:41], 0
	v_add_nc_u64_e32 v[16:17], v[16:17], v[18:19]
	v_lshl_or_b32 v42, v6, 9, v3
	s_lshl_b64 s[12:13], s[26:27], 4
	s_lshl_b64 s[20:21], s[20:21], 4
	;; [unrolled: 1-line block ×3, first 2 shown]
	s_xor_b32 s34, vcc_lo, -1
	s_xor_b32 s35, s4, -1
	s_lshl_b64 s[4:5], s[28:29], 4
	s_lshl_b64 s[22:23], s[22:23], 4
	s_branch .LBB272_4
.LBB272_2:                              ;   in Loop: Header=BB272_4 Depth=1
	s_wait_xcnt 0x0
	s_or_b32 exec_lo, exec_lo, s26
.LBB272_3:                              ;   in Loop: Header=BB272_4 Depth=1
	s_add_co_i32 s6, s6, 0x10000
	s_delay_alu instid0(SALU_CYCLE_1)
	s_cmp_lt_i32 s6, s30
	s_cbranch_scc0 .LBB272_39
.LBB272_4:                              ; =>This Loop Header: Depth=1
                                        ;     Child Loop BB272_7 Depth 2
	s_wait_xcnt 0x0
	v_mov_b32_e32 v3, s6
	s_and_not1_b32 vcc_lo, exec_lo, s33
	s_clause 0x1
	global_load_b64 v[18:19], v3, s[18:19] scale_offset
	global_load_b64 v[28:29], v3, s[24:25] scale_offset
	s_cbranch_vccnz .LBB272_15
; %bb.5:                                ;   in Loop: Header=BB272_4 Depth=1
	s_lshl_b64 s[26:27], s[6:7], 3
	v_mov_b64_e32 v[22:23], 0
	s_add_nc_u64 s[28:29], s[8:9], s[26:27]
	s_add_nc_u64 s[26:27], s[46:47], s[26:27]
	s_clause 0x1
	global_load_b64 v[4:5], v2, s[28:29]
	global_load_b64 v[34:35], v2, s[26:27]
	v_mov_b64_e32 v[20:21], 0
	v_mov_b64_e32 v[26:27], 0
	;; [unrolled: 1-line block ×6, first 2 shown]
	s_wait_xcnt 0x0
	s_mov_b64 s[26:27], 0
	s_wait_loadcnt 0x1
	v_add_nc_u64_e32 v[38:39], v[4:5], v[14:15]
	s_wait_loadcnt 0x0
	v_add_nc_u64_e32 v[40:41], v[34:35], v[16:17]
	v_mov_b64_e32 v[34:35], 0
	s_branch .LBB272_7
.LBB272_6:                              ;   in Loop: Header=BB272_7 Depth=2
	s_wait_xcnt 0x0
	s_or_b32 exec_lo, exec_lo, s28
	s_wait_dscnt 0x0
	s_barrier_signal -1
	s_barrier_wait -1
	ds_load_b128 v[46:49], v45
	ds_load_b128 v[50:53], v44
	ds_load_b128 v[54:57], v44 offset:256
	ds_load_b128 v[58:61], v45 offset:2048
	;; [unrolled: 1-line block ×10, first 2 shown]
	s_add_nc_u64 s[26:27], s[26:27], 8
	v_add_nc_u64_e32 v[38:39], s[10:11], v[38:39]
	v_cmp_lt_i64_e64 s28, s[26:27], s[40:41]
	v_add_nc_u64_e32 v[40:41], 0x80, v[40:41]
	s_and_b32 vcc_lo, exec_lo, s28
	s_wait_dscnt 0xa
	v_mul_f64_e32 v[4:5], v[48:49], v[52:53]
	v_mul_f64_e32 v[94:95], v[46:47], v[52:53]
	s_wait_dscnt 0x9
	v_mul_f64_e32 v[96:97], v[48:49], v[56:57]
	v_mul_f64_e32 v[98:99], v[46:47], v[56:57]
	s_wait_dscnt 0x8
	v_mul_f64_e32 v[100:101], v[60:61], v[52:53]
	v_mul_f64_e32 v[102:103], v[58:59], v[52:53]
	v_mul_f64_e32 v[52:53], v[60:61], v[56:57]
	v_mul_f64_e32 v[104:105], v[58:59], v[56:57]
	s_wait_dscnt 0x6
	v_mul_f64_e32 v[106:107], v[64:65], v[68:69]
	v_mul_f64_e32 v[108:109], v[62:63], v[68:69]
	s_wait_dscnt 0x5
	v_mul_f64_e32 v[110:111], v[64:65], v[72:73]
	v_mul_f64_e32 v[112:113], v[62:63], v[72:73]
	s_wait_dscnt 0x4
	v_mul_f64_e32 v[114:115], v[76:77], v[68:69]
	v_mul_f64_e32 v[68:69], v[74:75], v[68:69]
	v_mul_f64_e32 v[116:117], v[76:77], v[72:73]
	v_mul_f64_e32 v[72:73], v[74:75], v[72:73]
	;; [unrolled: 11-line block ×3, first 2 shown]
	v_fma_f64 v[4:5], v[46:47], v[50:51], -v[4:5]
	v_fmac_f64_e32 v[94:95], v[48:49], v[50:51]
	v_fma_f64 v[96:97], v[46:47], v[54:55], -v[96:97]
	v_fmac_f64_e32 v[98:99], v[48:49], v[54:55]
	v_fma_f64 v[100:101], v[58:59], v[50:51], -v[100:101]
	v_fmac_f64_e32 v[102:103], v[60:61], v[50:51]
	v_fma_f64 v[118:119], v[58:59], v[54:55], -v[52:53]
	v_fmac_f64_e32 v[104:105], v[60:61], v[54:55]
	v_fma_f64 v[106:107], v[62:63], v[66:67], -v[106:107]
	v_fmac_f64_e32 v[108:109], v[64:65], v[66:67]
	v_fma_f64 v[62:63], v[62:63], v[70:71], -v[110:111]
	v_fmac_f64_e32 v[112:113], v[64:65], v[70:71]
	v_fma_f64 v[64:65], v[74:75], v[66:67], -v[114:115]
	v_fmac_f64_e32 v[68:69], v[76:77], v[66:67]
	v_fma_f64 v[66:67], v[74:75], v[70:71], -v[116:117]
	v_fmac_f64_e32 v[72:73], v[76:77], v[70:71]
	ds_load_b128 v[46:49], v45 offset:48
	ds_load_b128 v[50:53], v45 offset:2096
	ds_load_b128 v[54:57], v44 offset:1536
	ds_load_b128 v[58:61], v44 offset:1792
	v_fma_f64 v[120:121], v[78:79], v[82:83], -v[120:121]
	v_fmac_f64_e32 v[122:123], v[80:81], v[82:83]
	v_fma_f64 v[78:79], v[78:79], v[86:87], -v[124:125]
	v_fmac_f64_e32 v[126:127], v[80:81], v[86:87]
	;; [unrolled: 2-line block ×4, first 2 shown]
	v_add_f64_e32 v[4:5], v[34:35], v[4:5]
	v_add_f64_e32 v[70:71], v[94:95], v[36:37]
	;; [unrolled: 1-line block ×8, first 2 shown]
	s_wait_dscnt 0x1
	v_mul_f64_e32 v[102:103], v[48:49], v[56:57]
	v_mul_f64_e32 v[104:105], v[46:47], v[56:57]
	s_wait_dscnt 0x0
	v_mul_f64_e32 v[110:111], v[48:49], v[60:61]
	v_mul_f64_e32 v[114:115], v[46:47], v[60:61]
	;; [unrolled: 1-line block ×6, first 2 shown]
	ds_load_b128 v[20:23], v45 offset:64
	ds_load_b128 v[24:27], v44 offset:2048
	;; [unrolled: 1-line block ×4, first 2 shown]
	v_add_f64_e32 v[4:5], v[4:5], v[106:107]
	v_add_f64_e32 v[86:87], v[108:109], v[70:71]
	;; [unrolled: 1-line block ×8, first 2 shown]
	s_wait_dscnt 0x2
	v_mul_f64_e32 v[100:101], v[22:23], v[26:27]
	v_mul_f64_e32 v[106:107], v[20:21], v[26:27]
	s_wait_dscnt 0x1
	v_mul_f64_e32 v[108:109], v[22:23], v[32:33]
	v_mul_f64_e32 v[112:113], v[20:21], v[32:33]
	;; [unrolled: 3-line block ×3, first 2 shown]
	v_mul_f64_e32 v[26:27], v[36:37], v[32:33]
	v_mul_f64_e32 v[130:131], v[34:35], v[32:33]
	v_fma_f64 v[32:33], v[46:47], v[54:55], -v[102:103]
	v_fmac_f64_e32 v[104:105], v[48:49], v[54:55]
	v_fma_f64 v[102:103], v[46:47], v[58:59], -v[110:111]
	v_fmac_f64_e32 v[114:115], v[48:49], v[58:59]
	;; [unrolled: 2-line block ×4, first 2 shown]
	ds_load_b128 v[60:63], v45 offset:80
	ds_load_b128 v[64:67], v45 offset:2128
	;; [unrolled: 1-line block ×4, first 2 shown]
	v_add_f64_e32 v[4:5], v[4:5], v[120:121]
	v_add_f64_e32 v[58:59], v[122:123], v[86:87]
	;; [unrolled: 1-line block ×8, first 2 shown]
	v_fma_f64 v[100:101], v[20:21], v[24:25], -v[100:101]
	v_fmac_f64_e32 v[106:107], v[22:23], v[24:25]
	v_fma_f64 v[108:109], v[20:21], v[30:31], -v[108:109]
	s_wait_dscnt 0x1
	v_mul_f64_e32 v[92:93], v[62:63], v[70:71]
	v_mul_f64_e32 v[94:95], v[60:61], v[70:71]
	s_wait_dscnt 0x0
	v_mul_f64_e32 v[96:97], v[62:63], v[74:75]
	v_mul_f64_e32 v[98:99], v[60:61], v[74:75]
	;; [unrolled: 1-line block ×6, first 2 shown]
	v_fmac_f64_e32 v[112:113], v[22:23], v[30:31]
	v_fma_f64 v[124:125], v[34:35], v[24:25], -v[124:125]
	v_fmac_f64_e32 v[128:129], v[36:37], v[24:25]
	v_fma_f64 v[126:127], v[34:35], v[30:31], -v[26:27]
	v_fmac_f64_e32 v[130:131], v[36:37], v[30:31]
	ds_load_b128 v[46:49], v45 offset:96
	ds_load_b128 v[50:53], v44 offset:3072
	;; [unrolled: 1-line block ×4, first 2 shown]
	v_add_f64_e32 v[4:5], v[4:5], v[32:33]
	v_add_f64_e32 v[58:59], v[104:105], v[58:59]
	;; [unrolled: 1-line block ×8, first 2 shown]
	ds_load_b128 v[20:23], v45 offset:112
	ds_load_b128 v[24:27], v45 offset:2160
	;; [unrolled: 1-line block ×4, first 2 shown]
	s_wait_dscnt 0x0
	v_mul_f64_e32 v[102:103], v[48:49], v[52:53]
	v_mul_f64_e32 v[104:105], v[46:47], v[52:53]
	;; [unrolled: 1-line block ×8, first 2 shown]
	v_fma_f64 v[92:93], v[60:61], v[68:69], -v[92:93]
	v_fmac_f64_e32 v[94:95], v[62:63], v[68:69]
	v_fma_f64 v[60:61], v[60:61], v[72:73], -v[96:97]
	v_fmac_f64_e32 v[98:99], v[62:63], v[72:73]
	;; [unrolled: 2-line block ×4, first 2 shown]
	s_barrier_signal -1
	s_barrier_wait -1
	v_mul_f64_e32 v[96:97], v[20:21], v[36:37]
	v_add_f64_e32 v[4:5], v[4:5], v[100:101]
	v_add_f64_e32 v[58:59], v[106:107], v[58:59]
	;; [unrolled: 1-line block ×8, first 2 shown]
	v_mul_f64_e32 v[86:87], v[22:23], v[32:33]
	v_mul_f64_e32 v[88:89], v[20:21], v[32:33]
	;; [unrolled: 1-line block ×7, first 2 shown]
	v_fma_f64 v[36:37], v[46:47], v[50:51], -v[102:103]
	v_fmac_f64_e32 v[104:105], v[48:49], v[50:51]
	v_fma_f64 v[46:47], v[46:47], v[54:55], -v[110:111]
	v_fmac_f64_e32 v[114:115], v[48:49], v[54:55]
	;; [unrolled: 2-line block ×4, first 2 shown]
	v_fmac_f64_e32 v[96:97], v[22:23], v[34:35]
	v_add_f64_e32 v[4:5], v[4:5], v[92:93]
	v_add_f64_e32 v[54:55], v[94:95], v[58:59]
	;; [unrolled: 1-line block ×8, first 2 shown]
	v_fma_f64 v[70:71], v[20:21], v[30:31], -v[86:87]
	v_fmac_f64_e32 v[88:89], v[22:23], v[30:31]
	v_fma_f64 v[20:21], v[20:21], v[34:35], -v[90:91]
	v_fma_f64 v[22:23], v[24:25], v[30:31], -v[100:101]
	v_fmac_f64_e32 v[106:107], v[26:27], v[30:31]
	v_fma_f64 v[72:73], v[24:25], v[34:35], -v[32:33]
	v_fmac_f64_e32 v[108:109], v[26:27], v[34:35]
	v_add_f64_e32 v[4:5], v[4:5], v[36:37]
	v_add_f64_e32 v[24:25], v[104:105], v[54:55]
	;; [unrolled: 1-line block ×16, first 2 shown]
	s_cbranch_vccz .LBB272_16
.LBB272_7:                              ;   Parent Loop BB272_4 Depth=1
                                        ; =>  This Inner Loop Header: Depth=2
	v_add_nc_u64_e32 v[4:5], s[26:27], v[6:7]
	s_delay_alu instid0(VALU_DEP_1) | instskip(SKIP_1) | instid1(SALU_CYCLE_1)
	v_cmp_le_i64_e32 vcc_lo, s[40:41], v[4:5]
	s_or_b32 s28, s34, vcc_lo
	s_and_saveexec_b32 s29, s28
	s_delay_alu instid0(SALU_CYCLE_1)
	s_xor_b32 s28, exec_lo, s29
; %bb.8:                                ;   in Loop: Header=BB272_7 Depth=2
	v_dual_mov_b32 v3, v2 :: v_dual_mov_b32 v4, v2
	v_mov_b32_e32 v5, v2
	ds_store_b128 v42, v[2:5]
; %bb.9:                                ;   in Loop: Header=BB272_7 Depth=2
	s_and_not1_saveexec_b32 s28, s28
	s_cbranch_execz .LBB272_11
; %bb.10:                               ;   in Loop: Header=BB272_7 Depth=2
	flat_load_b128 v[46:49], v[40:41]
	s_wait_loadcnt_dscnt 0x0
	ds_store_2addr_b64 v42, v[46:47], v[48:49] offset1:1
.LBB272_11:                             ;   in Loop: Header=BB272_7 Depth=2
	s_wait_xcnt 0x0
	s_or_b32 exec_lo, exec_lo, s28
	v_add_nc_u64_e32 v[4:5], s[26:27], v[0:1]
	s_delay_alu instid0(VALU_DEP_1) | instskip(SKIP_1) | instid1(SALU_CYCLE_1)
	v_cmp_le_i64_e32 vcc_lo, s[40:41], v[4:5]
	s_or_b32 s28, vcc_lo, s35
	s_and_saveexec_b32 s29, s28
	s_delay_alu instid0(SALU_CYCLE_1)
	s_xor_b32 s28, exec_lo, s29
; %bb.12:                               ;   in Loop: Header=BB272_7 Depth=2
	v_dual_mov_b32 v3, v2 :: v_dual_mov_b32 v4, v2
	v_mov_b32_e32 v5, v2
	ds_store_b128 v43, v[2:5]
; %bb.13:                               ;   in Loop: Header=BB272_7 Depth=2
	s_and_not1_saveexec_b32 s28, s28
	s_cbranch_execz .LBB272_6
; %bb.14:                               ;   in Loop: Header=BB272_7 Depth=2
	flat_load_b128 v[46:49], v[38:39]
	s_wait_loadcnt_dscnt 0x0
	ds_store_2addr_b64 v43, v[46:47], v[48:49] offset1:1
	s_branch .LBB272_6
.LBB272_15:                             ;   in Loop: Header=BB272_4 Depth=1
	v_mov_b64_e32 v[34:35], 0
	v_mov_b64_e32 v[36:37], 0
	;; [unrolled: 1-line block ×8, first 2 shown]
.LBB272_16:                             ;   in Loop: Header=BB272_4 Depth=1
	s_wait_loadcnt 0x0
	v_add_nc_u64_e32 v[4:5], s[4:5], v[28:29]
	s_and_not1_b32 vcc_lo, exec_lo, s31
	s_mov_b32 s26, -1
	s_cbranch_vccz .LBB272_18
; %bb.17:                               ;   in Loop: Header=BB272_4 Depth=1
	s_and_not1_b32 vcc_lo, exec_lo, s26
	s_cbranch_vccnz .LBB272_3
	s_branch .LBB272_29
.LBB272_18:                             ;   in Loop: Header=BB272_4 Depth=1
	s_wait_xcnt 0x0
	s_and_saveexec_b32 s26, s0
	s_cbranch_execz .LBB272_28
; %bb.19:                               ;   in Loop: Header=BB272_4 Depth=1
	v_lshl_add_u64 v[28:29], v[10:11], 4, v[4:5]
	s_delay_alu instid0(VALU_DEP_1)
	v_lshl_add_u64 v[38:39], v[8:9], 4, v[28:29]
	s_and_saveexec_b32 s27, s1
	s_cbranch_execnz .LBB272_22
; %bb.20:                               ;   in Loop: Header=BB272_4 Depth=1
	s_or_b32 exec_lo, exec_lo, s27
	s_and_saveexec_b32 s27, s2
	s_cbranch_execnz .LBB272_23
.LBB272_21:                             ;   in Loop: Header=BB272_4 Depth=1
	s_or_b32 exec_lo, exec_lo, s27
	s_delay_alu instid0(SALU_CYCLE_1)
	s_and_b32 exec_lo, exec_lo, s3
	s_cbranch_execnz .LBB272_24
	s_branch .LBB272_28
.LBB272_22:                             ;   in Loop: Header=BB272_4 Depth=1
	v_mul_f64_e32 v[40:41], s[44:45], v[36:37]
	v_mul_f64_e32 v[48:49], s[42:43], v[36:37]
	s_delay_alu instid0(VALU_DEP_2) | instskip(NEXT) | instid1(VALU_DEP_2)
	v_fma_f64 v[46:47], s[42:43], v[34:35], -v[40:41]
	v_fmac_f64_e32 v[48:49], s[44:45], v[34:35]
	flat_store_b128 v[38:39], v[46:49]
	s_wait_xcnt 0x0
	s_or_b32 exec_lo, exec_lo, s27
	s_and_saveexec_b32 s27, s2
	s_cbranch_execz .LBB272_21
.LBB272_23:                             ;   in Loop: Header=BB272_4 Depth=1
	v_mul_f64_e32 v[40:41], s[44:45], v[32:33]
	v_mul_f64_e32 v[48:49], s[42:43], v[32:33]
	s_delay_alu instid0(VALU_DEP_2) | instskip(NEXT) | instid1(VALU_DEP_2)
	v_fma_f64 v[46:47], s[42:43], v[30:31], -v[40:41]
	v_fmac_f64_e32 v[48:49], s[44:45], v[30:31]
	flat_store_b128 v[38:39], v[46:49] offset:256
	s_wait_xcnt 0x0
	s_or_b32 exec_lo, exec_lo, s27
	s_delay_alu instid0(SALU_CYCLE_1)
	s_and_b32 exec_lo, exec_lo, s3
	s_cbranch_execz .LBB272_28
.LBB272_24:                             ;   in Loop: Header=BB272_4 Depth=1
	v_lshl_add_u64 v[28:29], s[12:13], 4, v[28:29]
	s_delay_alu instid0(VALU_DEP_1)
	v_lshl_add_u64 v[28:29], v[8:9], 4, v[28:29]
	s_and_saveexec_b32 s27, s1
	s_cbranch_execz .LBB272_26
; %bb.25:                               ;   in Loop: Header=BB272_4 Depth=1
	v_mul_f64_e32 v[38:39], s[44:45], v[26:27]
	v_mul_f64_e32 v[40:41], s[42:43], v[26:27]
	s_delay_alu instid0(VALU_DEP_2) | instskip(NEXT) | instid1(VALU_DEP_2)
	v_fma_f64 v[38:39], s[42:43], v[24:25], -v[38:39]
	v_fmac_f64_e32 v[40:41], s[44:45], v[24:25]
	flat_store_b128 v[28:29], v[38:41]
.LBB272_26:                             ;   in Loop: Header=BB272_4 Depth=1
	s_wait_xcnt 0x0
	s_or_b32 exec_lo, exec_lo, s27
	s_delay_alu instid0(SALU_CYCLE_1)
	s_and_b32 exec_lo, exec_lo, s2
	s_cbranch_execz .LBB272_28
; %bb.27:                               ;   in Loop: Header=BB272_4 Depth=1
	v_mul_f64_e32 v[38:39], s[44:45], v[22:23]
	v_mul_f64_e32 v[40:41], s[42:43], v[22:23]
	s_delay_alu instid0(VALU_DEP_2) | instskip(NEXT) | instid1(VALU_DEP_2)
	v_fma_f64 v[38:39], s[42:43], v[20:21], -v[38:39]
	v_fmac_f64_e32 v[40:41], s[44:45], v[20:21]
	flat_store_b128 v[28:29], v[38:41] offset:256
.LBB272_28:                             ;   in Loop: Header=BB272_4 Depth=1
	s_wait_xcnt 0x0
	s_or_b32 exec_lo, exec_lo, s26
	s_cbranch_execnz .LBB272_3
.LBB272_29:                             ;   in Loop: Header=BB272_4 Depth=1
	s_wait_xcnt 0x0
	s_and_saveexec_b32 s26, s0
	s_cbranch_execz .LBB272_2
; %bb.30:                               ;   in Loop: Header=BB272_4 Depth=1
	v_add_nc_u64_e32 v[28:29], s[22:23], v[18:19]
	v_lshlrev_b64_e32 v[18:19], 4, v[8:9]
	v_lshl_add_u64 v[4:5], v[10:11], 4, v[4:5]
	s_delay_alu instid0(VALU_DEP_3) | instskip(NEXT) | instid1(VALU_DEP_2)
	v_lshl_add_u64 v[28:29], v[12:13], 4, v[28:29]
	v_add_nc_u64_e32 v[38:39], v[4:5], v[18:19]
	s_delay_alu instid0(VALU_DEP_2)
	v_add_nc_u64_e32 v[40:41], v[28:29], v[18:19]
	s_and_saveexec_b32 s27, s1
	s_cbranch_execnz .LBB272_33
; %bb.31:                               ;   in Loop: Header=BB272_4 Depth=1
	s_or_b32 exec_lo, exec_lo, s27
	s_and_saveexec_b32 s27, s2
	s_cbranch_execnz .LBB272_34
.LBB272_32:                             ;   in Loop: Header=BB272_4 Depth=1
	s_or_b32 exec_lo, exec_lo, s27
	s_delay_alu instid0(SALU_CYCLE_1)
	s_and_b32 exec_lo, exec_lo, s3
	s_cbranch_execz .LBB272_2
	s_branch .LBB272_35
.LBB272_33:                             ;   in Loop: Header=BB272_4 Depth=1
	flat_load_b128 v[46:49], v[40:41]
	v_mul_f64_e32 v[50:51], s[44:45], v[36:37]
	v_mul_f64_e32 v[36:37], s[42:43], v[36:37]
	s_delay_alu instid0(VALU_DEP_2) | instskip(NEXT) | instid1(VALU_DEP_2)
	v_fma_f64 v[50:51], s[42:43], v[34:35], -v[50:51]
	v_fmac_f64_e32 v[36:37], s[44:45], v[34:35]
	s_wait_loadcnt_dscnt 0x0
	v_mul_f64_e32 v[52:53], s[16:17], v[48:49]
	v_mul_f64_e32 v[48:49], s[14:15], v[48:49]
	s_delay_alu instid0(VALU_DEP_2) | instskip(NEXT) | instid1(VALU_DEP_2)
	v_fma_f64 v[34:35], s[14:15], v[46:47], -v[52:53]
	v_fmac_f64_e32 v[48:49], s[16:17], v[46:47]
	s_delay_alu instid0(VALU_DEP_2) | instskip(NEXT) | instid1(VALU_DEP_2)
	v_add_f64_e32 v[34:35], v[50:51], v[34:35]
	v_add_f64_e32 v[36:37], v[36:37], v[48:49]
	flat_store_b128 v[38:39], v[34:37]
	s_wait_xcnt 0x0
	s_or_b32 exec_lo, exec_lo, s27
	s_and_saveexec_b32 s27, s2
	s_cbranch_execz .LBB272_32
.LBB272_34:                             ;   in Loop: Header=BB272_4 Depth=1
	flat_load_b128 v[34:37], v[40:41] offset:256
	s_wait_xcnt 0x0
	v_mul_f64_e32 v[40:41], s[44:45], v[32:33]
	v_mul_f64_e32 v[32:33], s[42:43], v[32:33]
	s_delay_alu instid0(VALU_DEP_2) | instskip(NEXT) | instid1(VALU_DEP_2)
	v_fma_f64 v[40:41], s[42:43], v[30:31], -v[40:41]
	v_fmac_f64_e32 v[32:33], s[44:45], v[30:31]
	s_wait_loadcnt_dscnt 0x0
	v_mul_f64_e32 v[46:47], s[16:17], v[36:37]
	v_mul_f64_e32 v[36:37], s[14:15], v[36:37]
	s_delay_alu instid0(VALU_DEP_2) | instskip(NEXT) | instid1(VALU_DEP_2)
	v_fma_f64 v[30:31], s[14:15], v[34:35], -v[46:47]
	v_fmac_f64_e32 v[36:37], s[16:17], v[34:35]
	s_delay_alu instid0(VALU_DEP_2) | instskip(NEXT) | instid1(VALU_DEP_2)
	v_add_f64_e32 v[30:31], v[40:41], v[30:31]
	v_add_f64_e32 v[32:33], v[32:33], v[36:37]
	flat_store_b128 v[38:39], v[30:33] offset:256
	s_wait_xcnt 0x0
	s_or_b32 exec_lo, exec_lo, s27
	s_delay_alu instid0(SALU_CYCLE_1)
	s_and_b32 exec_lo, exec_lo, s3
	s_cbranch_execz .LBB272_2
.LBB272_35:                             ;   in Loop: Header=BB272_4 Depth=1
	v_lshl_add_u64 v[28:29], s[20:21], 4, v[28:29]
	v_lshl_add_u64 v[4:5], s[12:13], 4, v[4:5]
	s_delay_alu instid0(VALU_DEP_2) | instskip(NEXT) | instid1(VALU_DEP_2)
	v_add_nc_u64_e32 v[28:29], v[28:29], v[18:19]
	v_add_nc_u64_e32 v[4:5], v[4:5], v[18:19]
	s_and_saveexec_b32 s27, s1
	s_cbranch_execz .LBB272_37
; %bb.36:                               ;   in Loop: Header=BB272_4 Depth=1
	flat_load_b128 v[30:33], v[28:29]
	v_mul_f64_e32 v[18:19], s[44:45], v[26:27]
	v_mul_f64_e32 v[26:27], s[42:43], v[26:27]
	s_delay_alu instid0(VALU_DEP_2) | instskip(NEXT) | instid1(VALU_DEP_2)
	v_fma_f64 v[18:19], s[42:43], v[24:25], -v[18:19]
	v_fmac_f64_e32 v[26:27], s[44:45], v[24:25]
	s_wait_loadcnt_dscnt 0x0
	v_mul_f64_e32 v[34:35], s[16:17], v[32:33]
	v_mul_f64_e32 v[32:33], s[14:15], v[32:33]
	s_delay_alu instid0(VALU_DEP_2) | instskip(NEXT) | instid1(VALU_DEP_2)
	v_fma_f64 v[24:25], s[14:15], v[30:31], -v[34:35]
	v_fmac_f64_e32 v[32:33], s[16:17], v[30:31]
	s_delay_alu instid0(VALU_DEP_2) | instskip(NEXT) | instid1(VALU_DEP_2)
	v_add_f64_e32 v[24:25], v[18:19], v[24:25]
	v_add_f64_e32 v[26:27], v[26:27], v[32:33]
	flat_store_b128 v[4:5], v[24:27]
.LBB272_37:                             ;   in Loop: Header=BB272_4 Depth=1
	s_wait_xcnt 0x0
	s_or_b32 exec_lo, exec_lo, s27
	s_delay_alu instid0(SALU_CYCLE_1)
	s_and_b32 exec_lo, exec_lo, s2
	s_cbranch_execz .LBB272_2
; %bb.38:                               ;   in Loop: Header=BB272_4 Depth=1
	flat_load_b128 v[24:27], v[28:29] offset:256
	v_mul_f64_e32 v[18:19], s[44:45], v[22:23]
	v_mul_f64_e32 v[22:23], s[42:43], v[22:23]
	s_delay_alu instid0(VALU_DEP_2) | instskip(NEXT) | instid1(VALU_DEP_2)
	v_fma_f64 v[18:19], s[42:43], v[20:21], -v[18:19]
	v_fmac_f64_e32 v[22:23], s[44:45], v[20:21]
	s_wait_loadcnt_dscnt 0x0
	v_mul_f64_e32 v[28:29], s[16:17], v[26:27]
	v_mul_f64_e32 v[26:27], s[14:15], v[26:27]
	s_delay_alu instid0(VALU_DEP_2) | instskip(NEXT) | instid1(VALU_DEP_2)
	v_fma_f64 v[20:21], s[14:15], v[24:25], -v[28:29]
	v_fmac_f64_e32 v[26:27], s[16:17], v[24:25]
	s_delay_alu instid0(VALU_DEP_2) | instskip(NEXT) | instid1(VALU_DEP_2)
	v_add_f64_e32 v[18:19], v[18:19], v[20:21]
	v_add_f64_e32 v[20:21], v[22:23], v[26:27]
	flat_store_b128 v[4:5], v[18:21] offset:256
	s_branch .LBB272_2
.LBB272_39:
	s_sendmsg sendmsg(MSG_DEALLOC_VGPRS)
	s_endpgm
	.section	.rodata,"a",@progbits
	.p2align	6, 0x0
	.amdhsa_kernel _ZN12_GLOBAL__N_135rocblas_gemm_batched_general_kernelI19rocblas_complex_numIdELi16ELi16ELi32ELi32ELi8ELi32ELi8ELi8ELi32ELc84ELc84EKPKS2_S5_KPS2_EEvlllT_PT11_llSA_llS8_PT12_llPT13_lli
		.amdhsa_group_segment_fixed_size 8192
		.amdhsa_private_segment_fixed_size 0
		.amdhsa_kernarg_size 156
		.amdhsa_user_sgpr_count 2
		.amdhsa_user_sgpr_dispatch_ptr 0
		.amdhsa_user_sgpr_queue_ptr 0
		.amdhsa_user_sgpr_kernarg_segment_ptr 1
		.amdhsa_user_sgpr_dispatch_id 0
		.amdhsa_user_sgpr_kernarg_preload_length 0
		.amdhsa_user_sgpr_kernarg_preload_offset 0
		.amdhsa_user_sgpr_private_segment_size 0
		.amdhsa_wavefront_size32 1
		.amdhsa_uses_dynamic_stack 0
		.amdhsa_enable_private_segment 0
		.amdhsa_system_sgpr_workgroup_id_x 1
		.amdhsa_system_sgpr_workgroup_id_y 1
		.amdhsa_system_sgpr_workgroup_id_z 1
		.amdhsa_system_sgpr_workgroup_info 0
		.amdhsa_system_vgpr_workitem_id 1
		.amdhsa_next_free_vgpr 134
		.amdhsa_next_free_sgpr 52
		.amdhsa_named_barrier_count 0
		.amdhsa_reserve_vcc 1
		.amdhsa_float_round_mode_32 0
		.amdhsa_float_round_mode_16_64 0
		.amdhsa_float_denorm_mode_32 3
		.amdhsa_float_denorm_mode_16_64 3
		.amdhsa_fp16_overflow 0
		.amdhsa_memory_ordered 1
		.amdhsa_forward_progress 1
		.amdhsa_inst_pref_size 25
		.amdhsa_round_robin_scheduling 0
		.amdhsa_exception_fp_ieee_invalid_op 0
		.amdhsa_exception_fp_denorm_src 0
		.amdhsa_exception_fp_ieee_div_zero 0
		.amdhsa_exception_fp_ieee_overflow 0
		.amdhsa_exception_fp_ieee_underflow 0
		.amdhsa_exception_fp_ieee_inexact 0
		.amdhsa_exception_int_div_zero 0
	.end_amdhsa_kernel
	.section	.text._ZN12_GLOBAL__N_135rocblas_gemm_batched_general_kernelI19rocblas_complex_numIdELi16ELi16ELi32ELi32ELi8ELi32ELi8ELi8ELi32ELc84ELc84EKPKS2_S5_KPS2_EEvlllT_PT11_llSA_llS8_PT12_llPT13_lli,"axG",@progbits,_ZN12_GLOBAL__N_135rocblas_gemm_batched_general_kernelI19rocblas_complex_numIdELi16ELi16ELi32ELi32ELi8ELi32ELi8ELi8ELi32ELc84ELc84EKPKS2_S5_KPS2_EEvlllT_PT11_llSA_llS8_PT12_llPT13_lli,comdat
.Lfunc_end272:
	.size	_ZN12_GLOBAL__N_135rocblas_gemm_batched_general_kernelI19rocblas_complex_numIdELi16ELi16ELi32ELi32ELi8ELi32ELi8ELi8ELi32ELc84ELc84EKPKS2_S5_KPS2_EEvlllT_PT11_llSA_llS8_PT12_llPT13_lli, .Lfunc_end272-_ZN12_GLOBAL__N_135rocblas_gemm_batched_general_kernelI19rocblas_complex_numIdELi16ELi16ELi32ELi32ELi8ELi32ELi8ELi8ELi32ELc84ELc84EKPKS2_S5_KPS2_EEvlllT_PT11_llSA_llS8_PT12_llPT13_lli
                                        ; -- End function
	.set _ZN12_GLOBAL__N_135rocblas_gemm_batched_general_kernelI19rocblas_complex_numIdELi16ELi16ELi32ELi32ELi8ELi32ELi8ELi8ELi32ELc84ELc84EKPKS2_S5_KPS2_EEvlllT_PT11_llSA_llS8_PT12_llPT13_lli.num_vgpr, 134
	.set _ZN12_GLOBAL__N_135rocblas_gemm_batched_general_kernelI19rocblas_complex_numIdELi16ELi16ELi32ELi32ELi8ELi32ELi8ELi8ELi32ELc84ELc84EKPKS2_S5_KPS2_EEvlllT_PT11_llSA_llS8_PT12_llPT13_lli.num_agpr, 0
	.set _ZN12_GLOBAL__N_135rocblas_gemm_batched_general_kernelI19rocblas_complex_numIdELi16ELi16ELi32ELi32ELi8ELi32ELi8ELi8ELi32ELc84ELc84EKPKS2_S5_KPS2_EEvlllT_PT11_llSA_llS8_PT12_llPT13_lli.numbered_sgpr, 52
	.set _ZN12_GLOBAL__N_135rocblas_gemm_batched_general_kernelI19rocblas_complex_numIdELi16ELi16ELi32ELi32ELi8ELi32ELi8ELi8ELi32ELc84ELc84EKPKS2_S5_KPS2_EEvlllT_PT11_llSA_llS8_PT12_llPT13_lli.num_named_barrier, 0
	.set _ZN12_GLOBAL__N_135rocblas_gemm_batched_general_kernelI19rocblas_complex_numIdELi16ELi16ELi32ELi32ELi8ELi32ELi8ELi8ELi32ELc84ELc84EKPKS2_S5_KPS2_EEvlllT_PT11_llSA_llS8_PT12_llPT13_lli.private_seg_size, 0
	.set _ZN12_GLOBAL__N_135rocblas_gemm_batched_general_kernelI19rocblas_complex_numIdELi16ELi16ELi32ELi32ELi8ELi32ELi8ELi8ELi32ELc84ELc84EKPKS2_S5_KPS2_EEvlllT_PT11_llSA_llS8_PT12_llPT13_lli.uses_vcc, 1
	.set _ZN12_GLOBAL__N_135rocblas_gemm_batched_general_kernelI19rocblas_complex_numIdELi16ELi16ELi32ELi32ELi8ELi32ELi8ELi8ELi32ELc84ELc84EKPKS2_S5_KPS2_EEvlllT_PT11_llSA_llS8_PT12_llPT13_lli.uses_flat_scratch, 0
	.set _ZN12_GLOBAL__N_135rocblas_gemm_batched_general_kernelI19rocblas_complex_numIdELi16ELi16ELi32ELi32ELi8ELi32ELi8ELi8ELi32ELc84ELc84EKPKS2_S5_KPS2_EEvlllT_PT11_llSA_llS8_PT12_llPT13_lli.has_dyn_sized_stack, 0
	.set _ZN12_GLOBAL__N_135rocblas_gemm_batched_general_kernelI19rocblas_complex_numIdELi16ELi16ELi32ELi32ELi8ELi32ELi8ELi8ELi32ELc84ELc84EKPKS2_S5_KPS2_EEvlllT_PT11_llSA_llS8_PT12_llPT13_lli.has_recursion, 0
	.set _ZN12_GLOBAL__N_135rocblas_gemm_batched_general_kernelI19rocblas_complex_numIdELi16ELi16ELi32ELi32ELi8ELi32ELi8ELi8ELi32ELc84ELc84EKPKS2_S5_KPS2_EEvlllT_PT11_llSA_llS8_PT12_llPT13_lli.has_indirect_call, 0
	.section	.AMDGPU.csdata,"",@progbits
; Kernel info:
; codeLenInByte = 3104
; TotalNumSgprs: 54
; NumVgprs: 134
; ScratchSize: 0
; MemoryBound: 0
; FloatMode: 240
; IeeeMode: 1
; LDSByteSize: 8192 bytes/workgroup (compile time only)
; SGPRBlocks: 0
; VGPRBlocks: 8
; NumSGPRsForWavesPerEU: 54
; NumVGPRsForWavesPerEU: 134
; NamedBarCnt: 0
; Occupancy: 7
; WaveLimiterHint : 1
; COMPUTE_PGM_RSRC2:SCRATCH_EN: 0
; COMPUTE_PGM_RSRC2:USER_SGPR: 2
; COMPUTE_PGM_RSRC2:TRAP_HANDLER: 0
; COMPUTE_PGM_RSRC2:TGID_X_EN: 1
; COMPUTE_PGM_RSRC2:TGID_Y_EN: 1
; COMPUTE_PGM_RSRC2:TGID_Z_EN: 1
; COMPUTE_PGM_RSRC2:TIDIG_COMP_CNT: 1
	.section	.text._ZN12_GLOBAL__N_135rocblas_gemm_batched_general_kernelI19rocblas_complex_numIdELi16ELi16ELi32ELi32ELi8ELi32ELi8ELi8ELi32ELc67ELc67EKPKS2_S5_KPS2_EEvlllT_PT11_llSA_llS8_PT12_llPT13_lli,"axG",@progbits,_ZN12_GLOBAL__N_135rocblas_gemm_batched_general_kernelI19rocblas_complex_numIdELi16ELi16ELi32ELi32ELi8ELi32ELi8ELi8ELi32ELc67ELc67EKPKS2_S5_KPS2_EEvlllT_PT11_llSA_llS8_PT12_llPT13_lli,comdat
	.globl	_ZN12_GLOBAL__N_135rocblas_gemm_batched_general_kernelI19rocblas_complex_numIdELi16ELi16ELi32ELi32ELi8ELi32ELi8ELi8ELi32ELc67ELc67EKPKS2_S5_KPS2_EEvlllT_PT11_llSA_llS8_PT12_llPT13_lli ; -- Begin function _ZN12_GLOBAL__N_135rocblas_gemm_batched_general_kernelI19rocblas_complex_numIdELi16ELi16ELi32ELi32ELi8ELi32ELi8ELi8ELi32ELc67ELc67EKPKS2_S5_KPS2_EEvlllT_PT11_llSA_llS8_PT12_llPT13_lli
	.p2align	8
	.type	_ZN12_GLOBAL__N_135rocblas_gemm_batched_general_kernelI19rocblas_complex_numIdELi16ELi16ELi32ELi32ELi8ELi32ELi8ELi8ELi32ELc67ELc67EKPKS2_S5_KPS2_EEvlllT_PT11_llSA_llS8_PT12_llPT13_lli,@function
_ZN12_GLOBAL__N_135rocblas_gemm_batched_general_kernelI19rocblas_complex_numIdELi16ELi16ELi32ELi32ELi8ELi32ELi8ELi8ELi32ELc67ELc67EKPKS2_S5_KPS2_EEvlllT_PT11_llSA_llS8_PT12_llPT13_lli: ; @_ZN12_GLOBAL__N_135rocblas_gemm_batched_general_kernelI19rocblas_complex_numIdELi16ELi16ELi32ELi32ELi8ELi32ELi8ELi8ELi32ELc67ELc67EKPKS2_S5_KPS2_EEvlllT_PT11_llSA_llS8_PT12_llPT13_lli
; %bb.0:
	s_load_b32 s30, s[0:1], 0x98
	s_bfe_u32 s2, ttmp6, 0x40014
	s_lshr_b32 s3, ttmp7, 16
	s_add_co_i32 s2, s2, 1
	s_bfe_u32 s5, ttmp6, 0x40008
	s_mul_i32 s4, s3, s2
	s_getreg_b32 s2, hwreg(HW_REG_IB_STS2, 6, 4)
	s_add_co_i32 s5, s5, s4
	s_cmp_eq_u32 s2, 0
	s_mov_b32 s25, 0
	s_cselect_b32 s24, s3, s5
	s_wait_kmcnt 0x0
	s_cmp_ge_i32 s24, s30
	s_cbranch_scc1 .LBB273_35
; %bb.1:
	s_clause 0x1
	s_load_b512 s[4:19], s[0:1], 0x0
	s_load_b512 s[36:51], s[0:1], 0x40
	v_bfe_u32 v2, v0, 10, 10
	v_and_b32_e32 v4, 0x3ff, v0
	s_bfe_u32 s20, ttmp6, 0x4000c
	s_bfe_u32 s21, ttmp6, 0x40010
	s_add_co_i32 s20, s20, 1
	s_and_b32 s22, ttmp7, 0xffff
	s_add_co_i32 s21, s21, 1
	s_and_b32 s3, ttmp6, 15
	s_mul_i32 s20, ttmp9, s20
	s_mul_i32 s21, s22, s21
	s_bfe_u32 s23, ttmp6, 0x40004
	v_lshl_add_u32 v5, v2, 4, v4
	s_add_co_i32 s3, s3, s20
	s_add_co_i32 s23, s23, s21
	s_cmp_eq_u32 s2, 0
	s_delay_alu instid0(VALU_DEP_1) | instskip(SKIP_3) | instid1(VALU_DEP_1)
	v_dual_mov_b32 v9, 0 :: v_dual_bitop2_b32 v14, 31, v5 bitop3:0x40
	s_cselect_b32 s2, ttmp9, s3
	s_cselect_b32 s28, s22, s23
	s_ashr_i32 s3, s2, 31
	v_dual_mov_b32 v11, v9 :: v_dual_bitop2_b32 v10, 7, v0 bitop3:0x40
	s_lshl_b64 s[2:3], s[2:3], 5
	s_clause 0x1
	s_load_b64 s[26:27], s[0:1], 0x90
	s_load_b128 s[20:23], s[0:1], 0x80
	v_dual_mov_b32 v1, s3 :: v_dual_bitop2_b32 v0, s2, v14 bitop3:0x54
	s_wait_kmcnt 0x0
	v_mul_u64_e32 v[6:7], s[38:39], v[10:11]
	v_dual_mov_b32 v3, v9 :: v_dual_lshrrev_b32 v20, 3, v5
	v_dual_mov_b32 v21, v9 :: v_dual_lshlrev_b32 v15, 4, v10
	v_mul_u64_e32 v[18:19], s[16:17], v[0:1]
	s_lshl_b32 s0, s28, 5
	s_mov_b32 s1, s25
	v_dual_lshrrev_b32 v8, 5, v5 :: v_dual_lshlrev_b32 v14, 4, v14
	v_add_nc_u64_e32 v[22:23], s[0:1], v[2:3]
	v_lshl_or_b32 v15, v20, 7, v15
	v_cmp_eq_f64_e64 s29, s[42:43], 0
	v_cmp_eq_f64_e64 s31, s[44:45], 0
	v_lshl_or_b32 v46, v8, 9, v14
	v_add_nc_u64_e32 v[12:13], s[0:1], v[20:21]
	v_add_nc_u32_e32 v47, 0x1000, v15
	v_mul_u64_e32 v[14:15], s[22:23], v[22:23]
	v_mul_u64_e32 v[16:17], s[48:49], v[22:23]
	v_dual_mov_b32 v5, v9 :: v_dual_lshlrev_b32 v48, 4, v4
	s_lshl_b64 s[16:17], s[40:41], 4
	v_cmp_gt_i64_e64 s1, s[6:7], v[12:13]
	v_lshl_add_u32 v49, v2, 7, 0x1000
	s_delay_alu instid0(VALU_DEP_3)
	v_add_nc_u64_e32 v[12:13], s[2:3], v[4:5]
	s_lshl_b32 s2, s28, 9
	s_mov_b32 s3, s25
	v_lshlrev_b32_e32 v4, 4, v20
	s_add_nc_u64 s[2:3], s[16:17], s[2:3]
	v_lshlrev_b32_e32 v20, 4, v8
	v_cmp_gt_i64_e64 s0, s[4:5], v[0:1]
	v_add_nc_u64_e32 v[0:1], 16, v[12:13]
	v_lshl_add_u64 v[2:3], v[6:7], 4, s[2:3]
	s_lshl_b64 s[2:3], s[18:19], 4
	v_add_nc_u64_e32 v[24:25], 16, v[22:23]
	v_cmp_gt_i64_e64 s33, s[8:9], 0
	s_lshl_b64 s[16:17], s[48:49], 4
	v_lshl_add_u64 v[6:7], v[18:19], 4, s[2:3]
	v_add_nc_u64_e32 v[18:19], v[2:3], v[4:5]
	v_cmp_gt_i64_e64 s2, s[6:7], v[22:23]
	v_cmp_gt_i64_e64 s3, s[4:5], v[12:13]
	v_cmp_gt_i64_e64 s4, s[4:5], v[0:1]
	v_add_nc_u64_e32 v[20:21], v[6:7], v[20:21]
	v_cmp_gt_i64_e64 s5, s[6:7], v[24:25]
	s_lshl_b64 s[6:7], s[22:23], 4
	v_or_b32_e32 v18, 8, v18
	s_and_b32 s31, s29, s31
	s_lshl_b64 s[18:19], s[38:39], 7
	s_lshl_b64 s[22:23], s[26:27], 4
	v_or_b32_e32 v20, 8, v20
	s_lshl_b64 s[26:27], s[50:51], 4
	s_branch .LBB273_4
.LBB273_2:                              ;   in Loop: Header=BB273_4 Depth=1
	s_wait_xcnt 0x0
	s_or_b32 exec_lo, exec_lo, s28
.LBB273_3:                              ;   in Loop: Header=BB273_4 Depth=1
	s_add_co_i32 s24, s24, 0x10000
	s_delay_alu instid0(SALU_CYCLE_1)
	s_cmp_lt_i32 s24, s30
	s_cbranch_scc0 .LBB273_35
.LBB273_4:                              ; =>This Loop Header: Depth=1
                                        ;     Child Loop BB273_7 Depth 2
	v_mov_b32_e32 v0, s24
	s_and_not1_b32 vcc_lo, exec_lo, s33
	s_clause 0x1
	global_load_b64 v[22:23], v0, s[46:47] scale_offset
	global_load_b64 v[32:33], v0, s[20:21] scale_offset
	s_cbranch_vccnz .LBB273_11
; %bb.5:                                ;   in Loop: Header=BB273_4 Depth=1
	s_lshl_b64 s[28:29], s[24:25], 3
	v_mov_b64_e32 v[26:27], 0
	s_add_nc_u64 s[34:35], s[36:37], s[28:29]
	s_add_nc_u64 s[28:29], s[14:15], s[28:29]
	s_clause 0x1
	global_load_b64 v[0:1], v9, s[34:35]
	global_load_b64 v[2:3], v9, s[28:29]
	v_mov_b64_e32 v[24:25], 0
	v_mov_b64_e32 v[30:31], 0
	;; [unrolled: 1-line block ×7, first 2 shown]
	s_wait_xcnt 0x0
	s_mov_b64 s[28:29], 0
	s_wait_loadcnt 0x1
	v_add_nc_u64_e32 v[42:43], v[0:1], v[18:19]
	s_wait_loadcnt 0x0
	v_add_nc_u64_e32 v[44:45], v[2:3], v[20:21]
	s_branch .LBB273_7
.LBB273_6:                              ;   in Loop: Header=BB273_7 Depth=2
	s_wait_xcnt 0x0
	s_or_b32 exec_lo, exec_lo, s34
	ds_store_b128 v47, v[4:7]
	s_wait_dscnt 0x0
	s_barrier_signal -1
	s_barrier_wait -1
	ds_load_b128 v[0:3], v49
	ds_load_b128 v[4:7], v48
	ds_load_b128 v[50:53], v48 offset:256
	ds_load_b128 v[54:57], v49 offset:2048
	;; [unrolled: 1-line block ×10, first 2 shown]
	s_add_nc_u64 s[28:29], s[28:29], 8
	v_add_nc_u64_e32 v[42:43], s[18:19], v[42:43]
	v_cmp_lt_i64_e64 s34, s[28:29], s[8:9]
	v_add_nc_u64_e32 v[44:45], 0x80, v[44:45]
	s_and_b32 vcc_lo, exec_lo, s34
	s_wait_dscnt 0xa
	v_mul_f64_e32 v[90:91], v[2:3], v[6:7]
	v_mul_f64_e32 v[92:93], v[0:1], v[6:7]
	s_wait_dscnt 0x9
	v_mul_f64_e32 v[94:95], v[2:3], v[52:53]
	v_mul_f64_e32 v[96:97], v[0:1], v[52:53]
	s_wait_dscnt 0x8
	v_mul_f64_e32 v[98:99], v[56:57], v[6:7]
	v_mul_f64_e32 v[100:101], v[54:55], v[6:7]
	v_mul_f64_e32 v[6:7], v[56:57], v[52:53]
	v_mul_f64_e32 v[102:103], v[54:55], v[52:53]
	s_wait_dscnt 0x6
	v_mul_f64_e32 v[104:105], v[60:61], v[64:65]
	v_mul_f64_e32 v[106:107], v[58:59], v[64:65]
	s_wait_dscnt 0x5
	v_mul_f64_e32 v[108:109], v[60:61], v[68:69]
	v_mul_f64_e32 v[110:111], v[58:59], v[68:69]
	s_wait_dscnt 0x4
	v_mul_f64_e32 v[112:113], v[72:73], v[64:65]
	v_mul_f64_e32 v[64:65], v[70:71], v[64:65]
	v_mul_f64_e32 v[114:115], v[72:73], v[68:69]
	v_mul_f64_e32 v[68:69], v[70:71], v[68:69]
	s_wait_dscnt 0x2
	v_mul_f64_e32 v[118:119], v[76:77], v[80:81]
	v_mul_f64_e32 v[120:121], v[74:75], v[80:81]
	s_wait_dscnt 0x1
	v_mul_f64_e32 v[122:123], v[76:77], v[84:85]
	v_mul_f64_e32 v[124:125], v[74:75], v[84:85]
	s_wait_dscnt 0x0
	v_mul_f64_e32 v[126:127], v[88:89], v[80:81]
	v_mul_f64_e32 v[80:81], v[86:87], v[80:81]
	v_mul_f64_e32 v[128:129], v[88:89], v[84:85]
	v_mul_f64_e32 v[84:85], v[86:87], v[84:85]
	v_fma_f64 v[90:91], v[0:1], v[4:5], -v[90:91]
	v_fmac_f64_e32 v[92:93], v[2:3], v[4:5]
	v_fma_f64 v[94:95], v[0:1], v[50:51], -v[94:95]
	v_fmac_f64_e32 v[96:97], v[2:3], v[50:51]
	;; [unrolled: 2-line block ×8, first 2 shown]
	ds_load_b128 v[0:3], v49 offset:48
	ds_load_b128 v[4:7], v49 offset:2096
	;; [unrolled: 1-line block ×4, first 2 shown]
	v_fma_f64 v[118:119], v[74:75], v[78:79], -v[118:119]
	v_fmac_f64_e32 v[120:121], v[76:77], v[78:79]
	v_fma_f64 v[74:75], v[74:75], v[82:83], -v[122:123]
	v_fmac_f64_e32 v[124:125], v[76:77], v[82:83]
	;; [unrolled: 2-line block ×4, first 2 shown]
	v_add_f64_e32 v[66:67], v[38:39], v[90:91]
	v_add_f64_e32 v[70:71], v[92:93], v[40:41]
	;; [unrolled: 1-line block ×8, first 2 shown]
	s_wait_dscnt 0x1
	v_mul_f64_e32 v[100:101], v[2:3], v[52:53]
	v_mul_f64_e32 v[102:103], v[0:1], v[52:53]
	s_wait_dscnt 0x0
	v_mul_f64_e32 v[108:109], v[2:3], v[56:57]
	v_mul_f64_e32 v[112:113], v[0:1], v[56:57]
	;; [unrolled: 1-line block ×6, first 2 shown]
	ds_load_b128 v[24:27], v49 offset:64
	ds_load_b128 v[28:31], v48 offset:2048
	;; [unrolled: 1-line block ×4, first 2 shown]
	v_add_f64_e32 v[82:83], v[66:67], v[104:105]
	v_add_f64_e32 v[86:87], v[106:107], v[70:71]
	;; [unrolled: 1-line block ×8, first 2 shown]
	s_wait_dscnt 0x2
	v_mul_f64_e32 v[98:99], v[26:27], v[30:31]
	v_mul_f64_e32 v[104:105], v[24:25], v[30:31]
	s_wait_dscnt 0x1
	v_mul_f64_e32 v[106:107], v[26:27], v[36:37]
	v_mul_f64_e32 v[110:111], v[24:25], v[36:37]
	;; [unrolled: 3-line block ×3, first 2 shown]
	v_mul_f64_e32 v[30:31], v[40:41], v[36:37]
	v_mul_f64_e32 v[128:129], v[38:39], v[36:37]
	v_fma_f64 v[36:37], v[0:1], v[50:51], -v[100:101]
	v_fmac_f64_e32 v[102:103], v[2:3], v[50:51]
	v_fma_f64 v[100:101], v[0:1], v[54:55], -v[108:109]
	v_fmac_f64_e32 v[112:113], v[2:3], v[54:55]
	;; [unrolled: 2-line block ×4, first 2 shown]
	ds_load_b128 v[56:59], v49 offset:80
	ds_load_b128 v[60:63], v49 offset:2128
	;; [unrolled: 1-line block ×4, first 2 shown]
	v_add_f64_e32 v[54:55], v[82:83], v[118:119]
	v_add_f64_e32 v[82:83], v[120:121], v[86:87]
	;; [unrolled: 1-line block ×8, first 2 shown]
	v_fma_f64 v[98:99], v[24:25], v[28:29], -v[98:99]
	v_fmac_f64_e32 v[104:105], v[26:27], v[28:29]
	v_fma_f64 v[106:107], v[24:25], v[34:35], -v[106:107]
	s_wait_dscnt 0x1
	v_mul_f64_e32 v[90:91], v[58:59], v[66:67]
	v_mul_f64_e32 v[92:93], v[56:57], v[66:67]
	s_wait_dscnt 0x0
	v_mul_f64_e32 v[94:95], v[58:59], v[70:71]
	v_mul_f64_e32 v[96:97], v[56:57], v[70:71]
	;; [unrolled: 1-line block ×6, first 2 shown]
	v_fmac_f64_e32 v[110:111], v[26:27], v[34:35]
	v_fma_f64 v[122:123], v[38:39], v[28:29], -v[122:123]
	v_fmac_f64_e32 v[126:127], v[40:41], v[28:29]
	v_fma_f64 v[124:125], v[38:39], v[34:35], -v[30:31]
	v_fmac_f64_e32 v[128:129], v[40:41], v[34:35]
	ds_load_b128 v[0:3], v49 offset:96
	ds_load_b128 v[4:7], v48 offset:3072
	;; [unrolled: 1-line block ×4, first 2 shown]
	v_add_f64_e32 v[54:55], v[54:55], v[36:37]
	v_add_f64_e32 v[82:83], v[102:103], v[82:83]
	;; [unrolled: 1-line block ×8, first 2 shown]
	ds_load_b128 v[24:27], v49 offset:112
	ds_load_b128 v[28:31], v49 offset:2160
	;; [unrolled: 1-line block ×4, first 2 shown]
	s_wait_dscnt 0x0
	v_mul_f64_e32 v[100:101], v[2:3], v[6:7]
	v_mul_f64_e32 v[102:103], v[0:1], v[6:7]
	;; [unrolled: 1-line block ×8, first 2 shown]
	v_fma_f64 v[90:91], v[56:57], v[64:65], -v[90:91]
	v_fmac_f64_e32 v[92:93], v[58:59], v[64:65]
	v_fma_f64 v[56:57], v[56:57], v[68:69], -v[94:95]
	v_fmac_f64_e32 v[96:97], v[58:59], v[68:69]
	;; [unrolled: 2-line block ×4, first 2 shown]
	s_barrier_signal -1
	s_barrier_wait -1
	v_mul_f64_e32 v[94:95], v[24:25], v[40:41]
	v_add_f64_e32 v[54:55], v[54:55], v[98:99]
	v_add_f64_e32 v[62:63], v[104:105], v[82:83]
	;; [unrolled: 1-line block ×8, first 2 shown]
	v_mul_f64_e32 v[84:85], v[26:27], v[36:37]
	v_mul_f64_e32 v[86:87], v[24:25], v[36:37]
	;; [unrolled: 1-line block ×7, first 2 shown]
	v_fma_f64 v[40:41], v[0:1], v[4:5], -v[100:101]
	v_fmac_f64_e32 v[102:103], v[2:3], v[4:5]
	v_fma_f64 v[0:1], v[0:1], v[50:51], -v[108:109]
	v_fmac_f64_e32 v[112:113], v[2:3], v[50:51]
	v_fma_f64 v[2:3], v[72:73], v[4:5], -v[114:115]
	v_fmac_f64_e32 v[6:7], v[74:75], v[4:5]
	v_fma_f64 v[4:5], v[72:73], v[50:51], -v[116:117]
	v_fmac_f64_e32 v[52:53], v[74:75], v[50:51]
	v_fmac_f64_e32 v[94:95], v[26:27], v[38:39]
	v_add_f64_e32 v[50:51], v[54:55], v[90:91]
	v_add_f64_e32 v[54:55], v[92:93], v[62:63]
	;; [unrolled: 1-line block ×8, first 2 shown]
	v_fma_f64 v[68:69], v[24:25], v[34:35], -v[84:85]
	v_fmac_f64_e32 v[86:87], v[26:27], v[34:35]
	v_fma_f64 v[24:25], v[24:25], v[38:39], -v[88:89]
	v_fma_f64 v[26:27], v[28:29], v[34:35], -v[98:99]
	v_fmac_f64_e32 v[104:105], v[30:31], v[34:35]
	v_fma_f64 v[70:71], v[28:29], v[38:39], -v[36:37]
	v_fmac_f64_e32 v[106:107], v[30:31], v[38:39]
	v_add_f64_e32 v[28:29], v[50:51], v[40:41]
	v_add_f64_e32 v[30:31], v[102:103], v[54:55]
	;; [unrolled: 1-line block ×16, first 2 shown]
	s_cbranch_vccz .LBB273_12
.LBB273_7:                              ;   Parent Loop BB273_4 Depth=1
                                        ; =>  This Inner Loop Header: Depth=2
	v_add_nc_u64_e32 v[0:1], s[28:29], v[8:9]
	v_mov_b64_e32 v[2:3], 0
	s_delay_alu instid0(VALU_DEP_2) | instskip(SKIP_2) | instid1(SALU_CYCLE_1)
	v_cmp_gt_i64_e32 vcc_lo, s[8:9], v[0:1]
	v_mov_b64_e32 v[0:1], 0
	s_and_b32 s35, s0, vcc_lo
	s_and_saveexec_b32 s34, s35
	s_cbranch_execz .LBB273_9
; %bb.8:                                ;   in Loop: Header=BB273_7 Depth=2
	flat_load_b128 v[0:3], v[44:45] offset:-8
	s_wait_loadcnt_dscnt 0x0
	v_xor_b32_e32 v3, 0x80000000, v3
.LBB273_9:                              ;   in Loop: Header=BB273_7 Depth=2
	s_wait_xcnt 0x0
	s_or_b32 exec_lo, exec_lo, s34
	v_add_nc_u64_e32 v[4:5], s[28:29], v[10:11]
	v_mov_b64_e32 v[6:7], 0
	ds_store_b128 v46, v[0:3]
	v_cmp_gt_i64_e32 vcc_lo, s[8:9], v[4:5]
	v_mov_b64_e32 v[4:5], 0
	s_and_b32 s35, vcc_lo, s1
	s_delay_alu instid0(SALU_CYCLE_1)
	s_and_saveexec_b32 s34, s35
	s_cbranch_execz .LBB273_6
; %bb.10:                               ;   in Loop: Header=BB273_7 Depth=2
	flat_load_b128 v[4:7], v[42:43] offset:-8
	s_wait_loadcnt_dscnt 0x0
	v_xor_b32_e32 v7, 0x80000000, v7
	s_branch .LBB273_6
.LBB273_11:                             ;   in Loop: Header=BB273_4 Depth=1
	v_mov_b64_e32 v[38:39], 0
	v_mov_b64_e32 v[40:41], 0
	;; [unrolled: 1-line block ×8, first 2 shown]
.LBB273_12:                             ;   in Loop: Header=BB273_4 Depth=1
	s_wait_loadcnt 0x0
	s_wait_xcnt 0x0
	v_add_nc_u64_e32 v[0:1], s[22:23], v[32:33]
	s_and_not1_b32 vcc_lo, exec_lo, s31
	s_mov_b32 s28, -1
	s_cbranch_vccz .LBB273_14
; %bb.13:                               ;   in Loop: Header=BB273_4 Depth=1
	s_and_not1_b32 vcc_lo, exec_lo, s28
	s_cbranch_vccnz .LBB273_3
	s_branch .LBB273_25
.LBB273_14:                             ;   in Loop: Header=BB273_4 Depth=1
	s_and_saveexec_b32 s28, s2
	s_cbranch_execz .LBB273_24
; %bb.15:                               ;   in Loop: Header=BB273_4 Depth=1
	s_delay_alu instid0(VALU_DEP_1) | instskip(NEXT) | instid1(VALU_DEP_1)
	v_lshl_add_u64 v[2:3], v[14:15], 4, v[0:1]
	v_lshl_add_u64 v[4:5], v[12:13], 4, v[2:3]
	s_and_saveexec_b32 s29, s3
	s_cbranch_execnz .LBB273_18
; %bb.16:                               ;   in Loop: Header=BB273_4 Depth=1
	s_or_b32 exec_lo, exec_lo, s29
	s_and_saveexec_b32 s29, s4
	s_cbranch_execnz .LBB273_19
.LBB273_17:                             ;   in Loop: Header=BB273_4 Depth=1
	s_or_b32 exec_lo, exec_lo, s29
	s_delay_alu instid0(SALU_CYCLE_1)
	s_and_b32 exec_lo, exec_lo, s5
	s_cbranch_execnz .LBB273_20
	s_branch .LBB273_24
.LBB273_18:                             ;   in Loop: Header=BB273_4 Depth=1
	v_mul_f64_e32 v[6:7], s[12:13], v[40:41]
	v_mul_f64_e32 v[44:45], s[10:11], v[40:41]
	s_delay_alu instid0(VALU_DEP_2) | instskip(NEXT) | instid1(VALU_DEP_2)
	v_fma_f64 v[42:43], s[10:11], v[38:39], -v[6:7]
	v_fmac_f64_e32 v[44:45], s[12:13], v[38:39]
	flat_store_b128 v[4:5], v[42:45]
	s_wait_xcnt 0x0
	s_or_b32 exec_lo, exec_lo, s29
	s_and_saveexec_b32 s29, s4
	s_cbranch_execz .LBB273_17
.LBB273_19:                             ;   in Loop: Header=BB273_4 Depth=1
	v_mul_f64_e32 v[6:7], s[12:13], v[36:37]
	v_mul_f64_e32 v[44:45], s[10:11], v[36:37]
	s_delay_alu instid0(VALU_DEP_2) | instskip(NEXT) | instid1(VALU_DEP_2)
	v_fma_f64 v[42:43], s[10:11], v[34:35], -v[6:7]
	v_fmac_f64_e32 v[44:45], s[12:13], v[34:35]
	flat_store_b128 v[4:5], v[42:45] offset:256
	s_wait_xcnt 0x0
	s_or_b32 exec_lo, exec_lo, s29
	s_delay_alu instid0(SALU_CYCLE_1)
	s_and_b32 exec_lo, exec_lo, s5
	s_cbranch_execz .LBB273_24
.LBB273_20:                             ;   in Loop: Header=BB273_4 Depth=1
	v_lshl_add_u64 v[2:3], s[6:7], 4, v[2:3]
	s_delay_alu instid0(VALU_DEP_1)
	v_lshl_add_u64 v[2:3], v[12:13], 4, v[2:3]
	s_and_saveexec_b32 s29, s3
	s_cbranch_execz .LBB273_22
; %bb.21:                               ;   in Loop: Header=BB273_4 Depth=1
	v_mul_f64_e32 v[4:5], s[12:13], v[30:31]
	v_mul_f64_e32 v[6:7], s[10:11], v[30:31]
	s_delay_alu instid0(VALU_DEP_2) | instskip(NEXT) | instid1(VALU_DEP_2)
	v_fma_f64 v[4:5], s[10:11], v[28:29], -v[4:5]
	v_fmac_f64_e32 v[6:7], s[12:13], v[28:29]
	flat_store_b128 v[2:3], v[4:7]
.LBB273_22:                             ;   in Loop: Header=BB273_4 Depth=1
	s_wait_xcnt 0x0
	s_or_b32 exec_lo, exec_lo, s29
	s_delay_alu instid0(SALU_CYCLE_1)
	s_and_b32 exec_lo, exec_lo, s4
	s_cbranch_execz .LBB273_24
; %bb.23:                               ;   in Loop: Header=BB273_4 Depth=1
	v_mul_f64_e32 v[4:5], s[12:13], v[26:27]
	v_mul_f64_e32 v[6:7], s[10:11], v[26:27]
	s_delay_alu instid0(VALU_DEP_2) | instskip(NEXT) | instid1(VALU_DEP_2)
	v_fma_f64 v[4:5], s[10:11], v[24:25], -v[4:5]
	v_fmac_f64_e32 v[6:7], s[12:13], v[24:25]
	flat_store_b128 v[2:3], v[4:7] offset:256
.LBB273_24:                             ;   in Loop: Header=BB273_4 Depth=1
	s_wait_xcnt 0x0
	s_or_b32 exec_lo, exec_lo, s28
	s_cbranch_execnz .LBB273_3
.LBB273_25:                             ;   in Loop: Header=BB273_4 Depth=1
	s_and_saveexec_b32 s28, s2
	s_cbranch_execz .LBB273_2
; %bb.26:                               ;   in Loop: Header=BB273_4 Depth=1
	v_add_nc_u64_e32 v[4:5], s[26:27], v[22:23]
	v_lshlrev_b64_e32 v[2:3], 4, v[12:13]
	v_lshl_add_u64 v[0:1], v[14:15], 4, v[0:1]
	s_delay_alu instid0(VALU_DEP_3) | instskip(NEXT) | instid1(VALU_DEP_2)
	v_lshl_add_u64 v[4:5], v[16:17], 4, v[4:5]
	v_add_nc_u64_e32 v[6:7], v[0:1], v[2:3]
	s_delay_alu instid0(VALU_DEP_2)
	v_add_nc_u64_e32 v[22:23], v[4:5], v[2:3]
	s_and_saveexec_b32 s29, s3
	s_cbranch_execnz .LBB273_29
; %bb.27:                               ;   in Loop: Header=BB273_4 Depth=1
	s_or_b32 exec_lo, exec_lo, s29
	s_and_saveexec_b32 s29, s4
	s_cbranch_execnz .LBB273_30
.LBB273_28:                             ;   in Loop: Header=BB273_4 Depth=1
	s_or_b32 exec_lo, exec_lo, s29
	s_delay_alu instid0(SALU_CYCLE_1)
	s_and_b32 exec_lo, exec_lo, s5
	s_cbranch_execz .LBB273_2
	s_branch .LBB273_31
.LBB273_29:                             ;   in Loop: Header=BB273_4 Depth=1
	flat_load_b128 v[42:45], v[22:23]
	v_mul_f64_e32 v[32:33], s[12:13], v[40:41]
	v_mul_f64_e32 v[40:41], s[10:11], v[40:41]
	s_delay_alu instid0(VALU_DEP_2) | instskip(NEXT) | instid1(VALU_DEP_2)
	v_fma_f64 v[32:33], s[10:11], v[38:39], -v[32:33]
	v_fmac_f64_e32 v[40:41], s[12:13], v[38:39]
	s_wait_loadcnt_dscnt 0x0
	v_mul_f64_e32 v[50:51], s[44:45], v[44:45]
	v_mul_f64_e32 v[44:45], s[42:43], v[44:45]
	s_delay_alu instid0(VALU_DEP_2) | instskip(NEXT) | instid1(VALU_DEP_2)
	v_fma_f64 v[38:39], s[42:43], v[42:43], -v[50:51]
	v_fmac_f64_e32 v[44:45], s[44:45], v[42:43]
	s_delay_alu instid0(VALU_DEP_2) | instskip(NEXT) | instid1(VALU_DEP_2)
	v_add_f64_e32 v[38:39], v[32:33], v[38:39]
	v_add_f64_e32 v[40:41], v[40:41], v[44:45]
	flat_store_b128 v[6:7], v[38:41]
	s_wait_xcnt 0x0
	s_or_b32 exec_lo, exec_lo, s29
	s_and_saveexec_b32 s29, s4
	s_cbranch_execz .LBB273_28
.LBB273_30:                             ;   in Loop: Header=BB273_4 Depth=1
	flat_load_b128 v[38:41], v[22:23] offset:256
	s_wait_xcnt 0x0
	v_mul_f64_e32 v[22:23], s[12:13], v[36:37]
	v_mul_f64_e32 v[36:37], s[10:11], v[36:37]
	s_delay_alu instid0(VALU_DEP_2) | instskip(NEXT) | instid1(VALU_DEP_2)
	v_fma_f64 v[22:23], s[10:11], v[34:35], -v[22:23]
	v_fmac_f64_e32 v[36:37], s[12:13], v[34:35]
	s_wait_loadcnt_dscnt 0x0
	v_mul_f64_e32 v[32:33], s[44:45], v[40:41]
	v_mul_f64_e32 v[40:41], s[42:43], v[40:41]
	s_delay_alu instid0(VALU_DEP_2) | instskip(NEXT) | instid1(VALU_DEP_2)
	v_fma_f64 v[32:33], s[42:43], v[38:39], -v[32:33]
	v_fmac_f64_e32 v[40:41], s[44:45], v[38:39]
	s_delay_alu instid0(VALU_DEP_2) | instskip(NEXT) | instid1(VALU_DEP_2)
	v_add_f64_e32 v[32:33], v[22:23], v[32:33]
	v_add_f64_e32 v[34:35], v[36:37], v[40:41]
	flat_store_b128 v[6:7], v[32:35] offset:256
	s_wait_xcnt 0x0
	s_or_b32 exec_lo, exec_lo, s29
	s_delay_alu instid0(SALU_CYCLE_1)
	s_and_b32 exec_lo, exec_lo, s5
	s_cbranch_execz .LBB273_2
.LBB273_31:                             ;   in Loop: Header=BB273_4 Depth=1
	v_lshl_add_u64 v[4:5], s[16:17], 4, v[4:5]
	v_lshl_add_u64 v[0:1], s[6:7], 4, v[0:1]
	s_delay_alu instid0(VALU_DEP_2) | instskip(NEXT) | instid1(VALU_DEP_2)
	v_add_nc_u64_e32 v[4:5], v[4:5], v[2:3]
	v_add_nc_u64_e32 v[0:1], v[0:1], v[2:3]
	s_and_saveexec_b32 s29, s3
	s_cbranch_execz .LBB273_33
; %bb.32:                               ;   in Loop: Header=BB273_4 Depth=1
	flat_load_b128 v[32:35], v[4:5]
	v_mul_f64_e32 v[2:3], s[12:13], v[30:31]
	v_mul_f64_e32 v[6:7], s[10:11], v[30:31]
	s_delay_alu instid0(VALU_DEP_2) | instskip(NEXT) | instid1(VALU_DEP_2)
	v_fma_f64 v[2:3], s[10:11], v[28:29], -v[2:3]
	v_fmac_f64_e32 v[6:7], s[12:13], v[28:29]
	s_wait_loadcnt_dscnt 0x0
	v_mul_f64_e32 v[22:23], s[44:45], v[34:35]
	v_mul_f64_e32 v[30:31], s[42:43], v[34:35]
	s_delay_alu instid0(VALU_DEP_2) | instskip(NEXT) | instid1(VALU_DEP_2)
	v_fma_f64 v[22:23], s[42:43], v[32:33], -v[22:23]
	v_fmac_f64_e32 v[30:31], s[44:45], v[32:33]
	s_delay_alu instid0(VALU_DEP_2) | instskip(NEXT) | instid1(VALU_DEP_2)
	v_add_f64_e32 v[28:29], v[2:3], v[22:23]
	v_add_f64_e32 v[30:31], v[6:7], v[30:31]
	flat_store_b128 v[0:1], v[28:31]
.LBB273_33:                             ;   in Loop: Header=BB273_4 Depth=1
	s_wait_xcnt 0x0
	s_or_b32 exec_lo, exec_lo, s29
	s_delay_alu instid0(SALU_CYCLE_1)
	s_and_b32 exec_lo, exec_lo, s4
	s_cbranch_execz .LBB273_2
; %bb.34:                               ;   in Loop: Header=BB273_4 Depth=1
	flat_load_b128 v[2:5], v[4:5] offset:256
	v_mul_f64_e32 v[6:7], s[12:13], v[26:27]
	v_mul_f64_e32 v[22:23], s[10:11], v[26:27]
	s_delay_alu instid0(VALU_DEP_2) | instskip(NEXT) | instid1(VALU_DEP_2)
	v_fma_f64 v[6:7], s[10:11], v[24:25], -v[6:7]
	v_fmac_f64_e32 v[22:23], s[12:13], v[24:25]
	s_wait_loadcnt_dscnt 0x0
	v_mul_f64_e32 v[26:27], s[44:45], v[4:5]
	s_wait_xcnt 0x0
	v_mul_f64_e32 v[4:5], s[42:43], v[4:5]
	s_delay_alu instid0(VALU_DEP_2) | instskip(NEXT) | instid1(VALU_DEP_2)
	v_fma_f64 v[24:25], s[42:43], v[2:3], -v[26:27]
	v_fmac_f64_e32 v[4:5], s[44:45], v[2:3]
	s_delay_alu instid0(VALU_DEP_2) | instskip(NEXT) | instid1(VALU_DEP_2)
	v_add_f64_e32 v[2:3], v[6:7], v[24:25]
	v_add_f64_e32 v[4:5], v[22:23], v[4:5]
	flat_store_b128 v[0:1], v[2:5] offset:256
	s_branch .LBB273_2
.LBB273_35:
	s_sendmsg sendmsg(MSG_DEALLOC_VGPRS)
	s_endpgm
	.section	.rodata,"a",@progbits
	.p2align	6, 0x0
	.amdhsa_kernel _ZN12_GLOBAL__N_135rocblas_gemm_batched_general_kernelI19rocblas_complex_numIdELi16ELi16ELi32ELi32ELi8ELi32ELi8ELi8ELi32ELc67ELc67EKPKS2_S5_KPS2_EEvlllT_PT11_llSA_llS8_PT12_llPT13_lli
		.amdhsa_group_segment_fixed_size 8192
		.amdhsa_private_segment_fixed_size 0
		.amdhsa_kernarg_size 156
		.amdhsa_user_sgpr_count 2
		.amdhsa_user_sgpr_dispatch_ptr 0
		.amdhsa_user_sgpr_queue_ptr 0
		.amdhsa_user_sgpr_kernarg_segment_ptr 1
		.amdhsa_user_sgpr_dispatch_id 0
		.amdhsa_user_sgpr_kernarg_preload_length 0
		.amdhsa_user_sgpr_kernarg_preload_offset 0
		.amdhsa_user_sgpr_private_segment_size 0
		.amdhsa_wavefront_size32 1
		.amdhsa_uses_dynamic_stack 0
		.amdhsa_enable_private_segment 0
		.amdhsa_system_sgpr_workgroup_id_x 1
		.amdhsa_system_sgpr_workgroup_id_y 1
		.amdhsa_system_sgpr_workgroup_id_z 1
		.amdhsa_system_sgpr_workgroup_info 0
		.amdhsa_system_vgpr_workitem_id 1
		.amdhsa_next_free_vgpr 132
		.amdhsa_next_free_sgpr 52
		.amdhsa_named_barrier_count 0
		.amdhsa_reserve_vcc 1
		.amdhsa_float_round_mode_32 0
		.amdhsa_float_round_mode_16_64 0
		.amdhsa_float_denorm_mode_32 3
		.amdhsa_float_denorm_mode_16_64 3
		.amdhsa_fp16_overflow 0
		.amdhsa_memory_ordered 1
		.amdhsa_forward_progress 1
		.amdhsa_inst_pref_size 24
		.amdhsa_round_robin_scheduling 0
		.amdhsa_exception_fp_ieee_invalid_op 0
		.amdhsa_exception_fp_denorm_src 0
		.amdhsa_exception_fp_ieee_div_zero 0
		.amdhsa_exception_fp_ieee_overflow 0
		.amdhsa_exception_fp_ieee_underflow 0
		.amdhsa_exception_fp_ieee_inexact 0
		.amdhsa_exception_int_div_zero 0
	.end_amdhsa_kernel
	.section	.text._ZN12_GLOBAL__N_135rocblas_gemm_batched_general_kernelI19rocblas_complex_numIdELi16ELi16ELi32ELi32ELi8ELi32ELi8ELi8ELi32ELc67ELc67EKPKS2_S5_KPS2_EEvlllT_PT11_llSA_llS8_PT12_llPT13_lli,"axG",@progbits,_ZN12_GLOBAL__N_135rocblas_gemm_batched_general_kernelI19rocblas_complex_numIdELi16ELi16ELi32ELi32ELi8ELi32ELi8ELi8ELi32ELc67ELc67EKPKS2_S5_KPS2_EEvlllT_PT11_llSA_llS8_PT12_llPT13_lli,comdat
.Lfunc_end273:
	.size	_ZN12_GLOBAL__N_135rocblas_gemm_batched_general_kernelI19rocblas_complex_numIdELi16ELi16ELi32ELi32ELi8ELi32ELi8ELi8ELi32ELc67ELc67EKPKS2_S5_KPS2_EEvlllT_PT11_llSA_llS8_PT12_llPT13_lli, .Lfunc_end273-_ZN12_GLOBAL__N_135rocblas_gemm_batched_general_kernelI19rocblas_complex_numIdELi16ELi16ELi32ELi32ELi8ELi32ELi8ELi8ELi32ELc67ELc67EKPKS2_S5_KPS2_EEvlllT_PT11_llSA_llS8_PT12_llPT13_lli
                                        ; -- End function
	.set _ZN12_GLOBAL__N_135rocblas_gemm_batched_general_kernelI19rocblas_complex_numIdELi16ELi16ELi32ELi32ELi8ELi32ELi8ELi8ELi32ELc67ELc67EKPKS2_S5_KPS2_EEvlllT_PT11_llSA_llS8_PT12_llPT13_lli.num_vgpr, 132
	.set _ZN12_GLOBAL__N_135rocblas_gemm_batched_general_kernelI19rocblas_complex_numIdELi16ELi16ELi32ELi32ELi8ELi32ELi8ELi8ELi32ELc67ELc67EKPKS2_S5_KPS2_EEvlllT_PT11_llSA_llS8_PT12_llPT13_lli.num_agpr, 0
	.set _ZN12_GLOBAL__N_135rocblas_gemm_batched_general_kernelI19rocblas_complex_numIdELi16ELi16ELi32ELi32ELi8ELi32ELi8ELi8ELi32ELc67ELc67EKPKS2_S5_KPS2_EEvlllT_PT11_llSA_llS8_PT12_llPT13_lli.numbered_sgpr, 52
	.set _ZN12_GLOBAL__N_135rocblas_gemm_batched_general_kernelI19rocblas_complex_numIdELi16ELi16ELi32ELi32ELi8ELi32ELi8ELi8ELi32ELc67ELc67EKPKS2_S5_KPS2_EEvlllT_PT11_llSA_llS8_PT12_llPT13_lli.num_named_barrier, 0
	.set _ZN12_GLOBAL__N_135rocblas_gemm_batched_general_kernelI19rocblas_complex_numIdELi16ELi16ELi32ELi32ELi8ELi32ELi8ELi8ELi32ELc67ELc67EKPKS2_S5_KPS2_EEvlllT_PT11_llSA_llS8_PT12_llPT13_lli.private_seg_size, 0
	.set _ZN12_GLOBAL__N_135rocblas_gemm_batched_general_kernelI19rocblas_complex_numIdELi16ELi16ELi32ELi32ELi8ELi32ELi8ELi8ELi32ELc67ELc67EKPKS2_S5_KPS2_EEvlllT_PT11_llSA_llS8_PT12_llPT13_lli.uses_vcc, 1
	.set _ZN12_GLOBAL__N_135rocblas_gemm_batched_general_kernelI19rocblas_complex_numIdELi16ELi16ELi32ELi32ELi8ELi32ELi8ELi8ELi32ELc67ELc67EKPKS2_S5_KPS2_EEvlllT_PT11_llSA_llS8_PT12_llPT13_lli.uses_flat_scratch, 0
	.set _ZN12_GLOBAL__N_135rocblas_gemm_batched_general_kernelI19rocblas_complex_numIdELi16ELi16ELi32ELi32ELi8ELi32ELi8ELi8ELi32ELc67ELc67EKPKS2_S5_KPS2_EEvlllT_PT11_llSA_llS8_PT12_llPT13_lli.has_dyn_sized_stack, 0
	.set _ZN12_GLOBAL__N_135rocblas_gemm_batched_general_kernelI19rocblas_complex_numIdELi16ELi16ELi32ELi32ELi8ELi32ELi8ELi8ELi32ELc67ELc67EKPKS2_S5_KPS2_EEvlllT_PT11_llSA_llS8_PT12_llPT13_lli.has_recursion, 0
	.set _ZN12_GLOBAL__N_135rocblas_gemm_batched_general_kernelI19rocblas_complex_numIdELi16ELi16ELi32ELi32ELi8ELi32ELi8ELi8ELi32ELc67ELc67EKPKS2_S5_KPS2_EEvlllT_PT11_llSA_llS8_PT12_llPT13_lli.has_indirect_call, 0
	.section	.AMDGPU.csdata,"",@progbits
; Kernel info:
; codeLenInByte = 3056
; TotalNumSgprs: 54
; NumVgprs: 132
; ScratchSize: 0
; MemoryBound: 1
; FloatMode: 240
; IeeeMode: 1
; LDSByteSize: 8192 bytes/workgroup (compile time only)
; SGPRBlocks: 0
; VGPRBlocks: 8
; NumSGPRsForWavesPerEU: 54
; NumVGPRsForWavesPerEU: 132
; NamedBarCnt: 0
; Occupancy: 7
; WaveLimiterHint : 1
; COMPUTE_PGM_RSRC2:SCRATCH_EN: 0
; COMPUTE_PGM_RSRC2:USER_SGPR: 2
; COMPUTE_PGM_RSRC2:TRAP_HANDLER: 0
; COMPUTE_PGM_RSRC2:TGID_X_EN: 1
; COMPUTE_PGM_RSRC2:TGID_Y_EN: 1
; COMPUTE_PGM_RSRC2:TGID_Z_EN: 1
; COMPUTE_PGM_RSRC2:TIDIG_COMP_CNT: 1
	.section	.text._ZN12_GLOBAL__N_135rocblas_gemm_batched_general_kernelI19rocblas_complex_numIdELi16ELi16ELi32ELi32ELi8ELi32ELi8ELi8ELi32ELc67ELc78EKPKS2_S5_KPS2_EEvlllT_PT11_llSA_llS8_PT12_llPT13_lli,"axG",@progbits,_ZN12_GLOBAL__N_135rocblas_gemm_batched_general_kernelI19rocblas_complex_numIdELi16ELi16ELi32ELi32ELi8ELi32ELi8ELi8ELi32ELc67ELc78EKPKS2_S5_KPS2_EEvlllT_PT11_llSA_llS8_PT12_llPT13_lli,comdat
	.globl	_ZN12_GLOBAL__N_135rocblas_gemm_batched_general_kernelI19rocblas_complex_numIdELi16ELi16ELi32ELi32ELi8ELi32ELi8ELi8ELi32ELc67ELc78EKPKS2_S5_KPS2_EEvlllT_PT11_llSA_llS8_PT12_llPT13_lli ; -- Begin function _ZN12_GLOBAL__N_135rocblas_gemm_batched_general_kernelI19rocblas_complex_numIdELi16ELi16ELi32ELi32ELi8ELi32ELi8ELi8ELi32ELc67ELc78EKPKS2_S5_KPS2_EEvlllT_PT11_llSA_llS8_PT12_llPT13_lli
	.p2align	8
	.type	_ZN12_GLOBAL__N_135rocblas_gemm_batched_general_kernelI19rocblas_complex_numIdELi16ELi16ELi32ELi32ELi8ELi32ELi8ELi8ELi32ELc67ELc78EKPKS2_S5_KPS2_EEvlllT_PT11_llSA_llS8_PT12_llPT13_lli,@function
_ZN12_GLOBAL__N_135rocblas_gemm_batched_general_kernelI19rocblas_complex_numIdELi16ELi16ELi32ELi32ELi8ELi32ELi8ELi8ELi32ELc67ELc78EKPKS2_S5_KPS2_EEvlllT_PT11_llSA_llS8_PT12_llPT13_lli: ; @_ZN12_GLOBAL__N_135rocblas_gemm_batched_general_kernelI19rocblas_complex_numIdELi16ELi16ELi32ELi32ELi8ELi32ELi8ELi8ELi32ELc67ELc78EKPKS2_S5_KPS2_EEvlllT_PT11_llSA_llS8_PT12_llPT13_lli
; %bb.0:
	s_load_b32 s28, s[0:1], 0x98
	s_bfe_u32 s2, ttmp6, 0x40014
	s_lshr_b32 s3, ttmp7, 16
	s_add_co_i32 s2, s2, 1
	s_bfe_u32 s5, ttmp6, 0x40008
	s_mul_i32 s4, s3, s2
	s_getreg_b32 s2, hwreg(HW_REG_IB_STS2, 6, 4)
	s_add_co_i32 s5, s5, s4
	s_cmp_eq_u32 s2, 0
	s_mov_b32 s25, 0
	s_cselect_b32 s24, s3, s5
	s_wait_kmcnt 0x0
	s_cmp_ge_i32 s24, s28
	s_cbranch_scc1 .LBB274_37
; %bb.1:
	v_bfe_u32 v4, v0, 10, 10
	v_and_b32_e32 v6, 0x3ff, v0
	s_bfe_u32 s3, ttmp6, 0x4000c
	s_bfe_u32 s21, ttmp6, 0x40010
	s_clause 0x1
	s_load_b512 s[4:19], s[0:1], 0x0
	s_load_b512 s[36:51], s[0:1], 0x40
	s_add_co_i32 s3, s3, 1
	s_and_b32 s22, ttmp7, 0xffff
	s_add_co_i32 s21, s21, 1
	s_and_b32 s20, ttmp6, 15
	s_mul_i32 s3, ttmp9, s3
	s_mul_i32 s21, s22, s21
	s_bfe_u32 s23, ttmp6, 0x40004
	v_lshl_add_u32 v1, v4, 4, v6
	s_add_co_i32 s20, s20, s3
	s_add_co_i32 s23, s23, s21
	s_cmp_eq_u32 s2, 0
	s_delay_alu instid0(VALU_DEP_1) | instskip(SKIP_3) | instid1(VALU_DEP_1)
	v_dual_mov_b32 v2, 0 :: v_dual_bitop2_b32 v3, 31, v1 bitop3:0x40
	s_cselect_b32 s2, ttmp9, s20
	s_cselect_b32 s20, s22, s23
	s_ashr_i32 s3, s2, 31
	v_dual_mov_b32 v11, v2 :: v_dual_lshrrev_b32 v10, 3, v1
	s_lshl_b64 s[2:3], s[2:3], 5
	s_lshl_b32 s26, s20, 5
	v_dual_mov_b32 v13, s3 :: v_dual_bitop2_b32 v12, s2, v3 bitop3:0x54
	s_mov_b32 s27, s25
	s_clause 0x1
	s_load_b128 s[20:23], s[0:1], 0x80
	s_load_b64 s[34:35], s[0:1], 0x90
	v_add_nc_u64_e32 v[14:15], s[26:27], v[10:11]
	s_wait_kmcnt 0x0
	v_mul_u64_e32 v[16:17], s[16:17], v[12:13]
	v_dual_mov_b32 v5, v2 :: v_dual_bitop2_b32 v0, 7, v0 bitop3:0x40
	v_cmp_eq_f64_e64 s29, s[42:43], 0
	v_cmp_eq_f64_e64 s30, s[44:45], 0
	v_mov_b32_e32 v9, v2
	v_mul_u64_e32 v[18:19], s[38:39], v[14:15]
	v_add_nc_u64_e32 v[20:21], s[26:27], v[4:5]
	v_lshlrev_b32_e32 v22, 4, v0
	v_cmp_gt_i64_e64 s0, s[4:5], v[12:13]
	v_dual_mov_b32 v7, v2 :: v_dual_lshrrev_b32 v8, 5, v1
	v_cmp_gt_i64_e32 vcc_lo, s[6:7], v[14:15]
	s_delay_alu instid0(VALU_DEP_4) | instskip(SKIP_1) | instid1(VALU_DEP_4)
	v_lshl_or_b32 v5, v10, 7, v22
	v_mul_u64_e32 v[12:13], s[48:49], v[20:21]
	v_add_nc_u64_e32 v[14:15], s[2:3], v[6:7]
	s_lshl_b64 s[2:3], s[18:19], 4
	v_mul_u64_e32 v[10:11], s[22:23], v[20:21]
	v_lshlrev_b32_e32 v46, 4, v6
	v_add_nc_u32_e32 v45, 0x1000, v5
	v_lshl_add_u32 v47, v4, 7, 0x1000
	v_cmp_gt_i64_e64 s1, s[6:7], v[20:21]
	v_add_nc_u64_e32 v[4:5], 16, v[14:15]
	v_add_nc_u64_e32 v[20:21], 16, v[20:21]
	s_lshl_b64 s[16:17], s[40:41], 4
	v_dual_mov_b32 v23, v2 :: v_dual_mov_b32 v1, v2
	v_lshlrev_b32_e32 v3, 4, v3
	s_lshl_b64 s[18:19], s[34:35], 4
	v_lshl_add_u64 v[6:7], v[16:17], 4, s[2:3]
	v_dual_mov_b32 v17, v2 :: v_dual_lshlrev_b32 v16, 4, v8
	v_cmp_gt_i64_e64 s2, s[4:5], v[14:15]
	v_cmp_gt_i64_e64 s3, s[4:5], v[4:5]
	;; [unrolled: 1-line block ×3, first 2 shown]
	v_lshl_add_u64 v[18:19], v[18:19], 4, s[16:17]
	v_add_nc_u64_e32 v[16:17], v[6:7], v[16:17]
	v_cmp_gt_i64_e64 s5, s[8:9], 0
	v_lshl_or_b32 v44, v8, 9, v3
	s_and_b32 s29, s29, s30
	v_add_nc_u64_e32 v[18:19], v[18:19], v[22:23]
	s_lshl_b64 s[6:7], s[22:23], 4
	s_lshl_b64 s[16:17], s[48:49], 4
	v_or_b32_e32 v16, 8, v16
	s_xor_b32 s30, vcc_lo, -1
	s_lshl_b64 s[22:23], s[50:51], 4
	s_branch .LBB274_4
.LBB274_2:                              ;   in Loop: Header=BB274_4 Depth=1
	s_wait_xcnt 0x0
	s_or_b32 exec_lo, exec_lo, s26
.LBB274_3:                              ;   in Loop: Header=BB274_4 Depth=1
	s_add_co_i32 s24, s24, 0x10000
	s_delay_alu instid0(SALU_CYCLE_1)
	s_cmp_lt_i32 s24, s28
	s_cbranch_scc0 .LBB274_37
.LBB274_4:                              ; =>This Loop Header: Depth=1
                                        ;     Child Loop BB274_7 Depth 2
	s_wait_xcnt 0x0
	v_mov_b32_e32 v3, s24
	s_and_not1_b32 vcc_lo, exec_lo, s5
	s_clause 0x1
	global_load_b64 v[20:21], v3, s[46:47] scale_offset
	global_load_b64 v[30:31], v3, s[20:21] scale_offset
	s_cbranch_vccnz .LBB274_13
; %bb.5:                                ;   in Loop: Header=BB274_4 Depth=1
	s_lshl_b64 s[26:27], s[24:25], 3
	v_mov_b64_e32 v[24:25], 0
	s_add_nc_u64 s[34:35], s[36:37], s[26:27]
	s_add_nc_u64 s[26:27], s[14:15], s[26:27]
	s_clause 0x1
	global_load_b64 v[4:5], v2, s[34:35]
	global_load_b64 v[6:7], v2, s[26:27]
	v_mov_b64_e32 v[22:23], 0
	v_mov_b64_e32 v[28:29], 0
	v_mov_b64_e32 v[26:27], 0
	v_mov_b64_e32 v[34:35], 0
	v_mov_b64_e32 v[32:33], 0
	v_mov_b64_e32 v[38:39], 0
	v_mov_b64_e32 v[36:37], 0
	s_wait_xcnt 0x0
	s_mov_b64 s[26:27], 0
	s_wait_loadcnt 0x1
	v_add_nc_u64_e32 v[40:41], v[4:5], v[18:19]
	s_wait_loadcnt 0x0
	v_add_nc_u64_e32 v[42:43], v[6:7], v[16:17]
	s_branch .LBB274_7
.LBB274_6:                              ;   in Loop: Header=BB274_7 Depth=2
	s_wait_xcnt 0x0
	s_or_b32 exec_lo, exec_lo, s31
	s_wait_dscnt 0x0
	s_barrier_signal -1
	s_barrier_wait -1
	ds_load_b128 v[4:7], v47
	ds_load_b128 v[48:51], v46
	ds_load_b128 v[52:55], v46 offset:256
	ds_load_b128 v[56:59], v47 offset:2048
	;; [unrolled: 1-line block ×10, first 2 shown]
	s_add_nc_u64 s[26:27], s[26:27], 8
	v_add_nc_u64_e32 v[40:41], 0x80, v[40:41]
	v_cmp_lt_i64_e64 s31, s[26:27], s[8:9]
	v_add_nc_u64_e32 v[42:43], 0x80, v[42:43]
	s_and_b32 vcc_lo, exec_lo, s31
	s_wait_dscnt 0xa
	v_mul_f64_e32 v[92:93], v[6:7], v[50:51]
	v_mul_f64_e32 v[94:95], v[4:5], v[50:51]
	s_wait_dscnt 0x9
	v_mul_f64_e32 v[96:97], v[6:7], v[54:55]
	v_mul_f64_e32 v[98:99], v[4:5], v[54:55]
	s_wait_dscnt 0x8
	v_mul_f64_e32 v[100:101], v[58:59], v[50:51]
	v_mul_f64_e32 v[102:103], v[56:57], v[50:51]
	v_mul_f64_e32 v[50:51], v[58:59], v[54:55]
	v_mul_f64_e32 v[104:105], v[56:57], v[54:55]
	s_wait_dscnt 0x6
	v_mul_f64_e32 v[106:107], v[62:63], v[66:67]
	v_mul_f64_e32 v[108:109], v[60:61], v[66:67]
	s_wait_dscnt 0x5
	v_mul_f64_e32 v[110:111], v[62:63], v[70:71]
	v_mul_f64_e32 v[112:113], v[60:61], v[70:71]
	s_wait_dscnt 0x4
	v_mul_f64_e32 v[114:115], v[74:75], v[66:67]
	v_mul_f64_e32 v[66:67], v[72:73], v[66:67]
	v_mul_f64_e32 v[116:117], v[74:75], v[70:71]
	v_mul_f64_e32 v[70:71], v[72:73], v[70:71]
	;; [unrolled: 11-line block ×3, first 2 shown]
	v_fma_f64 v[92:93], v[4:5], v[48:49], -v[92:93]
	v_fmac_f64_e32 v[94:95], v[6:7], v[48:49]
	v_fma_f64 v[96:97], v[4:5], v[52:53], -v[96:97]
	v_fmac_f64_e32 v[98:99], v[6:7], v[52:53]
	;; [unrolled: 2-line block ×8, first 2 shown]
	ds_load_b128 v[4:7], v47 offset:48
	ds_load_b128 v[48:51], v47 offset:2096
	;; [unrolled: 1-line block ×4, first 2 shown]
	v_fma_f64 v[120:121], v[76:77], v[80:81], -v[120:121]
	v_fmac_f64_e32 v[122:123], v[78:79], v[80:81]
	v_fma_f64 v[76:77], v[76:77], v[84:85], -v[124:125]
	v_fmac_f64_e32 v[126:127], v[78:79], v[84:85]
	;; [unrolled: 2-line block ×4, first 2 shown]
	v_add_f64_e32 v[68:69], v[36:37], v[92:93]
	v_add_f64_e32 v[72:73], v[94:95], v[38:39]
	v_add_f64_e32 v[74:75], v[32:33], v[96:97]
	v_add_f64_e32 v[92:93], v[98:99], v[34:35]
	v_add_f64_e32 v[94:95], v[26:27], v[100:101]
	v_add_f64_e32 v[96:97], v[102:103], v[28:29]
	v_add_f64_e32 v[98:99], v[22:23], v[118:119]
	v_add_f64_e32 v[100:101], v[104:105], v[24:25]
	s_wait_dscnt 0x1
	v_mul_f64_e32 v[102:103], v[6:7], v[54:55]
	v_mul_f64_e32 v[104:105], v[4:5], v[54:55]
	s_wait_dscnt 0x0
	v_mul_f64_e32 v[110:111], v[6:7], v[58:59]
	v_mul_f64_e32 v[114:115], v[4:5], v[58:59]
	;; [unrolled: 1-line block ×6, first 2 shown]
	ds_load_b128 v[22:25], v47 offset:64
	ds_load_b128 v[26:29], v46 offset:2048
	;; [unrolled: 1-line block ×4, first 2 shown]
	v_add_f64_e32 v[84:85], v[68:69], v[106:107]
	v_add_f64_e32 v[88:89], v[108:109], v[72:73]
	;; [unrolled: 1-line block ×8, first 2 shown]
	s_wait_dscnt 0x2
	v_mul_f64_e32 v[100:101], v[24:25], v[28:29]
	v_mul_f64_e32 v[106:107], v[22:23], v[28:29]
	s_wait_dscnt 0x1
	v_mul_f64_e32 v[108:109], v[24:25], v[34:35]
	v_mul_f64_e32 v[112:113], v[22:23], v[34:35]
	;; [unrolled: 3-line block ×3, first 2 shown]
	v_mul_f64_e32 v[28:29], v[38:39], v[34:35]
	v_mul_f64_e32 v[130:131], v[36:37], v[34:35]
	v_fma_f64 v[34:35], v[4:5], v[52:53], -v[102:103]
	v_fmac_f64_e32 v[104:105], v[6:7], v[52:53]
	v_fma_f64 v[102:103], v[4:5], v[56:57], -v[110:111]
	v_fmac_f64_e32 v[114:115], v[6:7], v[56:57]
	;; [unrolled: 2-line block ×4, first 2 shown]
	ds_load_b128 v[58:61], v47 offset:80
	ds_load_b128 v[62:65], v47 offset:2128
	;; [unrolled: 1-line block ×4, first 2 shown]
	v_add_f64_e32 v[56:57], v[84:85], v[120:121]
	v_add_f64_e32 v[84:85], v[122:123], v[88:89]
	;; [unrolled: 1-line block ×8, first 2 shown]
	v_fma_f64 v[100:101], v[22:23], v[26:27], -v[100:101]
	v_fmac_f64_e32 v[106:107], v[24:25], v[26:27]
	v_fma_f64 v[108:109], v[22:23], v[32:33], -v[108:109]
	s_wait_dscnt 0x1
	v_mul_f64_e32 v[92:93], v[60:61], v[68:69]
	v_mul_f64_e32 v[94:95], v[58:59], v[68:69]
	s_wait_dscnt 0x0
	v_mul_f64_e32 v[96:97], v[60:61], v[72:73]
	v_mul_f64_e32 v[98:99], v[58:59], v[72:73]
	;; [unrolled: 1-line block ×6, first 2 shown]
	v_fmac_f64_e32 v[112:113], v[24:25], v[32:33]
	v_fma_f64 v[124:125], v[36:37], v[26:27], -v[124:125]
	v_fmac_f64_e32 v[128:129], v[38:39], v[26:27]
	v_fma_f64 v[126:127], v[36:37], v[32:33], -v[28:29]
	v_fmac_f64_e32 v[130:131], v[38:39], v[32:33]
	ds_load_b128 v[4:7], v47 offset:96
	ds_load_b128 v[48:51], v46 offset:3072
	;; [unrolled: 1-line block ×4, first 2 shown]
	v_add_f64_e32 v[56:57], v[56:57], v[34:35]
	v_add_f64_e32 v[84:85], v[104:105], v[84:85]
	;; [unrolled: 1-line block ×8, first 2 shown]
	ds_load_b128 v[22:25], v47 offset:112
	ds_load_b128 v[26:29], v47 offset:2160
	;; [unrolled: 1-line block ×4, first 2 shown]
	s_wait_dscnt 0x0
	v_mul_f64_e32 v[102:103], v[6:7], v[50:51]
	v_mul_f64_e32 v[104:105], v[4:5], v[50:51]
	;; [unrolled: 1-line block ×8, first 2 shown]
	v_fma_f64 v[92:93], v[58:59], v[66:67], -v[92:93]
	v_fmac_f64_e32 v[94:95], v[60:61], v[66:67]
	v_fma_f64 v[58:59], v[58:59], v[70:71], -v[96:97]
	v_fmac_f64_e32 v[98:99], v[60:61], v[70:71]
	;; [unrolled: 2-line block ×4, first 2 shown]
	s_barrier_signal -1
	s_barrier_wait -1
	v_mul_f64_e32 v[96:97], v[22:23], v[38:39]
	v_add_f64_e32 v[56:57], v[56:57], v[100:101]
	v_add_f64_e32 v[64:65], v[106:107], v[84:85]
	;; [unrolled: 1-line block ×8, first 2 shown]
	v_mul_f64_e32 v[86:87], v[24:25], v[34:35]
	v_mul_f64_e32 v[88:89], v[22:23], v[34:35]
	;; [unrolled: 1-line block ×7, first 2 shown]
	v_fma_f64 v[38:39], v[4:5], v[48:49], -v[102:103]
	v_fmac_f64_e32 v[104:105], v[6:7], v[48:49]
	v_fma_f64 v[4:5], v[4:5], v[52:53], -v[110:111]
	v_fmac_f64_e32 v[114:115], v[6:7], v[52:53]
	;; [unrolled: 2-line block ×4, first 2 shown]
	v_fmac_f64_e32 v[96:97], v[24:25], v[36:37]
	v_add_f64_e32 v[52:53], v[56:57], v[92:93]
	v_add_f64_e32 v[56:57], v[94:95], v[64:65]
	;; [unrolled: 1-line block ×8, first 2 shown]
	v_fma_f64 v[70:71], v[22:23], v[32:33], -v[86:87]
	v_fmac_f64_e32 v[88:89], v[24:25], v[32:33]
	v_fma_f64 v[22:23], v[22:23], v[36:37], -v[90:91]
	v_fma_f64 v[24:25], v[26:27], v[32:33], -v[100:101]
	v_fmac_f64_e32 v[106:107], v[28:29], v[32:33]
	v_fma_f64 v[72:73], v[26:27], v[36:37], -v[34:35]
	v_fmac_f64_e32 v[108:109], v[28:29], v[36:37]
	v_add_f64_e32 v[26:27], v[52:53], v[38:39]
	v_add_f64_e32 v[28:29], v[104:105], v[56:57]
	;; [unrolled: 1-line block ×16, first 2 shown]
	s_cbranch_vccz .LBB274_14
.LBB274_7:                              ;   Parent Loop BB274_4 Depth=1
                                        ; =>  This Inner Loop Header: Depth=2
	v_add_nc_u64_e32 v[4:5], s[26:27], v[8:9]
	v_mov_b64_e32 v[6:7], 0
	s_delay_alu instid0(VALU_DEP_2) | instskip(SKIP_2) | instid1(SALU_CYCLE_1)
	v_cmp_gt_i64_e32 vcc_lo, s[8:9], v[4:5]
	v_mov_b64_e32 v[4:5], 0
	s_and_b32 s33, s0, vcc_lo
	s_and_saveexec_b32 s31, s33
	s_cbranch_execz .LBB274_9
; %bb.8:                                ;   in Loop: Header=BB274_7 Depth=2
	flat_load_b128 v[4:7], v[42:43] offset:-8
	s_wait_loadcnt_dscnt 0x0
	v_xor_b32_e32 v7, 0x80000000, v7
.LBB274_9:                              ;   in Loop: Header=BB274_7 Depth=2
	s_wait_xcnt 0x0
	s_or_b32 exec_lo, exec_lo, s31
	v_add_nc_u64_e32 v[48:49], s[26:27], v[0:1]
	ds_store_b128 v44, v[4:7]
	v_cmp_le_i64_e32 vcc_lo, s[8:9], v[48:49]
	s_or_b32 s31, vcc_lo, s30
	s_delay_alu instid0(SALU_CYCLE_1) | instskip(NEXT) | instid1(SALU_CYCLE_1)
	s_and_saveexec_b32 s33, s31
	s_xor_b32 s31, exec_lo, s33
; %bb.10:                               ;   in Loop: Header=BB274_7 Depth=2
	v_dual_mov_b32 v3, v2 :: v_dual_mov_b32 v4, v2
	v_mov_b32_e32 v5, v2
	ds_store_b128 v45, v[2:5]
; %bb.11:                               ;   in Loop: Header=BB274_7 Depth=2
	s_and_not1_saveexec_b32 s31, s31
	s_cbranch_execz .LBB274_6
; %bb.12:                               ;   in Loop: Header=BB274_7 Depth=2
	flat_load_b128 v[4:7], v[40:41]
	s_wait_loadcnt_dscnt 0x0
	ds_store_2addr_b64 v45, v[4:5], v[6:7] offset1:1
	s_branch .LBB274_6
.LBB274_13:                             ;   in Loop: Header=BB274_4 Depth=1
	v_mov_b64_e32 v[36:37], 0
	v_mov_b64_e32 v[38:39], 0
	;; [unrolled: 1-line block ×8, first 2 shown]
.LBB274_14:                             ;   in Loop: Header=BB274_4 Depth=1
	s_wait_loadcnt 0x0
	v_add_nc_u64_e32 v[4:5], s[18:19], v[30:31]
	s_and_not1_b32 vcc_lo, exec_lo, s29
	s_mov_b32 s26, -1
	s_cbranch_vccz .LBB274_16
; %bb.15:                               ;   in Loop: Header=BB274_4 Depth=1
	s_and_not1_b32 vcc_lo, exec_lo, s26
	s_cbranch_vccnz .LBB274_3
	s_branch .LBB274_27
.LBB274_16:                             ;   in Loop: Header=BB274_4 Depth=1
	s_wait_xcnt 0x0
	s_and_saveexec_b32 s26, s1
	s_cbranch_execz .LBB274_26
; %bb.17:                               ;   in Loop: Header=BB274_4 Depth=1
	v_lshl_add_u64 v[6:7], v[10:11], 4, v[4:5]
	s_delay_alu instid0(VALU_DEP_1)
	v_lshl_add_u64 v[30:31], v[14:15], 4, v[6:7]
	s_and_saveexec_b32 s27, s2
	s_cbranch_execnz .LBB274_20
; %bb.18:                               ;   in Loop: Header=BB274_4 Depth=1
	s_or_b32 exec_lo, exec_lo, s27
	s_and_saveexec_b32 s27, s3
	s_cbranch_execnz .LBB274_21
.LBB274_19:                             ;   in Loop: Header=BB274_4 Depth=1
	s_or_b32 exec_lo, exec_lo, s27
	s_delay_alu instid0(SALU_CYCLE_1)
	s_and_b32 exec_lo, exec_lo, s4
	s_cbranch_execnz .LBB274_22
	s_branch .LBB274_26
.LBB274_20:                             ;   in Loop: Header=BB274_4 Depth=1
	v_mul_f64_e32 v[40:41], s[12:13], v[38:39]
	v_mul_f64_e32 v[42:43], s[10:11], v[38:39]
	s_delay_alu instid0(VALU_DEP_2) | instskip(NEXT) | instid1(VALU_DEP_2)
	v_fma_f64 v[40:41], s[10:11], v[36:37], -v[40:41]
	v_fmac_f64_e32 v[42:43], s[12:13], v[36:37]
	flat_store_b128 v[30:31], v[40:43]
	s_wait_xcnt 0x0
	s_or_b32 exec_lo, exec_lo, s27
	s_and_saveexec_b32 s27, s3
	s_cbranch_execz .LBB274_19
.LBB274_21:                             ;   in Loop: Header=BB274_4 Depth=1
	v_mul_f64_e32 v[40:41], s[12:13], v[34:35]
	v_mul_f64_e32 v[42:43], s[10:11], v[34:35]
	s_delay_alu instid0(VALU_DEP_2) | instskip(NEXT) | instid1(VALU_DEP_2)
	v_fma_f64 v[40:41], s[10:11], v[32:33], -v[40:41]
	v_fmac_f64_e32 v[42:43], s[12:13], v[32:33]
	flat_store_b128 v[30:31], v[40:43] offset:256
	s_wait_xcnt 0x0
	s_or_b32 exec_lo, exec_lo, s27
	s_delay_alu instid0(SALU_CYCLE_1)
	s_and_b32 exec_lo, exec_lo, s4
	s_cbranch_execz .LBB274_26
.LBB274_22:                             ;   in Loop: Header=BB274_4 Depth=1
	v_lshl_add_u64 v[6:7], s[6:7], 4, v[6:7]
	s_delay_alu instid0(VALU_DEP_1)
	v_lshl_add_u64 v[6:7], v[14:15], 4, v[6:7]
	s_and_saveexec_b32 s27, s2
	s_cbranch_execz .LBB274_24
; %bb.23:                               ;   in Loop: Header=BB274_4 Depth=1
	v_mul_f64_e32 v[30:31], s[12:13], v[28:29]
	v_mul_f64_e32 v[42:43], s[10:11], v[28:29]
	s_delay_alu instid0(VALU_DEP_2) | instskip(NEXT) | instid1(VALU_DEP_2)
	v_fma_f64 v[40:41], s[10:11], v[26:27], -v[30:31]
	v_fmac_f64_e32 v[42:43], s[12:13], v[26:27]
	flat_store_b128 v[6:7], v[40:43]
.LBB274_24:                             ;   in Loop: Header=BB274_4 Depth=1
	s_wait_xcnt 0x0
	s_or_b32 exec_lo, exec_lo, s27
	s_delay_alu instid0(SALU_CYCLE_1)
	s_and_b32 exec_lo, exec_lo, s3
	s_cbranch_execz .LBB274_26
; %bb.25:                               ;   in Loop: Header=BB274_4 Depth=1
	v_mul_f64_e32 v[30:31], s[12:13], v[24:25]
	v_mul_f64_e32 v[42:43], s[10:11], v[24:25]
	s_delay_alu instid0(VALU_DEP_2) | instskip(NEXT) | instid1(VALU_DEP_2)
	v_fma_f64 v[40:41], s[10:11], v[22:23], -v[30:31]
	v_fmac_f64_e32 v[42:43], s[12:13], v[22:23]
	flat_store_b128 v[6:7], v[40:43] offset:256
.LBB274_26:                             ;   in Loop: Header=BB274_4 Depth=1
	s_wait_xcnt 0x0
	s_or_b32 exec_lo, exec_lo, s26
	s_cbranch_execnz .LBB274_3
.LBB274_27:                             ;   in Loop: Header=BB274_4 Depth=1
	s_wait_xcnt 0x0
	s_and_saveexec_b32 s26, s1
	s_cbranch_execz .LBB274_2
; %bb.28:                               ;   in Loop: Header=BB274_4 Depth=1
	v_add_nc_u64_e32 v[20:21], s[22:23], v[20:21]
	v_lshlrev_b64_e32 v[6:7], 4, v[14:15]
	v_lshl_add_u64 v[4:5], v[10:11], 4, v[4:5]
	s_delay_alu instid0(VALU_DEP_3) | instskip(NEXT) | instid1(VALU_DEP_2)
	v_lshl_add_u64 v[20:21], v[12:13], 4, v[20:21]
	v_add_nc_u64_e32 v[30:31], v[4:5], v[6:7]
	s_delay_alu instid0(VALU_DEP_2)
	v_add_nc_u64_e32 v[40:41], v[20:21], v[6:7]
	s_and_saveexec_b32 s27, s2
	s_cbranch_execnz .LBB274_31
; %bb.29:                               ;   in Loop: Header=BB274_4 Depth=1
	s_or_b32 exec_lo, exec_lo, s27
	s_and_saveexec_b32 s27, s3
	s_cbranch_execnz .LBB274_32
.LBB274_30:                             ;   in Loop: Header=BB274_4 Depth=1
	s_or_b32 exec_lo, exec_lo, s27
	s_delay_alu instid0(SALU_CYCLE_1)
	s_and_b32 exec_lo, exec_lo, s4
	s_cbranch_execz .LBB274_2
	s_branch .LBB274_33
.LBB274_31:                             ;   in Loop: Header=BB274_4 Depth=1
	flat_load_b128 v[48:51], v[40:41]
	v_mul_f64_e32 v[42:43], s[12:13], v[38:39]
	v_mul_f64_e32 v[38:39], s[10:11], v[38:39]
	s_delay_alu instid0(VALU_DEP_2) | instskip(NEXT) | instid1(VALU_DEP_2)
	v_fma_f64 v[42:43], s[10:11], v[36:37], -v[42:43]
	v_fmac_f64_e32 v[38:39], s[12:13], v[36:37]
	s_wait_loadcnt_dscnt 0x0
	v_mul_f64_e32 v[52:53], s[44:45], v[50:51]
	v_mul_f64_e32 v[50:51], s[42:43], v[50:51]
	s_delay_alu instid0(VALU_DEP_2) | instskip(NEXT) | instid1(VALU_DEP_2)
	v_fma_f64 v[36:37], s[42:43], v[48:49], -v[52:53]
	v_fmac_f64_e32 v[50:51], s[44:45], v[48:49]
	s_delay_alu instid0(VALU_DEP_2) | instskip(NEXT) | instid1(VALU_DEP_2)
	v_add_f64_e32 v[36:37], v[42:43], v[36:37]
	v_add_f64_e32 v[38:39], v[38:39], v[50:51]
	flat_store_b128 v[30:31], v[36:39]
	s_wait_xcnt 0x0
	s_or_b32 exec_lo, exec_lo, s27
	s_and_saveexec_b32 s27, s3
	s_cbranch_execz .LBB274_30
.LBB274_32:                             ;   in Loop: Header=BB274_4 Depth=1
	flat_load_b128 v[36:39], v[40:41] offset:256
	s_wait_xcnt 0x0
	v_mul_f64_e32 v[40:41], s[12:13], v[34:35]
	v_mul_f64_e32 v[34:35], s[10:11], v[34:35]
	s_delay_alu instid0(VALU_DEP_2) | instskip(NEXT) | instid1(VALU_DEP_2)
	v_fma_f64 v[40:41], s[10:11], v[32:33], -v[40:41]
	v_fmac_f64_e32 v[34:35], s[12:13], v[32:33]
	s_wait_loadcnt_dscnt 0x0
	v_mul_f64_e32 v[42:43], s[44:45], v[38:39]
	v_mul_f64_e32 v[38:39], s[42:43], v[38:39]
	s_delay_alu instid0(VALU_DEP_2) | instskip(NEXT) | instid1(VALU_DEP_2)
	v_fma_f64 v[32:33], s[42:43], v[36:37], -v[42:43]
	v_fmac_f64_e32 v[38:39], s[44:45], v[36:37]
	s_delay_alu instid0(VALU_DEP_2) | instskip(NEXT) | instid1(VALU_DEP_2)
	v_add_f64_e32 v[32:33], v[40:41], v[32:33]
	v_add_f64_e32 v[34:35], v[34:35], v[38:39]
	flat_store_b128 v[30:31], v[32:35] offset:256
	s_wait_xcnt 0x0
	s_or_b32 exec_lo, exec_lo, s27
	s_delay_alu instid0(SALU_CYCLE_1)
	s_and_b32 exec_lo, exec_lo, s4
	s_cbranch_execz .LBB274_2
.LBB274_33:                             ;   in Loop: Header=BB274_4 Depth=1
	v_lshl_add_u64 v[20:21], s[16:17], 4, v[20:21]
	v_lshl_add_u64 v[4:5], s[6:7], 4, v[4:5]
	s_delay_alu instid0(VALU_DEP_2) | instskip(NEXT) | instid1(VALU_DEP_2)
	v_add_nc_u64_e32 v[20:21], v[20:21], v[6:7]
	v_add_nc_u64_e32 v[4:5], v[4:5], v[6:7]
	s_and_saveexec_b32 s27, s2
	s_cbranch_execz .LBB274_35
; %bb.34:                               ;   in Loop: Header=BB274_4 Depth=1
	flat_load_b128 v[30:33], v[20:21]
	v_mul_f64_e32 v[6:7], s[12:13], v[28:29]
	v_mul_f64_e32 v[28:29], s[10:11], v[28:29]
	s_delay_alu instid0(VALU_DEP_2) | instskip(NEXT) | instid1(VALU_DEP_2)
	v_fma_f64 v[6:7], s[10:11], v[26:27], -v[6:7]
	v_fmac_f64_e32 v[28:29], s[12:13], v[26:27]
	s_wait_loadcnt_dscnt 0x0
	v_mul_f64_e32 v[34:35], s[44:45], v[32:33]
	v_mul_f64_e32 v[32:33], s[42:43], v[32:33]
	s_delay_alu instid0(VALU_DEP_2) | instskip(NEXT) | instid1(VALU_DEP_2)
	v_fma_f64 v[26:27], s[42:43], v[30:31], -v[34:35]
	v_fmac_f64_e32 v[32:33], s[44:45], v[30:31]
	s_delay_alu instid0(VALU_DEP_2) | instskip(NEXT) | instid1(VALU_DEP_2)
	v_add_f64_e32 v[26:27], v[6:7], v[26:27]
	v_add_f64_e32 v[28:29], v[28:29], v[32:33]
	flat_store_b128 v[4:5], v[26:29]
.LBB274_35:                             ;   in Loop: Header=BB274_4 Depth=1
	s_wait_xcnt 0x0
	s_or_b32 exec_lo, exec_lo, s27
	s_delay_alu instid0(SALU_CYCLE_1)
	s_and_b32 exec_lo, exec_lo, s3
	s_cbranch_execz .LBB274_2
; %bb.36:                               ;   in Loop: Header=BB274_4 Depth=1
	flat_load_b128 v[26:29], v[20:21] offset:256
	v_mul_f64_e32 v[6:7], s[12:13], v[24:25]
	v_mul_f64_e32 v[24:25], s[10:11], v[24:25]
	s_delay_alu instid0(VALU_DEP_2) | instskip(NEXT) | instid1(VALU_DEP_2)
	v_fma_f64 v[6:7], s[10:11], v[22:23], -v[6:7]
	v_fmac_f64_e32 v[24:25], s[12:13], v[22:23]
	s_wait_loadcnt_dscnt 0x0
	v_mul_f64_e32 v[20:21], s[44:45], v[28:29]
	v_mul_f64_e32 v[28:29], s[42:43], v[28:29]
	s_delay_alu instid0(VALU_DEP_2) | instskip(NEXT) | instid1(VALU_DEP_2)
	v_fma_f64 v[20:21], s[42:43], v[26:27], -v[20:21]
	v_fmac_f64_e32 v[28:29], s[44:45], v[26:27]
	s_delay_alu instid0(VALU_DEP_2) | instskip(NEXT) | instid1(VALU_DEP_2)
	v_add_f64_e32 v[20:21], v[6:7], v[20:21]
	v_add_f64_e32 v[22:23], v[24:25], v[28:29]
	flat_store_b128 v[4:5], v[20:23] offset:256
	s_branch .LBB274_2
.LBB274_37:
	s_sendmsg sendmsg(MSG_DEALLOC_VGPRS)
	s_endpgm
	.section	.rodata,"a",@progbits
	.p2align	6, 0x0
	.amdhsa_kernel _ZN12_GLOBAL__N_135rocblas_gemm_batched_general_kernelI19rocblas_complex_numIdELi16ELi16ELi32ELi32ELi8ELi32ELi8ELi8ELi32ELc67ELc78EKPKS2_S5_KPS2_EEvlllT_PT11_llSA_llS8_PT12_llPT13_lli
		.amdhsa_group_segment_fixed_size 8192
		.amdhsa_private_segment_fixed_size 0
		.amdhsa_kernarg_size 156
		.amdhsa_user_sgpr_count 2
		.amdhsa_user_sgpr_dispatch_ptr 0
		.amdhsa_user_sgpr_queue_ptr 0
		.amdhsa_user_sgpr_kernarg_segment_ptr 1
		.amdhsa_user_sgpr_dispatch_id 0
		.amdhsa_user_sgpr_kernarg_preload_length 0
		.amdhsa_user_sgpr_kernarg_preload_offset 0
		.amdhsa_user_sgpr_private_segment_size 0
		.amdhsa_wavefront_size32 1
		.amdhsa_uses_dynamic_stack 0
		.amdhsa_enable_private_segment 0
		.amdhsa_system_sgpr_workgroup_id_x 1
		.amdhsa_system_sgpr_workgroup_id_y 1
		.amdhsa_system_sgpr_workgroup_id_z 1
		.amdhsa_system_sgpr_workgroup_info 0
		.amdhsa_system_vgpr_workitem_id 1
		.amdhsa_next_free_vgpr 134
		.amdhsa_next_free_sgpr 52
		.amdhsa_named_barrier_count 0
		.amdhsa_reserve_vcc 1
		.amdhsa_float_round_mode_32 0
		.amdhsa_float_round_mode_16_64 0
		.amdhsa_float_denorm_mode_32 3
		.amdhsa_float_denorm_mode_16_64 3
		.amdhsa_fp16_overflow 0
		.amdhsa_memory_ordered 1
		.amdhsa_forward_progress 1
		.amdhsa_inst_pref_size 24
		.amdhsa_round_robin_scheduling 0
		.amdhsa_exception_fp_ieee_invalid_op 0
		.amdhsa_exception_fp_denorm_src 0
		.amdhsa_exception_fp_ieee_div_zero 0
		.amdhsa_exception_fp_ieee_overflow 0
		.amdhsa_exception_fp_ieee_underflow 0
		.amdhsa_exception_fp_ieee_inexact 0
		.amdhsa_exception_int_div_zero 0
	.end_amdhsa_kernel
	.section	.text._ZN12_GLOBAL__N_135rocblas_gemm_batched_general_kernelI19rocblas_complex_numIdELi16ELi16ELi32ELi32ELi8ELi32ELi8ELi8ELi32ELc67ELc78EKPKS2_S5_KPS2_EEvlllT_PT11_llSA_llS8_PT12_llPT13_lli,"axG",@progbits,_ZN12_GLOBAL__N_135rocblas_gemm_batched_general_kernelI19rocblas_complex_numIdELi16ELi16ELi32ELi32ELi8ELi32ELi8ELi8ELi32ELc67ELc78EKPKS2_S5_KPS2_EEvlllT_PT11_llSA_llS8_PT12_llPT13_lli,comdat
.Lfunc_end274:
	.size	_ZN12_GLOBAL__N_135rocblas_gemm_batched_general_kernelI19rocblas_complex_numIdELi16ELi16ELi32ELi32ELi8ELi32ELi8ELi8ELi32ELc67ELc78EKPKS2_S5_KPS2_EEvlllT_PT11_llSA_llS8_PT12_llPT13_lli, .Lfunc_end274-_ZN12_GLOBAL__N_135rocblas_gemm_batched_general_kernelI19rocblas_complex_numIdELi16ELi16ELi32ELi32ELi8ELi32ELi8ELi8ELi32ELc67ELc78EKPKS2_S5_KPS2_EEvlllT_PT11_llSA_llS8_PT12_llPT13_lli
                                        ; -- End function
	.set _ZN12_GLOBAL__N_135rocblas_gemm_batched_general_kernelI19rocblas_complex_numIdELi16ELi16ELi32ELi32ELi8ELi32ELi8ELi8ELi32ELc67ELc78EKPKS2_S5_KPS2_EEvlllT_PT11_llSA_llS8_PT12_llPT13_lli.num_vgpr, 134
	.set _ZN12_GLOBAL__N_135rocblas_gemm_batched_general_kernelI19rocblas_complex_numIdELi16ELi16ELi32ELi32ELi8ELi32ELi8ELi8ELi32ELc67ELc78EKPKS2_S5_KPS2_EEvlllT_PT11_llSA_llS8_PT12_llPT13_lli.num_agpr, 0
	.set _ZN12_GLOBAL__N_135rocblas_gemm_batched_general_kernelI19rocblas_complex_numIdELi16ELi16ELi32ELi32ELi8ELi32ELi8ELi8ELi32ELc67ELc78EKPKS2_S5_KPS2_EEvlllT_PT11_llSA_llS8_PT12_llPT13_lli.numbered_sgpr, 52
	.set _ZN12_GLOBAL__N_135rocblas_gemm_batched_general_kernelI19rocblas_complex_numIdELi16ELi16ELi32ELi32ELi8ELi32ELi8ELi8ELi32ELc67ELc78EKPKS2_S5_KPS2_EEvlllT_PT11_llSA_llS8_PT12_llPT13_lli.num_named_barrier, 0
	.set _ZN12_GLOBAL__N_135rocblas_gemm_batched_general_kernelI19rocblas_complex_numIdELi16ELi16ELi32ELi32ELi8ELi32ELi8ELi8ELi32ELc67ELc78EKPKS2_S5_KPS2_EEvlllT_PT11_llSA_llS8_PT12_llPT13_lli.private_seg_size, 0
	.set _ZN12_GLOBAL__N_135rocblas_gemm_batched_general_kernelI19rocblas_complex_numIdELi16ELi16ELi32ELi32ELi8ELi32ELi8ELi8ELi32ELc67ELc78EKPKS2_S5_KPS2_EEvlllT_PT11_llSA_llS8_PT12_llPT13_lli.uses_vcc, 1
	.set _ZN12_GLOBAL__N_135rocblas_gemm_batched_general_kernelI19rocblas_complex_numIdELi16ELi16ELi32ELi32ELi8ELi32ELi8ELi8ELi32ELc67ELc78EKPKS2_S5_KPS2_EEvlllT_PT11_llSA_llS8_PT12_llPT13_lli.uses_flat_scratch, 0
	.set _ZN12_GLOBAL__N_135rocblas_gemm_batched_general_kernelI19rocblas_complex_numIdELi16ELi16ELi32ELi32ELi8ELi32ELi8ELi8ELi32ELc67ELc78EKPKS2_S5_KPS2_EEvlllT_PT11_llSA_llS8_PT12_llPT13_lli.has_dyn_sized_stack, 0
	.set _ZN12_GLOBAL__N_135rocblas_gemm_batched_general_kernelI19rocblas_complex_numIdELi16ELi16ELi32ELi32ELi8ELi32ELi8ELi8ELi32ELc67ELc78EKPKS2_S5_KPS2_EEvlllT_PT11_llSA_llS8_PT12_llPT13_lli.has_recursion, 0
	.set _ZN12_GLOBAL__N_135rocblas_gemm_batched_general_kernelI19rocblas_complex_numIdELi16ELi16ELi32ELi32ELi8ELi32ELi8ELi8ELi32ELc67ELc78EKPKS2_S5_KPS2_EEvlllT_PT11_llSA_llS8_PT12_llPT13_lli.has_indirect_call, 0
	.section	.AMDGPU.csdata,"",@progbits
; Kernel info:
; codeLenInByte = 3060
; TotalNumSgprs: 54
; NumVgprs: 134
; ScratchSize: 0
; MemoryBound: 1
; FloatMode: 240
; IeeeMode: 1
; LDSByteSize: 8192 bytes/workgroup (compile time only)
; SGPRBlocks: 0
; VGPRBlocks: 8
; NumSGPRsForWavesPerEU: 54
; NumVGPRsForWavesPerEU: 134
; NamedBarCnt: 0
; Occupancy: 7
; WaveLimiterHint : 1
; COMPUTE_PGM_RSRC2:SCRATCH_EN: 0
; COMPUTE_PGM_RSRC2:USER_SGPR: 2
; COMPUTE_PGM_RSRC2:TRAP_HANDLER: 0
; COMPUTE_PGM_RSRC2:TGID_X_EN: 1
; COMPUTE_PGM_RSRC2:TGID_Y_EN: 1
; COMPUTE_PGM_RSRC2:TGID_Z_EN: 1
; COMPUTE_PGM_RSRC2:TIDIG_COMP_CNT: 1
	.section	.text._ZN12_GLOBAL__N_135rocblas_gemm_batched_general_kernelI19rocblas_complex_numIdELi16ELi16ELi32ELi32ELi8ELi32ELi8ELi8ELi32ELc67ELc84EKPKS2_S5_KPS2_EEvlllT_PT11_llSA_llS8_PT12_llPT13_lli,"axG",@progbits,_ZN12_GLOBAL__N_135rocblas_gemm_batched_general_kernelI19rocblas_complex_numIdELi16ELi16ELi32ELi32ELi8ELi32ELi8ELi8ELi32ELc67ELc84EKPKS2_S5_KPS2_EEvlllT_PT11_llSA_llS8_PT12_llPT13_lli,comdat
	.globl	_ZN12_GLOBAL__N_135rocblas_gemm_batched_general_kernelI19rocblas_complex_numIdELi16ELi16ELi32ELi32ELi8ELi32ELi8ELi8ELi32ELc67ELc84EKPKS2_S5_KPS2_EEvlllT_PT11_llSA_llS8_PT12_llPT13_lli ; -- Begin function _ZN12_GLOBAL__N_135rocblas_gemm_batched_general_kernelI19rocblas_complex_numIdELi16ELi16ELi32ELi32ELi8ELi32ELi8ELi8ELi32ELc67ELc84EKPKS2_S5_KPS2_EEvlllT_PT11_llSA_llS8_PT12_llPT13_lli
	.p2align	8
	.type	_ZN12_GLOBAL__N_135rocblas_gemm_batched_general_kernelI19rocblas_complex_numIdELi16ELi16ELi32ELi32ELi8ELi32ELi8ELi8ELi32ELc67ELc84EKPKS2_S5_KPS2_EEvlllT_PT11_llSA_llS8_PT12_llPT13_lli,@function
_ZN12_GLOBAL__N_135rocblas_gemm_batched_general_kernelI19rocblas_complex_numIdELi16ELi16ELi32ELi32ELi8ELi32ELi8ELi8ELi32ELc67ELc84EKPKS2_S5_KPS2_EEvlllT_PT11_llSA_llS8_PT12_llPT13_lli: ; @_ZN12_GLOBAL__N_135rocblas_gemm_batched_general_kernelI19rocblas_complex_numIdELi16ELi16ELi32ELi32ELi8ELi32ELi8ELi8ELi32ELc67ELc84EKPKS2_S5_KPS2_EEvlllT_PT11_llSA_llS8_PT12_llPT13_lli
; %bb.0:
	s_load_b32 s30, s[0:1], 0x98
	s_bfe_u32 s2, ttmp6, 0x40014
	s_lshr_b32 s3, ttmp7, 16
	s_add_co_i32 s2, s2, 1
	s_bfe_u32 s5, ttmp6, 0x40008
	s_mul_i32 s4, s3, s2
	s_getreg_b32 s2, hwreg(HW_REG_IB_STS2, 6, 4)
	s_add_co_i32 s5, s5, s4
	s_cmp_eq_u32 s2, 0
	s_mov_b32 s25, 0
	s_cselect_b32 s24, s3, s5
	s_wait_kmcnt 0x0
	s_cmp_ge_i32 s24, s30
	s_cbranch_scc1 .LBB275_37
; %bb.1:
	v_bfe_u32 v4, v0, 10, 10
	v_and_b32_e32 v6, 0x3ff, v0
	s_bfe_u32 s3, ttmp6, 0x4000c
	s_bfe_u32 s21, ttmp6, 0x40010
	s_clause 0x1
	s_load_b512 s[4:19], s[0:1], 0x0
	s_load_b512 s[36:51], s[0:1], 0x40
	s_add_co_i32 s3, s3, 1
	s_and_b32 s22, ttmp7, 0xffff
	s_add_co_i32 s21, s21, 1
	s_and_b32 s20, ttmp6, 15
	s_mul_i32 s3, ttmp9, s3
	s_mul_i32 s21, s22, s21
	s_bfe_u32 s23, ttmp6, 0x40004
	v_lshl_add_u32 v3, v4, 4, v6
	s_add_co_i32 s20, s20, s3
	s_add_co_i32 s23, s23, s21
	s_cmp_eq_u32 s2, 0
	s_delay_alu instid0(VALU_DEP_1)
	v_dual_mov_b32 v2, 0 :: v_dual_bitop2_b32 v9, 31, v3 bitop3:0x40
	s_cselect_b32 s2, ttmp9, s20
	s_cselect_b32 s28, s22, s23
	s_ashr_i32 s3, s2, 31
	s_clause 0x1
	s_load_b64 s[26:27], s[0:1], 0x90
	s_load_b128 s[20:23], s[0:1], 0x80
	s_lshl_b64 s[2:3], s[2:3], 5
	v_dual_mov_b32 v5, v2 :: v_dual_bitop2_b32 v0, 7, v0 bitop3:0x40
	v_dual_mov_b32 v11, s3 :: v_dual_bitop2_b32 v10, s2, v9 bitop3:0x54
	v_dual_mov_b32 v1, v2 :: v_dual_mov_b32 v7, v2
	v_dual_mov_b32 v19, v2 :: v_dual_lshrrev_b32 v18, 3, v3
	s_wait_kmcnt 0x0
	s_delay_alu instid0(VALU_DEP_3) | instskip(NEXT) | instid1(VALU_DEP_3)
	v_mul_u64_e32 v[16:17], s[16:17], v[10:11]
	v_mul_u64_e32 v[20:21], s[38:39], v[0:1]
	v_dual_lshlrev_b32 v14, 4, v0 :: v_dual_lshrrev_b32 v8, 5, v3
	s_lshl_b32 s0, s28, 5
	s_mov_b32 s1, s25
	v_cmp_eq_f64_e64 s29, s[42:43], 0
	v_add_nc_u64_e32 v[12:13], s[0:1], v[18:19]
	v_add_nc_u64_e32 v[22:23], s[0:1], v[4:5]
	v_lshl_or_b32 v14, v18, 7, v14
	v_cmp_eq_f64_e64 s31, s[44:45], 0
	v_cmp_gt_i64_e64 s0, s[4:5], v[10:11]
	v_add_nc_u64_e32 v[10:11], s[2:3], v[6:7]
	s_lshl_b64 s[18:19], s[18:19], 4
	v_cmp_gt_i64_e32 vcc_lo, s[6:7], v[12:13]
	v_add_nc_u32_e32 v45, 0x1000, v14
	v_mul_u64_e32 v[12:13], s[22:23], v[22:23]
	v_mul_u64_e32 v[14:15], s[48:49], v[22:23]
	v_lshlrev_b32_e32 v46, 4, v6
	v_cmp_gt_i64_e64 s1, s[6:7], v[22:23]
	v_add_nc_u64_e32 v[6:7], 16, v[22:23]
	v_dual_mov_b32 v23, v2 :: v_dual_lshlrev_b32 v22, 4, v8
	v_lshlrev_b32_e32 v18, 4, v18
	s_lshl_b32 s2, s28, 9
	s_mov_b32 s3, s25
	s_lshl_b64 s[16:17], s[40:41], 4
	v_lshl_add_u32 v47, v4, 7, 0x1000
	v_add_nc_u64_e32 v[4:5], 16, v[10:11]
	s_add_nc_u64 s[16:17], s[16:17], s[2:3]
	v_dual_lshlrev_b32 v3, 4, v9 :: v_dual_mov_b32 v9, v2
	v_lshl_add_u64 v[16:17], v[16:17], 4, s[18:19]
	v_lshl_add_u64 v[20:21], v[20:21], 4, s[16:17]
	v_cmp_gt_i64_e64 s2, s[4:5], v[10:11]
	v_cmp_gt_i64_e64 s3, s[4:5], v[4:5]
	;; [unrolled: 1-line block ×3, first 2 shown]
	v_add_nc_u64_e32 v[16:17], v[16:17], v[22:23]
	v_add_nc_u64_e32 v[18:19], v[20:21], v[18:19]
	v_cmp_gt_i64_e64 s5, s[8:9], 0
	v_lshl_or_b32 v44, v8, 9, v3
	s_lshl_b64 s[6:7], s[22:23], 4
	s_and_b32 s31, s29, s31
	s_lshl_b64 s[16:17], s[48:49], 4
	v_or_b32_e32 v16, 8, v16
	s_lshl_b64 s[18:19], s[38:39], 7
	s_xor_b32 s33, vcc_lo, -1
	s_lshl_b64 s[22:23], s[26:27], 4
	s_lshl_b64 s[26:27], s[50:51], 4
	s_branch .LBB275_4
.LBB275_2:                              ;   in Loop: Header=BB275_4 Depth=1
	s_wait_xcnt 0x0
	s_or_b32 exec_lo, exec_lo, s28
.LBB275_3:                              ;   in Loop: Header=BB275_4 Depth=1
	s_add_co_i32 s24, s24, 0x10000
	s_delay_alu instid0(SALU_CYCLE_1)
	s_cmp_lt_i32 s24, s30
	s_cbranch_scc0 .LBB275_37
.LBB275_4:                              ; =>This Loop Header: Depth=1
                                        ;     Child Loop BB275_7 Depth 2
	s_wait_xcnt 0x0
	v_mov_b32_e32 v3, s24
	s_and_not1_b32 vcc_lo, exec_lo, s5
	s_clause 0x1
	global_load_b64 v[20:21], v3, s[46:47] scale_offset
	global_load_b64 v[30:31], v3, s[20:21] scale_offset
	s_cbranch_vccnz .LBB275_13
; %bb.5:                                ;   in Loop: Header=BB275_4 Depth=1
	s_lshl_b64 s[28:29], s[24:25], 3
	v_mov_b64_e32 v[24:25], 0
	s_add_nc_u64 s[34:35], s[36:37], s[28:29]
	s_add_nc_u64 s[28:29], s[14:15], s[28:29]
	s_clause 0x1
	global_load_b64 v[4:5], v2, s[34:35]
	global_load_b64 v[6:7], v2, s[28:29]
	v_mov_b64_e32 v[22:23], 0
	v_mov_b64_e32 v[28:29], 0
	v_mov_b64_e32 v[26:27], 0
	v_mov_b64_e32 v[34:35], 0
	v_mov_b64_e32 v[32:33], 0
	v_mov_b64_e32 v[38:39], 0
	v_mov_b64_e32 v[36:37], 0
	s_wait_xcnt 0x0
	s_mov_b64 s[28:29], 0
	s_wait_loadcnt 0x1
	v_add_nc_u64_e32 v[40:41], v[4:5], v[18:19]
	s_wait_loadcnt 0x0
	v_add_nc_u64_e32 v[42:43], v[6:7], v[16:17]
	s_branch .LBB275_7
.LBB275_6:                              ;   in Loop: Header=BB275_7 Depth=2
	s_wait_xcnt 0x0
	s_or_b32 exec_lo, exec_lo, s34
	s_wait_dscnt 0x0
	s_barrier_signal -1
	s_barrier_wait -1
	ds_load_b128 v[4:7], v47
	ds_load_b128 v[48:51], v46
	ds_load_b128 v[52:55], v46 offset:256
	ds_load_b128 v[56:59], v47 offset:2048
	;; [unrolled: 1-line block ×10, first 2 shown]
	s_add_nc_u64 s[28:29], s[28:29], 8
	v_add_nc_u64_e32 v[40:41], s[18:19], v[40:41]
	v_cmp_lt_i64_e64 s34, s[28:29], s[8:9]
	v_add_nc_u64_e32 v[42:43], 0x80, v[42:43]
	s_and_b32 vcc_lo, exec_lo, s34
	s_wait_dscnt 0xa
	v_mul_f64_e32 v[92:93], v[6:7], v[50:51]
	v_mul_f64_e32 v[94:95], v[4:5], v[50:51]
	s_wait_dscnt 0x9
	v_mul_f64_e32 v[96:97], v[6:7], v[54:55]
	v_mul_f64_e32 v[98:99], v[4:5], v[54:55]
	s_wait_dscnt 0x8
	v_mul_f64_e32 v[100:101], v[58:59], v[50:51]
	v_mul_f64_e32 v[102:103], v[56:57], v[50:51]
	v_mul_f64_e32 v[50:51], v[58:59], v[54:55]
	v_mul_f64_e32 v[104:105], v[56:57], v[54:55]
	s_wait_dscnt 0x6
	v_mul_f64_e32 v[106:107], v[62:63], v[66:67]
	v_mul_f64_e32 v[108:109], v[60:61], v[66:67]
	s_wait_dscnt 0x5
	v_mul_f64_e32 v[110:111], v[62:63], v[70:71]
	v_mul_f64_e32 v[112:113], v[60:61], v[70:71]
	s_wait_dscnt 0x4
	v_mul_f64_e32 v[114:115], v[74:75], v[66:67]
	v_mul_f64_e32 v[66:67], v[72:73], v[66:67]
	v_mul_f64_e32 v[116:117], v[74:75], v[70:71]
	v_mul_f64_e32 v[70:71], v[72:73], v[70:71]
	;; [unrolled: 11-line block ×3, first 2 shown]
	v_fma_f64 v[92:93], v[4:5], v[48:49], -v[92:93]
	v_fmac_f64_e32 v[94:95], v[6:7], v[48:49]
	v_fma_f64 v[96:97], v[4:5], v[52:53], -v[96:97]
	v_fmac_f64_e32 v[98:99], v[6:7], v[52:53]
	;; [unrolled: 2-line block ×8, first 2 shown]
	ds_load_b128 v[4:7], v47 offset:48
	ds_load_b128 v[48:51], v47 offset:2096
	ds_load_b128 v[52:55], v46 offset:1536
	ds_load_b128 v[56:59], v46 offset:1792
	v_fma_f64 v[120:121], v[76:77], v[80:81], -v[120:121]
	v_fmac_f64_e32 v[122:123], v[78:79], v[80:81]
	v_fma_f64 v[76:77], v[76:77], v[84:85], -v[124:125]
	v_fmac_f64_e32 v[126:127], v[78:79], v[84:85]
	;; [unrolled: 2-line block ×4, first 2 shown]
	v_add_f64_e32 v[68:69], v[36:37], v[92:93]
	v_add_f64_e32 v[72:73], v[94:95], v[38:39]
	;; [unrolled: 1-line block ×8, first 2 shown]
	s_wait_dscnt 0x1
	v_mul_f64_e32 v[102:103], v[6:7], v[54:55]
	v_mul_f64_e32 v[104:105], v[4:5], v[54:55]
	s_wait_dscnt 0x0
	v_mul_f64_e32 v[110:111], v[6:7], v[58:59]
	v_mul_f64_e32 v[114:115], v[4:5], v[58:59]
	v_mul_f64_e32 v[116:117], v[50:51], v[54:55]
	v_mul_f64_e32 v[118:119], v[48:49], v[54:55]
	v_mul_f64_e32 v[54:55], v[50:51], v[58:59]
	v_mul_f64_e32 v[132:133], v[48:49], v[58:59]
	ds_load_b128 v[22:25], v47 offset:64
	ds_load_b128 v[26:29], v46 offset:2048
	;; [unrolled: 1-line block ×4, first 2 shown]
	v_add_f64_e32 v[84:85], v[68:69], v[106:107]
	v_add_f64_e32 v[88:89], v[108:109], v[72:73]
	;; [unrolled: 1-line block ×8, first 2 shown]
	s_wait_dscnt 0x2
	v_mul_f64_e32 v[100:101], v[24:25], v[28:29]
	v_mul_f64_e32 v[106:107], v[22:23], v[28:29]
	s_wait_dscnt 0x1
	v_mul_f64_e32 v[108:109], v[24:25], v[34:35]
	v_mul_f64_e32 v[112:113], v[22:23], v[34:35]
	;; [unrolled: 3-line block ×3, first 2 shown]
	v_mul_f64_e32 v[28:29], v[38:39], v[34:35]
	v_mul_f64_e32 v[130:131], v[36:37], v[34:35]
	v_fma_f64 v[34:35], v[4:5], v[52:53], -v[102:103]
	v_fmac_f64_e32 v[104:105], v[6:7], v[52:53]
	v_fma_f64 v[102:103], v[4:5], v[56:57], -v[110:111]
	v_fmac_f64_e32 v[114:115], v[6:7], v[56:57]
	;; [unrolled: 2-line block ×4, first 2 shown]
	ds_load_b128 v[58:61], v47 offset:80
	ds_load_b128 v[62:65], v47 offset:2128
	;; [unrolled: 1-line block ×4, first 2 shown]
	v_add_f64_e32 v[56:57], v[84:85], v[120:121]
	v_add_f64_e32 v[84:85], v[122:123], v[88:89]
	;; [unrolled: 1-line block ×8, first 2 shown]
	v_fma_f64 v[100:101], v[22:23], v[26:27], -v[100:101]
	v_fmac_f64_e32 v[106:107], v[24:25], v[26:27]
	v_fma_f64 v[108:109], v[22:23], v[32:33], -v[108:109]
	s_wait_dscnt 0x1
	v_mul_f64_e32 v[92:93], v[60:61], v[68:69]
	v_mul_f64_e32 v[94:95], v[58:59], v[68:69]
	s_wait_dscnt 0x0
	v_mul_f64_e32 v[96:97], v[60:61], v[72:73]
	v_mul_f64_e32 v[98:99], v[58:59], v[72:73]
	;; [unrolled: 1-line block ×6, first 2 shown]
	v_fmac_f64_e32 v[112:113], v[24:25], v[32:33]
	v_fma_f64 v[124:125], v[36:37], v[26:27], -v[124:125]
	v_fmac_f64_e32 v[128:129], v[38:39], v[26:27]
	v_fma_f64 v[126:127], v[36:37], v[32:33], -v[28:29]
	v_fmac_f64_e32 v[130:131], v[38:39], v[32:33]
	ds_load_b128 v[4:7], v47 offset:96
	ds_load_b128 v[48:51], v46 offset:3072
	;; [unrolled: 1-line block ×4, first 2 shown]
	v_add_f64_e32 v[56:57], v[56:57], v[34:35]
	v_add_f64_e32 v[84:85], v[104:105], v[84:85]
	;; [unrolled: 1-line block ×8, first 2 shown]
	ds_load_b128 v[22:25], v47 offset:112
	ds_load_b128 v[26:29], v47 offset:2160
	;; [unrolled: 1-line block ×4, first 2 shown]
	s_wait_dscnt 0x0
	v_mul_f64_e32 v[102:103], v[6:7], v[50:51]
	v_mul_f64_e32 v[104:105], v[4:5], v[50:51]
	;; [unrolled: 1-line block ×8, first 2 shown]
	v_fma_f64 v[92:93], v[58:59], v[66:67], -v[92:93]
	v_fmac_f64_e32 v[94:95], v[60:61], v[66:67]
	v_fma_f64 v[58:59], v[58:59], v[70:71], -v[96:97]
	v_fmac_f64_e32 v[98:99], v[60:61], v[70:71]
	;; [unrolled: 2-line block ×4, first 2 shown]
	s_barrier_signal -1
	s_barrier_wait -1
	v_mul_f64_e32 v[96:97], v[22:23], v[38:39]
	v_add_f64_e32 v[56:57], v[56:57], v[100:101]
	v_add_f64_e32 v[64:65], v[106:107], v[84:85]
	;; [unrolled: 1-line block ×8, first 2 shown]
	v_mul_f64_e32 v[86:87], v[24:25], v[34:35]
	v_mul_f64_e32 v[88:89], v[22:23], v[34:35]
	;; [unrolled: 1-line block ×7, first 2 shown]
	v_fma_f64 v[38:39], v[4:5], v[48:49], -v[102:103]
	v_fmac_f64_e32 v[104:105], v[6:7], v[48:49]
	v_fma_f64 v[4:5], v[4:5], v[52:53], -v[110:111]
	v_fmac_f64_e32 v[114:115], v[6:7], v[52:53]
	;; [unrolled: 2-line block ×4, first 2 shown]
	v_fmac_f64_e32 v[96:97], v[24:25], v[36:37]
	v_add_f64_e32 v[52:53], v[56:57], v[92:93]
	v_add_f64_e32 v[56:57], v[94:95], v[64:65]
	;; [unrolled: 1-line block ×8, first 2 shown]
	v_fma_f64 v[70:71], v[22:23], v[32:33], -v[86:87]
	v_fmac_f64_e32 v[88:89], v[24:25], v[32:33]
	v_fma_f64 v[22:23], v[22:23], v[36:37], -v[90:91]
	v_fma_f64 v[24:25], v[26:27], v[32:33], -v[100:101]
	v_fmac_f64_e32 v[106:107], v[28:29], v[32:33]
	v_fma_f64 v[72:73], v[26:27], v[36:37], -v[34:35]
	v_fmac_f64_e32 v[108:109], v[28:29], v[36:37]
	v_add_f64_e32 v[26:27], v[52:53], v[38:39]
	v_add_f64_e32 v[28:29], v[104:105], v[56:57]
	;; [unrolled: 1-line block ×16, first 2 shown]
	s_cbranch_vccz .LBB275_14
.LBB275_7:                              ;   Parent Loop BB275_4 Depth=1
                                        ; =>  This Inner Loop Header: Depth=2
	v_add_nc_u64_e32 v[4:5], s[28:29], v[8:9]
	v_mov_b64_e32 v[6:7], 0
	s_delay_alu instid0(VALU_DEP_2) | instskip(SKIP_2) | instid1(SALU_CYCLE_1)
	v_cmp_gt_i64_e32 vcc_lo, s[8:9], v[4:5]
	v_mov_b64_e32 v[4:5], 0
	s_and_b32 s35, s0, vcc_lo
	s_and_saveexec_b32 s34, s35
	s_cbranch_execz .LBB275_9
; %bb.8:                                ;   in Loop: Header=BB275_7 Depth=2
	flat_load_b128 v[4:7], v[42:43] offset:-8
	s_wait_loadcnt_dscnt 0x0
	v_xor_b32_e32 v7, 0x80000000, v7
.LBB275_9:                              ;   in Loop: Header=BB275_7 Depth=2
	s_wait_xcnt 0x0
	s_or_b32 exec_lo, exec_lo, s34
	v_add_nc_u64_e32 v[48:49], s[28:29], v[0:1]
	ds_store_b128 v44, v[4:7]
	v_cmp_le_i64_e32 vcc_lo, s[8:9], v[48:49]
	s_or_b32 s34, vcc_lo, s33
	s_delay_alu instid0(SALU_CYCLE_1) | instskip(NEXT) | instid1(SALU_CYCLE_1)
	s_and_saveexec_b32 s35, s34
	s_xor_b32 s34, exec_lo, s35
; %bb.10:                               ;   in Loop: Header=BB275_7 Depth=2
	v_dual_mov_b32 v3, v2 :: v_dual_mov_b32 v4, v2
	v_mov_b32_e32 v5, v2
	ds_store_b128 v45, v[2:5]
; %bb.11:                               ;   in Loop: Header=BB275_7 Depth=2
	s_and_not1_saveexec_b32 s34, s34
	s_cbranch_execz .LBB275_6
; %bb.12:                               ;   in Loop: Header=BB275_7 Depth=2
	flat_load_b128 v[4:7], v[40:41]
	s_wait_loadcnt_dscnt 0x0
	ds_store_2addr_b64 v45, v[4:5], v[6:7] offset1:1
	s_branch .LBB275_6
.LBB275_13:                             ;   in Loop: Header=BB275_4 Depth=1
	v_mov_b64_e32 v[36:37], 0
	v_mov_b64_e32 v[38:39], 0
	;; [unrolled: 1-line block ×8, first 2 shown]
.LBB275_14:                             ;   in Loop: Header=BB275_4 Depth=1
	s_wait_loadcnt 0x0
	v_add_nc_u64_e32 v[4:5], s[22:23], v[30:31]
	s_and_not1_b32 vcc_lo, exec_lo, s31
	s_mov_b32 s28, -1
	s_cbranch_vccz .LBB275_16
; %bb.15:                               ;   in Loop: Header=BB275_4 Depth=1
	s_and_not1_b32 vcc_lo, exec_lo, s28
	s_cbranch_vccnz .LBB275_3
	s_branch .LBB275_27
.LBB275_16:                             ;   in Loop: Header=BB275_4 Depth=1
	s_wait_xcnt 0x0
	s_and_saveexec_b32 s28, s1
	s_cbranch_execz .LBB275_26
; %bb.17:                               ;   in Loop: Header=BB275_4 Depth=1
	v_lshl_add_u64 v[6:7], v[12:13], 4, v[4:5]
	s_delay_alu instid0(VALU_DEP_1)
	v_lshl_add_u64 v[30:31], v[10:11], 4, v[6:7]
	s_and_saveexec_b32 s29, s2
	s_cbranch_execnz .LBB275_20
; %bb.18:                               ;   in Loop: Header=BB275_4 Depth=1
	s_or_b32 exec_lo, exec_lo, s29
	s_and_saveexec_b32 s29, s3
	s_cbranch_execnz .LBB275_21
.LBB275_19:                             ;   in Loop: Header=BB275_4 Depth=1
	s_or_b32 exec_lo, exec_lo, s29
	s_delay_alu instid0(SALU_CYCLE_1)
	s_and_b32 exec_lo, exec_lo, s4
	s_cbranch_execnz .LBB275_22
	s_branch .LBB275_26
.LBB275_20:                             ;   in Loop: Header=BB275_4 Depth=1
	v_mul_f64_e32 v[40:41], s[12:13], v[38:39]
	v_mul_f64_e32 v[42:43], s[10:11], v[38:39]
	s_delay_alu instid0(VALU_DEP_2) | instskip(NEXT) | instid1(VALU_DEP_2)
	v_fma_f64 v[40:41], s[10:11], v[36:37], -v[40:41]
	v_fmac_f64_e32 v[42:43], s[12:13], v[36:37]
	flat_store_b128 v[30:31], v[40:43]
	s_wait_xcnt 0x0
	s_or_b32 exec_lo, exec_lo, s29
	s_and_saveexec_b32 s29, s3
	s_cbranch_execz .LBB275_19
.LBB275_21:                             ;   in Loop: Header=BB275_4 Depth=1
	v_mul_f64_e32 v[40:41], s[12:13], v[34:35]
	v_mul_f64_e32 v[42:43], s[10:11], v[34:35]
	s_delay_alu instid0(VALU_DEP_2) | instskip(NEXT) | instid1(VALU_DEP_2)
	v_fma_f64 v[40:41], s[10:11], v[32:33], -v[40:41]
	v_fmac_f64_e32 v[42:43], s[12:13], v[32:33]
	flat_store_b128 v[30:31], v[40:43] offset:256
	s_wait_xcnt 0x0
	s_or_b32 exec_lo, exec_lo, s29
	s_delay_alu instid0(SALU_CYCLE_1)
	s_and_b32 exec_lo, exec_lo, s4
	s_cbranch_execz .LBB275_26
.LBB275_22:                             ;   in Loop: Header=BB275_4 Depth=1
	v_lshl_add_u64 v[6:7], s[6:7], 4, v[6:7]
	s_delay_alu instid0(VALU_DEP_1)
	v_lshl_add_u64 v[6:7], v[10:11], 4, v[6:7]
	s_and_saveexec_b32 s29, s2
	s_cbranch_execz .LBB275_24
; %bb.23:                               ;   in Loop: Header=BB275_4 Depth=1
	v_mul_f64_e32 v[30:31], s[12:13], v[28:29]
	v_mul_f64_e32 v[42:43], s[10:11], v[28:29]
	s_delay_alu instid0(VALU_DEP_2) | instskip(NEXT) | instid1(VALU_DEP_2)
	v_fma_f64 v[40:41], s[10:11], v[26:27], -v[30:31]
	v_fmac_f64_e32 v[42:43], s[12:13], v[26:27]
	flat_store_b128 v[6:7], v[40:43]
.LBB275_24:                             ;   in Loop: Header=BB275_4 Depth=1
	s_wait_xcnt 0x0
	s_or_b32 exec_lo, exec_lo, s29
	s_delay_alu instid0(SALU_CYCLE_1)
	s_and_b32 exec_lo, exec_lo, s3
	s_cbranch_execz .LBB275_26
; %bb.25:                               ;   in Loop: Header=BB275_4 Depth=1
	v_mul_f64_e32 v[30:31], s[12:13], v[24:25]
	v_mul_f64_e32 v[42:43], s[10:11], v[24:25]
	s_delay_alu instid0(VALU_DEP_2) | instskip(NEXT) | instid1(VALU_DEP_2)
	v_fma_f64 v[40:41], s[10:11], v[22:23], -v[30:31]
	v_fmac_f64_e32 v[42:43], s[12:13], v[22:23]
	flat_store_b128 v[6:7], v[40:43] offset:256
.LBB275_26:                             ;   in Loop: Header=BB275_4 Depth=1
	s_wait_xcnt 0x0
	s_or_b32 exec_lo, exec_lo, s28
	s_cbranch_execnz .LBB275_3
.LBB275_27:                             ;   in Loop: Header=BB275_4 Depth=1
	s_wait_xcnt 0x0
	s_and_saveexec_b32 s28, s1
	s_cbranch_execz .LBB275_2
; %bb.28:                               ;   in Loop: Header=BB275_4 Depth=1
	v_add_nc_u64_e32 v[20:21], s[26:27], v[20:21]
	v_lshlrev_b64_e32 v[6:7], 4, v[10:11]
	v_lshl_add_u64 v[4:5], v[12:13], 4, v[4:5]
	s_delay_alu instid0(VALU_DEP_3) | instskip(NEXT) | instid1(VALU_DEP_2)
	v_lshl_add_u64 v[20:21], v[14:15], 4, v[20:21]
	v_add_nc_u64_e32 v[30:31], v[4:5], v[6:7]
	s_delay_alu instid0(VALU_DEP_2)
	v_add_nc_u64_e32 v[40:41], v[20:21], v[6:7]
	s_and_saveexec_b32 s29, s2
	s_cbranch_execnz .LBB275_31
; %bb.29:                               ;   in Loop: Header=BB275_4 Depth=1
	s_or_b32 exec_lo, exec_lo, s29
	s_and_saveexec_b32 s29, s3
	s_cbranch_execnz .LBB275_32
.LBB275_30:                             ;   in Loop: Header=BB275_4 Depth=1
	s_or_b32 exec_lo, exec_lo, s29
	s_delay_alu instid0(SALU_CYCLE_1)
	s_and_b32 exec_lo, exec_lo, s4
	s_cbranch_execz .LBB275_2
	s_branch .LBB275_33
.LBB275_31:                             ;   in Loop: Header=BB275_4 Depth=1
	flat_load_b128 v[48:51], v[40:41]
	v_mul_f64_e32 v[42:43], s[12:13], v[38:39]
	v_mul_f64_e32 v[38:39], s[10:11], v[38:39]
	s_delay_alu instid0(VALU_DEP_2) | instskip(NEXT) | instid1(VALU_DEP_2)
	v_fma_f64 v[42:43], s[10:11], v[36:37], -v[42:43]
	v_fmac_f64_e32 v[38:39], s[12:13], v[36:37]
	s_wait_loadcnt_dscnt 0x0
	v_mul_f64_e32 v[52:53], s[44:45], v[50:51]
	v_mul_f64_e32 v[50:51], s[42:43], v[50:51]
	s_delay_alu instid0(VALU_DEP_2) | instskip(NEXT) | instid1(VALU_DEP_2)
	v_fma_f64 v[36:37], s[42:43], v[48:49], -v[52:53]
	v_fmac_f64_e32 v[50:51], s[44:45], v[48:49]
	s_delay_alu instid0(VALU_DEP_2) | instskip(NEXT) | instid1(VALU_DEP_2)
	v_add_f64_e32 v[36:37], v[42:43], v[36:37]
	v_add_f64_e32 v[38:39], v[38:39], v[50:51]
	flat_store_b128 v[30:31], v[36:39]
	s_wait_xcnt 0x0
	s_or_b32 exec_lo, exec_lo, s29
	s_and_saveexec_b32 s29, s3
	s_cbranch_execz .LBB275_30
.LBB275_32:                             ;   in Loop: Header=BB275_4 Depth=1
	flat_load_b128 v[36:39], v[40:41] offset:256
	s_wait_xcnt 0x0
	v_mul_f64_e32 v[40:41], s[12:13], v[34:35]
	v_mul_f64_e32 v[34:35], s[10:11], v[34:35]
	s_delay_alu instid0(VALU_DEP_2) | instskip(NEXT) | instid1(VALU_DEP_2)
	v_fma_f64 v[40:41], s[10:11], v[32:33], -v[40:41]
	v_fmac_f64_e32 v[34:35], s[12:13], v[32:33]
	s_wait_loadcnt_dscnt 0x0
	v_mul_f64_e32 v[42:43], s[44:45], v[38:39]
	v_mul_f64_e32 v[38:39], s[42:43], v[38:39]
	s_delay_alu instid0(VALU_DEP_2) | instskip(NEXT) | instid1(VALU_DEP_2)
	v_fma_f64 v[32:33], s[42:43], v[36:37], -v[42:43]
	v_fmac_f64_e32 v[38:39], s[44:45], v[36:37]
	s_delay_alu instid0(VALU_DEP_2) | instskip(NEXT) | instid1(VALU_DEP_2)
	v_add_f64_e32 v[32:33], v[40:41], v[32:33]
	v_add_f64_e32 v[34:35], v[34:35], v[38:39]
	flat_store_b128 v[30:31], v[32:35] offset:256
	s_wait_xcnt 0x0
	s_or_b32 exec_lo, exec_lo, s29
	s_delay_alu instid0(SALU_CYCLE_1)
	s_and_b32 exec_lo, exec_lo, s4
	s_cbranch_execz .LBB275_2
.LBB275_33:                             ;   in Loop: Header=BB275_4 Depth=1
	v_lshl_add_u64 v[20:21], s[16:17], 4, v[20:21]
	v_lshl_add_u64 v[4:5], s[6:7], 4, v[4:5]
	s_delay_alu instid0(VALU_DEP_2) | instskip(NEXT) | instid1(VALU_DEP_2)
	v_add_nc_u64_e32 v[20:21], v[20:21], v[6:7]
	v_add_nc_u64_e32 v[4:5], v[4:5], v[6:7]
	s_and_saveexec_b32 s29, s2
	s_cbranch_execz .LBB275_35
; %bb.34:                               ;   in Loop: Header=BB275_4 Depth=1
	flat_load_b128 v[30:33], v[20:21]
	v_mul_f64_e32 v[6:7], s[12:13], v[28:29]
	v_mul_f64_e32 v[28:29], s[10:11], v[28:29]
	s_delay_alu instid0(VALU_DEP_2) | instskip(NEXT) | instid1(VALU_DEP_2)
	v_fma_f64 v[6:7], s[10:11], v[26:27], -v[6:7]
	v_fmac_f64_e32 v[28:29], s[12:13], v[26:27]
	s_wait_loadcnt_dscnt 0x0
	v_mul_f64_e32 v[34:35], s[44:45], v[32:33]
	v_mul_f64_e32 v[32:33], s[42:43], v[32:33]
	s_delay_alu instid0(VALU_DEP_2) | instskip(NEXT) | instid1(VALU_DEP_2)
	v_fma_f64 v[26:27], s[42:43], v[30:31], -v[34:35]
	v_fmac_f64_e32 v[32:33], s[44:45], v[30:31]
	s_delay_alu instid0(VALU_DEP_2) | instskip(NEXT) | instid1(VALU_DEP_2)
	v_add_f64_e32 v[26:27], v[6:7], v[26:27]
	v_add_f64_e32 v[28:29], v[28:29], v[32:33]
	flat_store_b128 v[4:5], v[26:29]
.LBB275_35:                             ;   in Loop: Header=BB275_4 Depth=1
	s_wait_xcnt 0x0
	s_or_b32 exec_lo, exec_lo, s29
	s_delay_alu instid0(SALU_CYCLE_1)
	s_and_b32 exec_lo, exec_lo, s3
	s_cbranch_execz .LBB275_2
; %bb.36:                               ;   in Loop: Header=BB275_4 Depth=1
	flat_load_b128 v[26:29], v[20:21] offset:256
	v_mul_f64_e32 v[6:7], s[12:13], v[24:25]
	v_mul_f64_e32 v[24:25], s[10:11], v[24:25]
	s_delay_alu instid0(VALU_DEP_2) | instskip(NEXT) | instid1(VALU_DEP_2)
	v_fma_f64 v[6:7], s[10:11], v[22:23], -v[6:7]
	v_fmac_f64_e32 v[24:25], s[12:13], v[22:23]
	s_wait_loadcnt_dscnt 0x0
	v_mul_f64_e32 v[20:21], s[44:45], v[28:29]
	v_mul_f64_e32 v[28:29], s[42:43], v[28:29]
	s_delay_alu instid0(VALU_DEP_2) | instskip(NEXT) | instid1(VALU_DEP_2)
	v_fma_f64 v[20:21], s[42:43], v[26:27], -v[20:21]
	v_fmac_f64_e32 v[28:29], s[44:45], v[26:27]
	s_delay_alu instid0(VALU_DEP_2) | instskip(NEXT) | instid1(VALU_DEP_2)
	v_add_f64_e32 v[20:21], v[6:7], v[20:21]
	v_add_f64_e32 v[22:23], v[24:25], v[28:29]
	flat_store_b128 v[4:5], v[20:23] offset:256
	s_branch .LBB275_2
.LBB275_37:
	s_sendmsg sendmsg(MSG_DEALLOC_VGPRS)
	s_endpgm
	.section	.rodata,"a",@progbits
	.p2align	6, 0x0
	.amdhsa_kernel _ZN12_GLOBAL__N_135rocblas_gemm_batched_general_kernelI19rocblas_complex_numIdELi16ELi16ELi32ELi32ELi8ELi32ELi8ELi8ELi32ELc67ELc84EKPKS2_S5_KPS2_EEvlllT_PT11_llSA_llS8_PT12_llPT13_lli
		.amdhsa_group_segment_fixed_size 8192
		.amdhsa_private_segment_fixed_size 0
		.amdhsa_kernarg_size 156
		.amdhsa_user_sgpr_count 2
		.amdhsa_user_sgpr_dispatch_ptr 0
		.amdhsa_user_sgpr_queue_ptr 0
		.amdhsa_user_sgpr_kernarg_segment_ptr 1
		.amdhsa_user_sgpr_dispatch_id 0
		.amdhsa_user_sgpr_kernarg_preload_length 0
		.amdhsa_user_sgpr_kernarg_preload_offset 0
		.amdhsa_user_sgpr_private_segment_size 0
		.amdhsa_wavefront_size32 1
		.amdhsa_uses_dynamic_stack 0
		.amdhsa_enable_private_segment 0
		.amdhsa_system_sgpr_workgroup_id_x 1
		.amdhsa_system_sgpr_workgroup_id_y 1
		.amdhsa_system_sgpr_workgroup_id_z 1
		.amdhsa_system_sgpr_workgroup_info 0
		.amdhsa_system_vgpr_workitem_id 1
		.amdhsa_next_free_vgpr 134
		.amdhsa_next_free_sgpr 52
		.amdhsa_named_barrier_count 0
		.amdhsa_reserve_vcc 1
		.amdhsa_float_round_mode_32 0
		.amdhsa_float_round_mode_16_64 0
		.amdhsa_float_denorm_mode_32 3
		.amdhsa_float_denorm_mode_16_64 3
		.amdhsa_fp16_overflow 0
		.amdhsa_memory_ordered 1
		.amdhsa_forward_progress 1
		.amdhsa_inst_pref_size 25
		.amdhsa_round_robin_scheduling 0
		.amdhsa_exception_fp_ieee_invalid_op 0
		.amdhsa_exception_fp_denorm_src 0
		.amdhsa_exception_fp_ieee_div_zero 0
		.amdhsa_exception_fp_ieee_overflow 0
		.amdhsa_exception_fp_ieee_underflow 0
		.amdhsa_exception_fp_ieee_inexact 0
		.amdhsa_exception_int_div_zero 0
	.end_amdhsa_kernel
	.section	.text._ZN12_GLOBAL__N_135rocblas_gemm_batched_general_kernelI19rocblas_complex_numIdELi16ELi16ELi32ELi32ELi8ELi32ELi8ELi8ELi32ELc67ELc84EKPKS2_S5_KPS2_EEvlllT_PT11_llSA_llS8_PT12_llPT13_lli,"axG",@progbits,_ZN12_GLOBAL__N_135rocblas_gemm_batched_general_kernelI19rocblas_complex_numIdELi16ELi16ELi32ELi32ELi8ELi32ELi8ELi8ELi32ELc67ELc84EKPKS2_S5_KPS2_EEvlllT_PT11_llSA_llS8_PT12_llPT13_lli,comdat
.Lfunc_end275:
	.size	_ZN12_GLOBAL__N_135rocblas_gemm_batched_general_kernelI19rocblas_complex_numIdELi16ELi16ELi32ELi32ELi8ELi32ELi8ELi8ELi32ELc67ELc84EKPKS2_S5_KPS2_EEvlllT_PT11_llSA_llS8_PT12_llPT13_lli, .Lfunc_end275-_ZN12_GLOBAL__N_135rocblas_gemm_batched_general_kernelI19rocblas_complex_numIdELi16ELi16ELi32ELi32ELi8ELi32ELi8ELi8ELi32ELc67ELc84EKPKS2_S5_KPS2_EEvlllT_PT11_llSA_llS8_PT12_llPT13_lli
                                        ; -- End function
	.set _ZN12_GLOBAL__N_135rocblas_gemm_batched_general_kernelI19rocblas_complex_numIdELi16ELi16ELi32ELi32ELi8ELi32ELi8ELi8ELi32ELc67ELc84EKPKS2_S5_KPS2_EEvlllT_PT11_llSA_llS8_PT12_llPT13_lli.num_vgpr, 134
	.set _ZN12_GLOBAL__N_135rocblas_gemm_batched_general_kernelI19rocblas_complex_numIdELi16ELi16ELi32ELi32ELi8ELi32ELi8ELi8ELi32ELc67ELc84EKPKS2_S5_KPS2_EEvlllT_PT11_llSA_llS8_PT12_llPT13_lli.num_agpr, 0
	.set _ZN12_GLOBAL__N_135rocblas_gemm_batched_general_kernelI19rocblas_complex_numIdELi16ELi16ELi32ELi32ELi8ELi32ELi8ELi8ELi32ELc67ELc84EKPKS2_S5_KPS2_EEvlllT_PT11_llSA_llS8_PT12_llPT13_lli.numbered_sgpr, 52
	.set _ZN12_GLOBAL__N_135rocblas_gemm_batched_general_kernelI19rocblas_complex_numIdELi16ELi16ELi32ELi32ELi8ELi32ELi8ELi8ELi32ELc67ELc84EKPKS2_S5_KPS2_EEvlllT_PT11_llSA_llS8_PT12_llPT13_lli.num_named_barrier, 0
	.set _ZN12_GLOBAL__N_135rocblas_gemm_batched_general_kernelI19rocblas_complex_numIdELi16ELi16ELi32ELi32ELi8ELi32ELi8ELi8ELi32ELc67ELc84EKPKS2_S5_KPS2_EEvlllT_PT11_llSA_llS8_PT12_llPT13_lli.private_seg_size, 0
	.set _ZN12_GLOBAL__N_135rocblas_gemm_batched_general_kernelI19rocblas_complex_numIdELi16ELi16ELi32ELi32ELi8ELi32ELi8ELi8ELi32ELc67ELc84EKPKS2_S5_KPS2_EEvlllT_PT11_llSA_llS8_PT12_llPT13_lli.uses_vcc, 1
	.set _ZN12_GLOBAL__N_135rocblas_gemm_batched_general_kernelI19rocblas_complex_numIdELi16ELi16ELi32ELi32ELi8ELi32ELi8ELi8ELi32ELc67ELc84EKPKS2_S5_KPS2_EEvlllT_PT11_llSA_llS8_PT12_llPT13_lli.uses_flat_scratch, 0
	.set _ZN12_GLOBAL__N_135rocblas_gemm_batched_general_kernelI19rocblas_complex_numIdELi16ELi16ELi32ELi32ELi8ELi32ELi8ELi8ELi32ELc67ELc84EKPKS2_S5_KPS2_EEvlllT_PT11_llSA_llS8_PT12_llPT13_lli.has_dyn_sized_stack, 0
	.set _ZN12_GLOBAL__N_135rocblas_gemm_batched_general_kernelI19rocblas_complex_numIdELi16ELi16ELi32ELi32ELi8ELi32ELi8ELi8ELi32ELc67ELc84EKPKS2_S5_KPS2_EEvlllT_PT11_llSA_llS8_PT12_llPT13_lli.has_recursion, 0
	.set _ZN12_GLOBAL__N_135rocblas_gemm_batched_general_kernelI19rocblas_complex_numIdELi16ELi16ELi32ELi32ELi8ELi32ELi8ELi8ELi32ELc67ELc84EKPKS2_S5_KPS2_EEvlllT_PT11_llSA_llS8_PT12_llPT13_lli.has_indirect_call, 0
	.section	.AMDGPU.csdata,"",@progbits
; Kernel info:
; codeLenInByte = 3080
; TotalNumSgprs: 54
; NumVgprs: 134
; ScratchSize: 0
; MemoryBound: 1
; FloatMode: 240
; IeeeMode: 1
; LDSByteSize: 8192 bytes/workgroup (compile time only)
; SGPRBlocks: 0
; VGPRBlocks: 8
; NumSGPRsForWavesPerEU: 54
; NumVGPRsForWavesPerEU: 134
; NamedBarCnt: 0
; Occupancy: 7
; WaveLimiterHint : 1
; COMPUTE_PGM_RSRC2:SCRATCH_EN: 0
; COMPUTE_PGM_RSRC2:USER_SGPR: 2
; COMPUTE_PGM_RSRC2:TRAP_HANDLER: 0
; COMPUTE_PGM_RSRC2:TGID_X_EN: 1
; COMPUTE_PGM_RSRC2:TGID_Y_EN: 1
; COMPUTE_PGM_RSRC2:TGID_Z_EN: 1
; COMPUTE_PGM_RSRC2:TIDIG_COMP_CNT: 1
	.section	.text._ZN12_GLOBAL__N_135rocblas_gemm_batched_general_kernelI19rocblas_complex_numIdELi16ELi16ELi32ELi32ELi8ELi32ELi8ELi8ELi32ELc78ELc67EKPKS2_S5_KPS2_EEvlllT_PT11_llSA_llS8_PT12_llPT13_lli,"axG",@progbits,_ZN12_GLOBAL__N_135rocblas_gemm_batched_general_kernelI19rocblas_complex_numIdELi16ELi16ELi32ELi32ELi8ELi32ELi8ELi8ELi32ELc78ELc67EKPKS2_S5_KPS2_EEvlllT_PT11_llSA_llS8_PT12_llPT13_lli,comdat
	.globl	_ZN12_GLOBAL__N_135rocblas_gemm_batched_general_kernelI19rocblas_complex_numIdELi16ELi16ELi32ELi32ELi8ELi32ELi8ELi8ELi32ELc78ELc67EKPKS2_S5_KPS2_EEvlllT_PT11_llSA_llS8_PT12_llPT13_lli ; -- Begin function _ZN12_GLOBAL__N_135rocblas_gemm_batched_general_kernelI19rocblas_complex_numIdELi16ELi16ELi32ELi32ELi8ELi32ELi8ELi8ELi32ELc78ELc67EKPKS2_S5_KPS2_EEvlllT_PT11_llSA_llS8_PT12_llPT13_lli
	.p2align	8
	.type	_ZN12_GLOBAL__N_135rocblas_gemm_batched_general_kernelI19rocblas_complex_numIdELi16ELi16ELi32ELi32ELi8ELi32ELi8ELi8ELi32ELc78ELc67EKPKS2_S5_KPS2_EEvlllT_PT11_llSA_llS8_PT12_llPT13_lli,@function
_ZN12_GLOBAL__N_135rocblas_gemm_batched_general_kernelI19rocblas_complex_numIdELi16ELi16ELi32ELi32ELi8ELi32ELi8ELi8ELi32ELc78ELc67EKPKS2_S5_KPS2_EEvlllT_PT11_llSA_llS8_PT12_llPT13_lli: ; @_ZN12_GLOBAL__N_135rocblas_gemm_batched_general_kernelI19rocblas_complex_numIdELi16ELi16ELi32ELi32ELi8ELi32ELi8ELi8ELi32ELc78ELc67EKPKS2_S5_KPS2_EEvlllT_PT11_llSA_llS8_PT12_llPT13_lli
; %bb.0:
	s_load_b32 s5, s[0:1], 0x98
	s_bfe_u32 s2, ttmp6, 0x40014
	s_lshr_b32 s3, ttmp7, 16
	s_add_co_i32 s2, s2, 1
	s_bfe_u32 s6, ttmp6, 0x40008
	s_mul_i32 s4, s3, s2
	s_getreg_b32 s2, hwreg(HW_REG_IB_STS2, 6, 4)
	s_add_co_i32 s6, s6, s4
	s_cmp_eq_u32 s2, 0
	s_mov_b32 s7, 0
	s_cselect_b32 s6, s3, s6
	s_wait_kmcnt 0x0
	s_cmp_ge_i32 s6, s5
	s_cbranch_scc1 .LBB276_37
; %bb.1:
	s_clause 0x3
	s_load_b512 s[8:23], s[0:1], 0x40
	s_load_b512 s[36:51], s[0:1], 0x0
	s_load_b64 s[28:29], s[0:1], 0x90
	s_load_b128 s[24:27], s[0:1], 0x80
	v_mov_b32_e32 v2, 0
	v_bfe_u32 v4, v0, 10, 10
	v_and_b32_e32 v6, 0x3ff, v0
	v_and_b32_e32 v0, 7, v0
	s_bfe_u32 s3, ttmp6, 0x4000c
	v_mov_b32_e32 v1, v2
	s_bfe_u32 s30, ttmp6, 0x40010
	v_lshl_add_u32 v3, v4, 4, v6
	v_lshlrev_b32_e32 v14, 4, v0
	s_and_b32 s4, ttmp7, 0xffff
	s_add_co_i32 s3, s3, 1
	s_add_co_i32 s30, s30, 1
	v_dual_mov_b32 v9, v2 :: v_dual_mov_b32 v17, v2
	v_dual_lshrrev_b32 v8, 5, v3 :: v_dual_lshrrev_b32 v16, 3, v3
	s_wait_kmcnt 0x0
	v_mul_u64_e32 v[18:19], s[10:11], v[0:1]
	s_and_b32 s0, ttmp6, 15
	s_bfe_u32 s31, ttmp6, 0x40004
	s_mul_i32 s3, ttmp9, s3
	s_mul_i32 s30, s4, s30
	s_add_co_i32 s0, s0, s3
	s_add_co_i32 s31, s31, s30
	s_cmp_eq_u32 s2, 0
	v_dual_mov_b32 v5, v2 :: v_dual_mov_b32 v7, v2
	v_mul_u64_e32 v[20:21], s[48:49], v[8:9]
	s_cselect_b32 s4, s4, s31
	s_mov_b32 s1, s7
	s_cselect_b32 s30, ttmp9, s0
	s_lshl_b32 s0, s4, 5
	v_cmp_eq_f64_e64 s33, s[14:15], 0
	v_cmp_eq_f64_e64 s34, s[16:17], 0
	v_add_nc_u64_e32 v[12:13], s[0:1], v[16:17]
	v_lshl_add_u32 v45, v4, 7, 0x1000
	v_add_nc_u64_e32 v[4:5], s[0:1], v[4:5]
	v_dual_lshlrev_b32 v44, 4, v6 :: v_dual_bitop2_b32 v15, 31, v3 bitop3:0x40
	s_ashr_i32 s31, s30, 31
	v_lshl_or_b32 v3, v16, 7, v14
	s_lshl_b64 s[2:3], s[30:31], 5
	v_cmp_gt_i64_e64 s0, s[38:39], v[12:13]
	v_dual_mov_b32 v11, s3 :: v_dual_bitop2_b32 v10, s2, v15 bitop3:0x54
	v_dual_lshlrev_b32 v22, 4, v15 :: v_dual_lshlrev_b32 v16, 4, v16
	v_mul_u64_e32 v[12:13], s[26:27], v[4:5]
	v_mul_u64_e32 v[14:15], s[20:21], v[4:5]
	s_delay_alu instid0(VALU_DEP_4)
	v_cmp_gt_i64_e32 vcc_lo, s[36:37], v[10:11]
	v_add_nc_u64_e32 v[10:11], s[2:3], v[6:7]
	s_lshl_b32 s2, s4, 9
	s_mov_b32 s3, s7
	s_lshl_b64 s[12:13], s[12:13], 4
	v_cmp_gt_i64_e64 s1, s[38:39], v[4:5]
	s_add_nc_u64 s[2:3], s[12:13], s[2:3]
	v_add_nc_u64_e32 v[4:5], 16, v[4:5]
	v_lshl_add_u64 v[18:19], v[18:19], 4, s[2:3]
	s_lshl_b64 s[12:13], s[30:31], 9
	s_lshl_b64 s[30:31], s[50:51], 4
	v_add_nc_u64_e32 v[6:7], 16, v[10:11]
	s_add_nc_u64 s[12:13], s[30:31], s[12:13]
	v_add_nc_u64_e32 v[16:17], v[18:19], v[16:17]
	v_cmp_gt_i64_e64 s4, s[38:39], v[4:5]
	v_lshl_add_u64 v[4:5], v[20:21], 4, s[12:13]
	v_mov_b32_e32 v23, v2
	s_and_b32 s33, s33, s34
	v_cmp_gt_i64_e64 s2, s[36:37], v[10:11]
	v_cmp_gt_i64_e64 s3, s[36:37], v[6:7]
	v_or_b32_e32 v16, 8, v16
	v_add_nc_u64_e32 v[18:19], v[4:5], v[22:23]
	v_cmp_gt_i64_e64 s34, s[40:41], 0
	v_lshl_or_b32 v46, v8, 9, v22
	v_add_nc_u32_e32 v47, 0x1000, v3
	s_lshl_b64 s[12:13], s[26:27], 4
	s_lshl_b64 s[20:21], s[20:21], 4
	;; [unrolled: 1-line block ×4, first 2 shown]
	s_xor_b32 s35, vcc_lo, -1
	s_lshl_b64 s[28:29], s[28:29], 4
	s_lshl_b64 s[22:23], s[22:23], 4
	s_branch .LBB276_4
.LBB276_2:                              ;   in Loop: Header=BB276_4 Depth=1
	s_wait_xcnt 0x0
	s_or_b32 exec_lo, exec_lo, s30
.LBB276_3:                              ;   in Loop: Header=BB276_4 Depth=1
	s_add_co_i32 s6, s6, 0x10000
	s_delay_alu instid0(SALU_CYCLE_1)
	s_cmp_lt_i32 s6, s5
	s_cbranch_scc0 .LBB276_37
.LBB276_4:                              ; =>This Loop Header: Depth=1
                                        ;     Child Loop BB276_7 Depth 2
	s_wait_xcnt 0x0
	v_mov_b32_e32 v3, s6
	s_and_not1_b32 vcc_lo, exec_lo, s34
	s_clause 0x1
	global_load_b64 v[20:21], v3, s[18:19] scale_offset
	global_load_b64 v[30:31], v3, s[24:25] scale_offset
	s_cbranch_vccnz .LBB276_13
; %bb.5:                                ;   in Loop: Header=BB276_4 Depth=1
	s_lshl_b64 s[30:31], s[6:7], 3
	v_mov_b64_e32 v[24:25], 0
	s_add_nc_u64 s[36:37], s[8:9], s[30:31]
	s_add_nc_u64 s[30:31], s[46:47], s[30:31]
	s_clause 0x1
	global_load_b64 v[4:5], v2, s[36:37]
	global_load_b64 v[6:7], v2, s[30:31]
	v_mov_b64_e32 v[22:23], 0
	v_mov_b64_e32 v[28:29], 0
	;; [unrolled: 1-line block ×7, first 2 shown]
	s_wait_xcnt 0x0
	s_mov_b64 s[30:31], 0
	s_wait_loadcnt 0x1
	v_add_nc_u64_e32 v[40:41], v[4:5], v[16:17]
	s_wait_loadcnt 0x0
	v_add_nc_u64_e32 v[42:43], v[6:7], v[18:19]
	s_branch .LBB276_7
.LBB276_6:                              ;   in Loop: Header=BB276_7 Depth=2
	s_wait_xcnt 0x0
	s_or_b32 exec_lo, exec_lo, s36
	ds_store_b128 v47, v[4:7]
	s_wait_dscnt 0x0
	s_barrier_signal -1
	s_barrier_wait -1
	ds_load_b128 v[4:7], v45
	ds_load_b128 v[48:51], v44
	ds_load_b128 v[52:55], v44 offset:256
	ds_load_b128 v[56:59], v45 offset:2048
	;; [unrolled: 1-line block ×10, first 2 shown]
	s_add_nc_u64 s[30:31], s[30:31], 8
	v_add_nc_u64_e32 v[40:41], s[10:11], v[40:41]
	v_cmp_lt_i64_e64 s36, s[30:31], s[40:41]
	v_add_nc_u64_e32 v[42:43], s[26:27], v[42:43]
	s_and_b32 vcc_lo, exec_lo, s36
	s_wait_dscnt 0xa
	v_mul_f64_e32 v[92:93], v[6:7], v[50:51]
	v_mul_f64_e32 v[94:95], v[4:5], v[50:51]
	s_wait_dscnt 0x9
	v_mul_f64_e32 v[96:97], v[6:7], v[54:55]
	v_mul_f64_e32 v[98:99], v[4:5], v[54:55]
	s_wait_dscnt 0x8
	v_mul_f64_e32 v[100:101], v[58:59], v[50:51]
	v_mul_f64_e32 v[102:103], v[56:57], v[50:51]
	v_mul_f64_e32 v[50:51], v[58:59], v[54:55]
	v_mul_f64_e32 v[104:105], v[56:57], v[54:55]
	s_wait_dscnt 0x6
	v_mul_f64_e32 v[106:107], v[62:63], v[66:67]
	v_mul_f64_e32 v[108:109], v[60:61], v[66:67]
	s_wait_dscnt 0x5
	v_mul_f64_e32 v[110:111], v[62:63], v[70:71]
	v_mul_f64_e32 v[112:113], v[60:61], v[70:71]
	s_wait_dscnt 0x4
	v_mul_f64_e32 v[114:115], v[74:75], v[66:67]
	v_mul_f64_e32 v[66:67], v[72:73], v[66:67]
	v_mul_f64_e32 v[116:117], v[74:75], v[70:71]
	v_mul_f64_e32 v[70:71], v[72:73], v[70:71]
	;; [unrolled: 11-line block ×3, first 2 shown]
	v_fma_f64 v[92:93], v[4:5], v[48:49], -v[92:93]
	v_fmac_f64_e32 v[94:95], v[6:7], v[48:49]
	v_fma_f64 v[96:97], v[4:5], v[52:53], -v[96:97]
	v_fmac_f64_e32 v[98:99], v[6:7], v[52:53]
	;; [unrolled: 2-line block ×8, first 2 shown]
	ds_load_b128 v[4:7], v45 offset:48
	ds_load_b128 v[48:51], v45 offset:2096
	;; [unrolled: 1-line block ×4, first 2 shown]
	v_fma_f64 v[120:121], v[76:77], v[80:81], -v[120:121]
	v_fmac_f64_e32 v[122:123], v[78:79], v[80:81]
	v_fma_f64 v[76:77], v[76:77], v[84:85], -v[124:125]
	v_fmac_f64_e32 v[126:127], v[78:79], v[84:85]
	;; [unrolled: 2-line block ×4, first 2 shown]
	v_add_f64_e32 v[68:69], v[36:37], v[92:93]
	v_add_f64_e32 v[72:73], v[94:95], v[38:39]
	;; [unrolled: 1-line block ×8, first 2 shown]
	s_wait_dscnt 0x1
	v_mul_f64_e32 v[102:103], v[6:7], v[54:55]
	v_mul_f64_e32 v[104:105], v[4:5], v[54:55]
	s_wait_dscnt 0x0
	v_mul_f64_e32 v[110:111], v[6:7], v[58:59]
	v_mul_f64_e32 v[114:115], v[4:5], v[58:59]
	;; [unrolled: 1-line block ×6, first 2 shown]
	ds_load_b128 v[22:25], v45 offset:64
	ds_load_b128 v[26:29], v44 offset:2048
	;; [unrolled: 1-line block ×4, first 2 shown]
	v_add_f64_e32 v[84:85], v[68:69], v[106:107]
	v_add_f64_e32 v[88:89], v[108:109], v[72:73]
	;; [unrolled: 1-line block ×8, first 2 shown]
	s_wait_dscnt 0x2
	v_mul_f64_e32 v[100:101], v[24:25], v[28:29]
	v_mul_f64_e32 v[106:107], v[22:23], v[28:29]
	s_wait_dscnt 0x1
	v_mul_f64_e32 v[108:109], v[24:25], v[34:35]
	v_mul_f64_e32 v[112:113], v[22:23], v[34:35]
	;; [unrolled: 3-line block ×3, first 2 shown]
	v_mul_f64_e32 v[28:29], v[38:39], v[34:35]
	v_mul_f64_e32 v[130:131], v[36:37], v[34:35]
	v_fma_f64 v[34:35], v[4:5], v[52:53], -v[102:103]
	v_fmac_f64_e32 v[104:105], v[6:7], v[52:53]
	v_fma_f64 v[102:103], v[4:5], v[56:57], -v[110:111]
	v_fmac_f64_e32 v[114:115], v[6:7], v[56:57]
	;; [unrolled: 2-line block ×4, first 2 shown]
	ds_load_b128 v[58:61], v45 offset:80
	ds_load_b128 v[62:65], v45 offset:2128
	;; [unrolled: 1-line block ×4, first 2 shown]
	v_add_f64_e32 v[56:57], v[84:85], v[120:121]
	v_add_f64_e32 v[84:85], v[122:123], v[88:89]
	v_add_f64_e32 v[88:89], v[74:75], v[76:77]
	v_add_f64_e32 v[90:91], v[126:127], v[90:91]
	v_add_f64_e32 v[78:79], v[92:93], v[78:79]
	v_add_f64_e32 v[82:83], v[82:83], v[94:95]
	v_add_f64_e32 v[80:81], v[96:97], v[80:81]
	v_add_f64_e32 v[86:87], v[86:87], v[98:99]
	v_fma_f64 v[100:101], v[22:23], v[26:27], -v[100:101]
	v_fmac_f64_e32 v[106:107], v[24:25], v[26:27]
	v_fma_f64 v[108:109], v[22:23], v[32:33], -v[108:109]
	s_wait_dscnt 0x1
	v_mul_f64_e32 v[92:93], v[60:61], v[68:69]
	v_mul_f64_e32 v[94:95], v[58:59], v[68:69]
	s_wait_dscnt 0x0
	v_mul_f64_e32 v[96:97], v[60:61], v[72:73]
	v_mul_f64_e32 v[98:99], v[58:59], v[72:73]
	;; [unrolled: 1-line block ×6, first 2 shown]
	v_fmac_f64_e32 v[112:113], v[24:25], v[32:33]
	v_fma_f64 v[124:125], v[36:37], v[26:27], -v[124:125]
	v_fmac_f64_e32 v[128:129], v[38:39], v[26:27]
	v_fma_f64 v[126:127], v[36:37], v[32:33], -v[28:29]
	v_fmac_f64_e32 v[130:131], v[38:39], v[32:33]
	ds_load_b128 v[4:7], v45 offset:96
	ds_load_b128 v[48:51], v44 offset:3072
	;; [unrolled: 1-line block ×4, first 2 shown]
	v_add_f64_e32 v[56:57], v[56:57], v[34:35]
	v_add_f64_e32 v[84:85], v[104:105], v[84:85]
	;; [unrolled: 1-line block ×8, first 2 shown]
	ds_load_b128 v[22:25], v45 offset:112
	ds_load_b128 v[26:29], v45 offset:2160
	;; [unrolled: 1-line block ×4, first 2 shown]
	s_wait_dscnt 0x0
	v_mul_f64_e32 v[102:103], v[6:7], v[50:51]
	v_mul_f64_e32 v[104:105], v[4:5], v[50:51]
	;; [unrolled: 1-line block ×8, first 2 shown]
	v_fma_f64 v[92:93], v[58:59], v[66:67], -v[92:93]
	v_fmac_f64_e32 v[94:95], v[60:61], v[66:67]
	v_fma_f64 v[58:59], v[58:59], v[70:71], -v[96:97]
	v_fmac_f64_e32 v[98:99], v[60:61], v[70:71]
	;; [unrolled: 2-line block ×4, first 2 shown]
	s_barrier_signal -1
	s_barrier_wait -1
	v_mul_f64_e32 v[96:97], v[22:23], v[38:39]
	v_add_f64_e32 v[56:57], v[56:57], v[100:101]
	v_add_f64_e32 v[64:65], v[106:107], v[84:85]
	;; [unrolled: 1-line block ×8, first 2 shown]
	v_mul_f64_e32 v[86:87], v[24:25], v[34:35]
	v_mul_f64_e32 v[88:89], v[22:23], v[34:35]
	;; [unrolled: 1-line block ×7, first 2 shown]
	v_fma_f64 v[38:39], v[4:5], v[48:49], -v[102:103]
	v_fmac_f64_e32 v[104:105], v[6:7], v[48:49]
	v_fma_f64 v[4:5], v[4:5], v[52:53], -v[110:111]
	v_fmac_f64_e32 v[114:115], v[6:7], v[52:53]
	;; [unrolled: 2-line block ×4, first 2 shown]
	v_fmac_f64_e32 v[96:97], v[24:25], v[36:37]
	v_add_f64_e32 v[52:53], v[56:57], v[92:93]
	v_add_f64_e32 v[56:57], v[94:95], v[64:65]
	;; [unrolled: 1-line block ×8, first 2 shown]
	v_fma_f64 v[70:71], v[22:23], v[32:33], -v[86:87]
	v_fmac_f64_e32 v[88:89], v[24:25], v[32:33]
	v_fma_f64 v[22:23], v[22:23], v[36:37], -v[90:91]
	v_fma_f64 v[24:25], v[26:27], v[32:33], -v[100:101]
	v_fmac_f64_e32 v[106:107], v[28:29], v[32:33]
	v_fma_f64 v[72:73], v[26:27], v[36:37], -v[34:35]
	v_fmac_f64_e32 v[108:109], v[28:29], v[36:37]
	v_add_f64_e32 v[26:27], v[52:53], v[38:39]
	v_add_f64_e32 v[28:29], v[104:105], v[56:57]
	v_add_f64_e32 v[4:5], v[58:59], v[4:5]
	v_add_f64_e32 v[34:35], v[114:115], v[64:65]
	v_add_f64_e32 v[6:7], v[60:61], v[6:7]
	v_add_f64_e32 v[50:51], v[50:51], v[66:67]
	v_add_f64_e32 v[48:49], v[62:63], v[48:49]
	v_add_f64_e32 v[52:53], v[54:55], v[68:69]
	v_add_f64_e32 v[36:37], v[26:27], v[70:71]
	v_add_f64_e32 v[38:39], v[88:89], v[28:29]
	v_add_f64_e32 v[32:33], v[4:5], v[22:23]
	v_add_f64_e32 v[34:35], v[96:97], v[34:35]
	v_add_f64_e32 v[26:27], v[6:7], v[24:25]
	v_add_f64_e32 v[28:29], v[106:107], v[50:51]
	v_add_f64_e32 v[22:23], v[48:49], v[72:73]
	v_add_f64_e32 v[24:25], v[108:109], v[52:53]
	s_cbranch_vccz .LBB276_14
.LBB276_7:                              ;   Parent Loop BB276_4 Depth=1
                                        ; =>  This Inner Loop Header: Depth=2
	v_add_nc_u64_e32 v[4:5], s[30:31], v[8:9]
	s_delay_alu instid0(VALU_DEP_1) | instskip(SKIP_1) | instid1(SALU_CYCLE_1)
	v_cmp_le_i64_e32 vcc_lo, s[40:41], v[4:5]
	s_or_b32 s36, s35, vcc_lo
	s_and_saveexec_b32 s37, s36
	s_delay_alu instid0(SALU_CYCLE_1)
	s_xor_b32 s36, exec_lo, s37
; %bb.8:                                ;   in Loop: Header=BB276_7 Depth=2
	v_dual_mov_b32 v3, v2 :: v_dual_mov_b32 v4, v2
	v_mov_b32_e32 v5, v2
	ds_store_b128 v46, v[2:5]
; %bb.9:                                ;   in Loop: Header=BB276_7 Depth=2
	s_and_not1_saveexec_b32 s36, s36
	s_cbranch_execz .LBB276_11
; %bb.10:                               ;   in Loop: Header=BB276_7 Depth=2
	flat_load_b128 v[4:7], v[42:43]
	s_wait_loadcnt_dscnt 0x0
	ds_store_2addr_b64 v46, v[4:5], v[6:7] offset1:1
.LBB276_11:                             ;   in Loop: Header=BB276_7 Depth=2
	s_wait_xcnt 0x0
	s_or_b32 exec_lo, exec_lo, s36
	v_add_nc_u64_e32 v[4:5], s[30:31], v[0:1]
	v_mov_b64_e32 v[6:7], 0
	s_delay_alu instid0(VALU_DEP_2) | instskip(SKIP_2) | instid1(SALU_CYCLE_1)
	v_cmp_gt_i64_e32 vcc_lo, s[40:41], v[4:5]
	v_mov_b64_e32 v[4:5], 0
	s_and_b32 s37, vcc_lo, s0
	s_and_saveexec_b32 s36, s37
	s_cbranch_execz .LBB276_6
; %bb.12:                               ;   in Loop: Header=BB276_7 Depth=2
	flat_load_b128 v[4:7], v[40:41] offset:-8
	s_wait_loadcnt_dscnt 0x0
	v_xor_b32_e32 v7, 0x80000000, v7
	s_branch .LBB276_6
.LBB276_13:                             ;   in Loop: Header=BB276_4 Depth=1
	v_mov_b64_e32 v[36:37], 0
	v_mov_b64_e32 v[38:39], 0
	;; [unrolled: 1-line block ×8, first 2 shown]
.LBB276_14:                             ;   in Loop: Header=BB276_4 Depth=1
	s_wait_loadcnt 0x0
	v_add_nc_u64_e32 v[4:5], s[28:29], v[30:31]
	s_and_not1_b32 vcc_lo, exec_lo, s33
	s_mov_b32 s30, -1
	s_cbranch_vccz .LBB276_16
; %bb.15:                               ;   in Loop: Header=BB276_4 Depth=1
	s_and_not1_b32 vcc_lo, exec_lo, s30
	s_cbranch_vccnz .LBB276_3
	s_branch .LBB276_27
.LBB276_16:                             ;   in Loop: Header=BB276_4 Depth=1
	s_wait_xcnt 0x0
	s_and_saveexec_b32 s30, s1
	s_cbranch_execz .LBB276_26
; %bb.17:                               ;   in Loop: Header=BB276_4 Depth=1
	v_lshl_add_u64 v[6:7], v[12:13], 4, v[4:5]
	s_delay_alu instid0(VALU_DEP_1)
	v_lshl_add_u64 v[30:31], v[10:11], 4, v[6:7]
	s_and_saveexec_b32 s31, s2
	s_cbranch_execnz .LBB276_20
; %bb.18:                               ;   in Loop: Header=BB276_4 Depth=1
	s_or_b32 exec_lo, exec_lo, s31
	s_and_saveexec_b32 s31, s3
	s_cbranch_execnz .LBB276_21
.LBB276_19:                             ;   in Loop: Header=BB276_4 Depth=1
	s_or_b32 exec_lo, exec_lo, s31
	s_delay_alu instid0(SALU_CYCLE_1)
	s_and_b32 exec_lo, exec_lo, s4
	s_cbranch_execnz .LBB276_22
	s_branch .LBB276_26
.LBB276_20:                             ;   in Loop: Header=BB276_4 Depth=1
	v_mul_f64_e32 v[40:41], s[44:45], v[38:39]
	v_mul_f64_e32 v[42:43], s[42:43], v[38:39]
	s_delay_alu instid0(VALU_DEP_2) | instskip(NEXT) | instid1(VALU_DEP_2)
	v_fma_f64 v[40:41], s[42:43], v[36:37], -v[40:41]
	v_fmac_f64_e32 v[42:43], s[44:45], v[36:37]
	flat_store_b128 v[30:31], v[40:43]
	s_wait_xcnt 0x0
	s_or_b32 exec_lo, exec_lo, s31
	s_and_saveexec_b32 s31, s3
	s_cbranch_execz .LBB276_19
.LBB276_21:                             ;   in Loop: Header=BB276_4 Depth=1
	v_mul_f64_e32 v[40:41], s[44:45], v[34:35]
	v_mul_f64_e32 v[42:43], s[42:43], v[34:35]
	s_delay_alu instid0(VALU_DEP_2) | instskip(NEXT) | instid1(VALU_DEP_2)
	v_fma_f64 v[40:41], s[42:43], v[32:33], -v[40:41]
	v_fmac_f64_e32 v[42:43], s[44:45], v[32:33]
	flat_store_b128 v[30:31], v[40:43] offset:256
	s_wait_xcnt 0x0
	s_or_b32 exec_lo, exec_lo, s31
	s_delay_alu instid0(SALU_CYCLE_1)
	s_and_b32 exec_lo, exec_lo, s4
	s_cbranch_execz .LBB276_26
.LBB276_22:                             ;   in Loop: Header=BB276_4 Depth=1
	v_lshl_add_u64 v[6:7], s[12:13], 4, v[6:7]
	s_delay_alu instid0(VALU_DEP_1)
	v_lshl_add_u64 v[6:7], v[10:11], 4, v[6:7]
	s_and_saveexec_b32 s31, s2
	s_cbranch_execz .LBB276_24
; %bb.23:                               ;   in Loop: Header=BB276_4 Depth=1
	v_mul_f64_e32 v[30:31], s[44:45], v[28:29]
	v_mul_f64_e32 v[42:43], s[42:43], v[28:29]
	s_delay_alu instid0(VALU_DEP_2) | instskip(NEXT) | instid1(VALU_DEP_2)
	v_fma_f64 v[40:41], s[42:43], v[26:27], -v[30:31]
	v_fmac_f64_e32 v[42:43], s[44:45], v[26:27]
	flat_store_b128 v[6:7], v[40:43]
.LBB276_24:                             ;   in Loop: Header=BB276_4 Depth=1
	s_wait_xcnt 0x0
	s_or_b32 exec_lo, exec_lo, s31
	s_delay_alu instid0(SALU_CYCLE_1)
	s_and_b32 exec_lo, exec_lo, s3
	s_cbranch_execz .LBB276_26
; %bb.25:                               ;   in Loop: Header=BB276_4 Depth=1
	v_mul_f64_e32 v[30:31], s[44:45], v[24:25]
	v_mul_f64_e32 v[42:43], s[42:43], v[24:25]
	s_delay_alu instid0(VALU_DEP_2) | instskip(NEXT) | instid1(VALU_DEP_2)
	v_fma_f64 v[40:41], s[42:43], v[22:23], -v[30:31]
	v_fmac_f64_e32 v[42:43], s[44:45], v[22:23]
	flat_store_b128 v[6:7], v[40:43] offset:256
.LBB276_26:                             ;   in Loop: Header=BB276_4 Depth=1
	s_wait_xcnt 0x0
	s_or_b32 exec_lo, exec_lo, s30
	s_cbranch_execnz .LBB276_3
.LBB276_27:                             ;   in Loop: Header=BB276_4 Depth=1
	s_wait_xcnt 0x0
	s_and_saveexec_b32 s30, s1
	s_cbranch_execz .LBB276_2
; %bb.28:                               ;   in Loop: Header=BB276_4 Depth=1
	v_add_nc_u64_e32 v[20:21], s[22:23], v[20:21]
	v_lshlrev_b64_e32 v[6:7], 4, v[10:11]
	v_lshl_add_u64 v[4:5], v[12:13], 4, v[4:5]
	s_delay_alu instid0(VALU_DEP_3) | instskip(NEXT) | instid1(VALU_DEP_2)
	v_lshl_add_u64 v[20:21], v[14:15], 4, v[20:21]
	v_add_nc_u64_e32 v[30:31], v[4:5], v[6:7]
	s_delay_alu instid0(VALU_DEP_2)
	v_add_nc_u64_e32 v[40:41], v[20:21], v[6:7]
	s_and_saveexec_b32 s31, s2
	s_cbranch_execnz .LBB276_31
; %bb.29:                               ;   in Loop: Header=BB276_4 Depth=1
	s_or_b32 exec_lo, exec_lo, s31
	s_and_saveexec_b32 s31, s3
	s_cbranch_execnz .LBB276_32
.LBB276_30:                             ;   in Loop: Header=BB276_4 Depth=1
	s_or_b32 exec_lo, exec_lo, s31
	s_delay_alu instid0(SALU_CYCLE_1)
	s_and_b32 exec_lo, exec_lo, s4
	s_cbranch_execz .LBB276_2
	s_branch .LBB276_33
.LBB276_31:                             ;   in Loop: Header=BB276_4 Depth=1
	flat_load_b128 v[48:51], v[40:41]
	v_mul_f64_e32 v[42:43], s[44:45], v[38:39]
	v_mul_f64_e32 v[38:39], s[42:43], v[38:39]
	s_delay_alu instid0(VALU_DEP_2) | instskip(NEXT) | instid1(VALU_DEP_2)
	v_fma_f64 v[42:43], s[42:43], v[36:37], -v[42:43]
	v_fmac_f64_e32 v[38:39], s[44:45], v[36:37]
	s_wait_loadcnt_dscnt 0x0
	v_mul_f64_e32 v[52:53], s[16:17], v[50:51]
	v_mul_f64_e32 v[50:51], s[14:15], v[50:51]
	s_delay_alu instid0(VALU_DEP_2) | instskip(NEXT) | instid1(VALU_DEP_2)
	v_fma_f64 v[36:37], s[14:15], v[48:49], -v[52:53]
	v_fmac_f64_e32 v[50:51], s[16:17], v[48:49]
	s_delay_alu instid0(VALU_DEP_2) | instskip(NEXT) | instid1(VALU_DEP_2)
	v_add_f64_e32 v[36:37], v[42:43], v[36:37]
	v_add_f64_e32 v[38:39], v[38:39], v[50:51]
	flat_store_b128 v[30:31], v[36:39]
	s_wait_xcnt 0x0
	s_or_b32 exec_lo, exec_lo, s31
	s_and_saveexec_b32 s31, s3
	s_cbranch_execz .LBB276_30
.LBB276_32:                             ;   in Loop: Header=BB276_4 Depth=1
	flat_load_b128 v[36:39], v[40:41] offset:256
	s_wait_xcnt 0x0
	v_mul_f64_e32 v[40:41], s[44:45], v[34:35]
	v_mul_f64_e32 v[34:35], s[42:43], v[34:35]
	s_delay_alu instid0(VALU_DEP_2) | instskip(NEXT) | instid1(VALU_DEP_2)
	v_fma_f64 v[40:41], s[42:43], v[32:33], -v[40:41]
	v_fmac_f64_e32 v[34:35], s[44:45], v[32:33]
	s_wait_loadcnt_dscnt 0x0
	v_mul_f64_e32 v[42:43], s[16:17], v[38:39]
	v_mul_f64_e32 v[38:39], s[14:15], v[38:39]
	s_delay_alu instid0(VALU_DEP_2) | instskip(NEXT) | instid1(VALU_DEP_2)
	v_fma_f64 v[32:33], s[14:15], v[36:37], -v[42:43]
	v_fmac_f64_e32 v[38:39], s[16:17], v[36:37]
	s_delay_alu instid0(VALU_DEP_2) | instskip(NEXT) | instid1(VALU_DEP_2)
	v_add_f64_e32 v[32:33], v[40:41], v[32:33]
	v_add_f64_e32 v[34:35], v[34:35], v[38:39]
	flat_store_b128 v[30:31], v[32:35] offset:256
	s_wait_xcnt 0x0
	s_or_b32 exec_lo, exec_lo, s31
	s_delay_alu instid0(SALU_CYCLE_1)
	s_and_b32 exec_lo, exec_lo, s4
	s_cbranch_execz .LBB276_2
.LBB276_33:                             ;   in Loop: Header=BB276_4 Depth=1
	v_lshl_add_u64 v[20:21], s[20:21], 4, v[20:21]
	v_lshl_add_u64 v[4:5], s[12:13], 4, v[4:5]
	s_delay_alu instid0(VALU_DEP_2) | instskip(NEXT) | instid1(VALU_DEP_2)
	v_add_nc_u64_e32 v[20:21], v[20:21], v[6:7]
	v_add_nc_u64_e32 v[4:5], v[4:5], v[6:7]
	s_and_saveexec_b32 s31, s2
	s_cbranch_execz .LBB276_35
; %bb.34:                               ;   in Loop: Header=BB276_4 Depth=1
	flat_load_b128 v[30:33], v[20:21]
	v_mul_f64_e32 v[6:7], s[44:45], v[28:29]
	v_mul_f64_e32 v[28:29], s[42:43], v[28:29]
	s_delay_alu instid0(VALU_DEP_2) | instskip(NEXT) | instid1(VALU_DEP_2)
	v_fma_f64 v[6:7], s[42:43], v[26:27], -v[6:7]
	v_fmac_f64_e32 v[28:29], s[44:45], v[26:27]
	s_wait_loadcnt_dscnt 0x0
	v_mul_f64_e32 v[34:35], s[16:17], v[32:33]
	v_mul_f64_e32 v[32:33], s[14:15], v[32:33]
	s_delay_alu instid0(VALU_DEP_2) | instskip(NEXT) | instid1(VALU_DEP_2)
	v_fma_f64 v[26:27], s[14:15], v[30:31], -v[34:35]
	v_fmac_f64_e32 v[32:33], s[16:17], v[30:31]
	s_delay_alu instid0(VALU_DEP_2) | instskip(NEXT) | instid1(VALU_DEP_2)
	v_add_f64_e32 v[26:27], v[6:7], v[26:27]
	v_add_f64_e32 v[28:29], v[28:29], v[32:33]
	flat_store_b128 v[4:5], v[26:29]
.LBB276_35:                             ;   in Loop: Header=BB276_4 Depth=1
	s_wait_xcnt 0x0
	s_or_b32 exec_lo, exec_lo, s31
	s_delay_alu instid0(SALU_CYCLE_1)
	s_and_b32 exec_lo, exec_lo, s3
	s_cbranch_execz .LBB276_2
; %bb.36:                               ;   in Loop: Header=BB276_4 Depth=1
	flat_load_b128 v[26:29], v[20:21] offset:256
	v_mul_f64_e32 v[6:7], s[44:45], v[24:25]
	v_mul_f64_e32 v[24:25], s[42:43], v[24:25]
	s_delay_alu instid0(VALU_DEP_2) | instskip(NEXT) | instid1(VALU_DEP_2)
	v_fma_f64 v[6:7], s[42:43], v[22:23], -v[6:7]
	v_fmac_f64_e32 v[24:25], s[44:45], v[22:23]
	s_wait_loadcnt_dscnt 0x0
	v_mul_f64_e32 v[20:21], s[16:17], v[28:29]
	v_mul_f64_e32 v[28:29], s[14:15], v[28:29]
	s_delay_alu instid0(VALU_DEP_2) | instskip(NEXT) | instid1(VALU_DEP_2)
	v_fma_f64 v[20:21], s[14:15], v[26:27], -v[20:21]
	v_fmac_f64_e32 v[28:29], s[16:17], v[26:27]
	s_delay_alu instid0(VALU_DEP_2) | instskip(NEXT) | instid1(VALU_DEP_2)
	v_add_f64_e32 v[20:21], v[6:7], v[20:21]
	v_add_f64_e32 v[22:23], v[24:25], v[28:29]
	flat_store_b128 v[4:5], v[20:23] offset:256
	s_branch .LBB276_2
.LBB276_37:
	s_sendmsg sendmsg(MSG_DEALLOC_VGPRS)
	s_endpgm
	.section	.rodata,"a",@progbits
	.p2align	6, 0x0
	.amdhsa_kernel _ZN12_GLOBAL__N_135rocblas_gemm_batched_general_kernelI19rocblas_complex_numIdELi16ELi16ELi32ELi32ELi8ELi32ELi8ELi8ELi32ELc78ELc67EKPKS2_S5_KPS2_EEvlllT_PT11_llSA_llS8_PT12_llPT13_lli
		.amdhsa_group_segment_fixed_size 8192
		.amdhsa_private_segment_fixed_size 0
		.amdhsa_kernarg_size 156
		.amdhsa_user_sgpr_count 2
		.amdhsa_user_sgpr_dispatch_ptr 0
		.amdhsa_user_sgpr_queue_ptr 0
		.amdhsa_user_sgpr_kernarg_segment_ptr 1
		.amdhsa_user_sgpr_dispatch_id 0
		.amdhsa_user_sgpr_kernarg_preload_length 0
		.amdhsa_user_sgpr_kernarg_preload_offset 0
		.amdhsa_user_sgpr_private_segment_size 0
		.amdhsa_wavefront_size32 1
		.amdhsa_uses_dynamic_stack 0
		.amdhsa_enable_private_segment 0
		.amdhsa_system_sgpr_workgroup_id_x 1
		.amdhsa_system_sgpr_workgroup_id_y 1
		.amdhsa_system_sgpr_workgroup_id_z 1
		.amdhsa_system_sgpr_workgroup_info 0
		.amdhsa_system_vgpr_workitem_id 1
		.amdhsa_next_free_vgpr 134
		.amdhsa_next_free_sgpr 52
		.amdhsa_named_barrier_count 0
		.amdhsa_reserve_vcc 1
		.amdhsa_float_round_mode_32 0
		.amdhsa_float_round_mode_16_64 0
		.amdhsa_float_denorm_mode_32 3
		.amdhsa_float_denorm_mode_16_64 3
		.amdhsa_fp16_overflow 0
		.amdhsa_memory_ordered 1
		.amdhsa_forward_progress 1
		.amdhsa_inst_pref_size 25
		.amdhsa_round_robin_scheduling 0
		.amdhsa_exception_fp_ieee_invalid_op 0
		.amdhsa_exception_fp_denorm_src 0
		.amdhsa_exception_fp_ieee_div_zero 0
		.amdhsa_exception_fp_ieee_overflow 0
		.amdhsa_exception_fp_ieee_underflow 0
		.amdhsa_exception_fp_ieee_inexact 0
		.amdhsa_exception_int_div_zero 0
	.end_amdhsa_kernel
	.section	.text._ZN12_GLOBAL__N_135rocblas_gemm_batched_general_kernelI19rocblas_complex_numIdELi16ELi16ELi32ELi32ELi8ELi32ELi8ELi8ELi32ELc78ELc67EKPKS2_S5_KPS2_EEvlllT_PT11_llSA_llS8_PT12_llPT13_lli,"axG",@progbits,_ZN12_GLOBAL__N_135rocblas_gemm_batched_general_kernelI19rocblas_complex_numIdELi16ELi16ELi32ELi32ELi8ELi32ELi8ELi8ELi32ELc78ELc67EKPKS2_S5_KPS2_EEvlllT_PT11_llSA_llS8_PT12_llPT13_lli,comdat
.Lfunc_end276:
	.size	_ZN12_GLOBAL__N_135rocblas_gemm_batched_general_kernelI19rocblas_complex_numIdELi16ELi16ELi32ELi32ELi8ELi32ELi8ELi8ELi32ELc78ELc67EKPKS2_S5_KPS2_EEvlllT_PT11_llSA_llS8_PT12_llPT13_lli, .Lfunc_end276-_ZN12_GLOBAL__N_135rocblas_gemm_batched_general_kernelI19rocblas_complex_numIdELi16ELi16ELi32ELi32ELi8ELi32ELi8ELi8ELi32ELc78ELc67EKPKS2_S5_KPS2_EEvlllT_PT11_llSA_llS8_PT12_llPT13_lli
                                        ; -- End function
	.set _ZN12_GLOBAL__N_135rocblas_gemm_batched_general_kernelI19rocblas_complex_numIdELi16ELi16ELi32ELi32ELi8ELi32ELi8ELi8ELi32ELc78ELc67EKPKS2_S5_KPS2_EEvlllT_PT11_llSA_llS8_PT12_llPT13_lli.num_vgpr, 134
	.set _ZN12_GLOBAL__N_135rocblas_gemm_batched_general_kernelI19rocblas_complex_numIdELi16ELi16ELi32ELi32ELi8ELi32ELi8ELi8ELi32ELc78ELc67EKPKS2_S5_KPS2_EEvlllT_PT11_llSA_llS8_PT12_llPT13_lli.num_agpr, 0
	.set _ZN12_GLOBAL__N_135rocblas_gemm_batched_general_kernelI19rocblas_complex_numIdELi16ELi16ELi32ELi32ELi8ELi32ELi8ELi8ELi32ELc78ELc67EKPKS2_S5_KPS2_EEvlllT_PT11_llSA_llS8_PT12_llPT13_lli.numbered_sgpr, 52
	.set _ZN12_GLOBAL__N_135rocblas_gemm_batched_general_kernelI19rocblas_complex_numIdELi16ELi16ELi32ELi32ELi8ELi32ELi8ELi8ELi32ELc78ELc67EKPKS2_S5_KPS2_EEvlllT_PT11_llSA_llS8_PT12_llPT13_lli.num_named_barrier, 0
	.set _ZN12_GLOBAL__N_135rocblas_gemm_batched_general_kernelI19rocblas_complex_numIdELi16ELi16ELi32ELi32ELi8ELi32ELi8ELi8ELi32ELc78ELc67EKPKS2_S5_KPS2_EEvlllT_PT11_llSA_llS8_PT12_llPT13_lli.private_seg_size, 0
	.set _ZN12_GLOBAL__N_135rocblas_gemm_batched_general_kernelI19rocblas_complex_numIdELi16ELi16ELi32ELi32ELi8ELi32ELi8ELi8ELi32ELc78ELc67EKPKS2_S5_KPS2_EEvlllT_PT11_llSA_llS8_PT12_llPT13_lli.uses_vcc, 1
	.set _ZN12_GLOBAL__N_135rocblas_gemm_batched_general_kernelI19rocblas_complex_numIdELi16ELi16ELi32ELi32ELi8ELi32ELi8ELi8ELi32ELc78ELc67EKPKS2_S5_KPS2_EEvlllT_PT11_llSA_llS8_PT12_llPT13_lli.uses_flat_scratch, 0
	.set _ZN12_GLOBAL__N_135rocblas_gemm_batched_general_kernelI19rocblas_complex_numIdELi16ELi16ELi32ELi32ELi8ELi32ELi8ELi8ELi32ELc78ELc67EKPKS2_S5_KPS2_EEvlllT_PT11_llSA_llS8_PT12_llPT13_lli.has_dyn_sized_stack, 0
	.set _ZN12_GLOBAL__N_135rocblas_gemm_batched_general_kernelI19rocblas_complex_numIdELi16ELi16ELi32ELi32ELi8ELi32ELi8ELi8ELi32ELc78ELc67EKPKS2_S5_KPS2_EEvlllT_PT11_llSA_llS8_PT12_llPT13_lli.has_recursion, 0
	.set _ZN12_GLOBAL__N_135rocblas_gemm_batched_general_kernelI19rocblas_complex_numIdELi16ELi16ELi32ELi32ELi8ELi32ELi8ELi8ELi32ELc78ELc67EKPKS2_S5_KPS2_EEvlllT_PT11_llSA_llS8_PT12_llPT13_lli.has_indirect_call, 0
	.section	.AMDGPU.csdata,"",@progbits
; Kernel info:
; codeLenInByte = 3080
; TotalNumSgprs: 54
; NumVgprs: 134
; ScratchSize: 0
; MemoryBound: 1
; FloatMode: 240
; IeeeMode: 1
; LDSByteSize: 8192 bytes/workgroup (compile time only)
; SGPRBlocks: 0
; VGPRBlocks: 8
; NumSGPRsForWavesPerEU: 54
; NumVGPRsForWavesPerEU: 134
; NamedBarCnt: 0
; Occupancy: 7
; WaveLimiterHint : 1
; COMPUTE_PGM_RSRC2:SCRATCH_EN: 0
; COMPUTE_PGM_RSRC2:USER_SGPR: 2
; COMPUTE_PGM_RSRC2:TRAP_HANDLER: 0
; COMPUTE_PGM_RSRC2:TGID_X_EN: 1
; COMPUTE_PGM_RSRC2:TGID_Y_EN: 1
; COMPUTE_PGM_RSRC2:TGID_Z_EN: 1
; COMPUTE_PGM_RSRC2:TIDIG_COMP_CNT: 1
	.section	.text._ZN12_GLOBAL__N_135rocblas_gemm_batched_general_kernelI19rocblas_complex_numIdELi16ELi16ELi32ELi32ELi8ELi32ELi8ELi8ELi32ELc84ELc67EKPKS2_S5_KPS2_EEvlllT_PT11_llSA_llS8_PT12_llPT13_lli,"axG",@progbits,_ZN12_GLOBAL__N_135rocblas_gemm_batched_general_kernelI19rocblas_complex_numIdELi16ELi16ELi32ELi32ELi8ELi32ELi8ELi8ELi32ELc84ELc67EKPKS2_S5_KPS2_EEvlllT_PT11_llSA_llS8_PT12_llPT13_lli,comdat
	.globl	_ZN12_GLOBAL__N_135rocblas_gemm_batched_general_kernelI19rocblas_complex_numIdELi16ELi16ELi32ELi32ELi8ELi32ELi8ELi8ELi32ELc84ELc67EKPKS2_S5_KPS2_EEvlllT_PT11_llSA_llS8_PT12_llPT13_lli ; -- Begin function _ZN12_GLOBAL__N_135rocblas_gemm_batched_general_kernelI19rocblas_complex_numIdELi16ELi16ELi32ELi32ELi8ELi32ELi8ELi8ELi32ELc84ELc67EKPKS2_S5_KPS2_EEvlllT_PT11_llSA_llS8_PT12_llPT13_lli
	.p2align	8
	.type	_ZN12_GLOBAL__N_135rocblas_gemm_batched_general_kernelI19rocblas_complex_numIdELi16ELi16ELi32ELi32ELi8ELi32ELi8ELi8ELi32ELc84ELc67EKPKS2_S5_KPS2_EEvlllT_PT11_llSA_llS8_PT12_llPT13_lli,@function
_ZN12_GLOBAL__N_135rocblas_gemm_batched_general_kernelI19rocblas_complex_numIdELi16ELi16ELi32ELi32ELi8ELi32ELi8ELi8ELi32ELc84ELc67EKPKS2_S5_KPS2_EEvlllT_PT11_llSA_llS8_PT12_llPT13_lli: ; @_ZN12_GLOBAL__N_135rocblas_gemm_batched_general_kernelI19rocblas_complex_numIdELi16ELi16ELi32ELi32ELi8ELi32ELi8ELi8ELi32ELc84ELc67EKPKS2_S5_KPS2_EEvlllT_PT11_llSA_llS8_PT12_llPT13_lli
; %bb.0:
	s_load_b32 s30, s[0:1], 0x98
	s_bfe_u32 s2, ttmp6, 0x40014
	s_lshr_b32 s3, ttmp7, 16
	s_add_co_i32 s2, s2, 1
	s_bfe_u32 s5, ttmp6, 0x40008
	s_mul_i32 s4, s3, s2
	s_getreg_b32 s2, hwreg(HW_REG_IB_STS2, 6, 4)
	s_add_co_i32 s5, s5, s4
	s_cmp_eq_u32 s2, 0
	s_mov_b32 s25, 0
	s_cselect_b32 s24, s3, s5
	s_wait_kmcnt 0x0
	s_cmp_ge_i32 s24, s30
	s_cbranch_scc1 .LBB277_37
; %bb.1:
	s_load_b512 s[36:51], s[0:1], 0x40
	v_bfe_u32 v4, v0, 10, 10
	v_and_b32_e32 v6, 0x3ff, v0
	s_clause 0x2
	s_load_b512 s[4:19], s[0:1], 0x0
	s_load_b64 s[26:27], s[0:1], 0x90
	s_load_b128 s[20:23], s[0:1], 0x80
	s_wait_xcnt 0x0
	s_bfe_u32 s0, ttmp6, 0x4000c
	s_bfe_u32 s3, ttmp6, 0x40010
	s_add_co_i32 s0, s0, 1
	s_and_b32 s28, ttmp7, 0xffff
	s_add_co_i32 s3, s3, 1
	s_and_b32 s1, ttmp6, 15
	s_mul_i32 s0, ttmp9, s0
	s_mul_i32 s3, s28, s3
	s_bfe_u32 s29, ttmp6, 0x40004
	v_lshl_add_u32 v3, v4, 4, v6
	v_mov_b32_e32 v2, 0
	s_add_co_i32 s1, s1, s0
	s_add_co_i32 s29, s29, s3
	s_cmp_eq_u32 s2, 0
	v_and_b32_e32 v9, 31, v3
	s_cselect_b32 s0, ttmp9, s1
	v_dual_mov_b32 v1, v2 :: v_dual_bitop2_b32 v0, 7, v0 bitop3:0x40
	s_cselect_b32 s28, s28, s29
	s_ashr_i32 s1, s0, 31
	v_dual_mov_b32 v5, v2 :: v_dual_mov_b32 v7, v2
	s_lshl_b64 s[2:3], s[0:1], 5
	s_delay_alu instid0(SALU_CYCLE_1)
	v_dual_lshrrev_b32 v16, 3, v3 :: v_dual_bitop2_b32 v10, s2, v9 bitop3:0x54
	s_wait_kmcnt 0x0
	v_mul_u64_e32 v[18:19], s[38:39], v[0:1]
	v_dual_mov_b32 v11, s3 :: v_dual_mov_b32 v17, v2
	v_dual_lshlrev_b32 v14, 4, v0 :: v_dual_lshrrev_b32 v8, 5, v3
	s_lshl_b32 s0, s28, 5
	s_delay_alu instid0(VALU_DEP_2) | instskip(SKIP_1) | instid1(VALU_DEP_2)
	v_mul_u64_e32 v[20:21], s[16:17], v[10:11]
	s_mov_b32 s1, s25
	v_lshl_or_b32 v14, v16, 7, v14
	v_add_nc_u64_e32 v[12:13], s[0:1], v[16:17]
	v_add_nc_u64_e32 v[22:23], s[0:1], v[4:5]
	v_cmp_eq_f64_e64 s29, s[42:43], 0
	v_cmp_eq_f64_e64 s31, s[44:45], 0
	v_add_nc_u32_e32 v45, 0x1000, v14
	v_cmp_gt_i64_e32 vcc_lo, s[4:5], v[10:11]
	v_add_nc_u64_e32 v[10:11], s[2:3], v[6:7]
	v_cmp_gt_i64_e64 s0, s[6:7], v[12:13]
	v_mul_u64_e32 v[12:13], s[22:23], v[22:23]
	v_mul_u64_e32 v[14:15], s[48:49], v[22:23]
	s_lshl_b32 s2, s28, 9
	s_mov_b32 s3, s25
	s_lshl_b64 s[16:17], s[40:41], 4
	v_dual_lshlrev_b32 v46, 4, v6 :: v_dual_lshlrev_b32 v16, 4, v16
	v_lshl_add_u32 v47, v4, 7, 0x1000
	v_add_nc_u64_e32 v[4:5], 16, v[10:11]
	s_add_nc_u64 s[2:3], s[16:17], s[2:3]
	v_add_nc_u64_e32 v[6:7], 16, v[22:23]
	s_lshl_b64 s[16:17], s[18:19], 4
	v_dual_lshlrev_b32 v3, 4, v9 :: v_dual_mov_b32 v9, v2
	v_cmp_gt_i64_e64 s1, s[6:7], v[22:23]
	v_lshl_add_u64 v[18:19], v[18:19], 4, s[2:3]
	v_cmp_gt_i64_e64 s2, s[4:5], v[10:11]
	v_cmp_gt_i64_e64 s3, s[4:5], v[4:5]
	;; [unrolled: 1-line block ×3, first 2 shown]
	v_dual_mov_b32 v7, v2 :: v_dual_lshlrev_b32 v6, 4, v8
	v_add_nc_u64_e32 v[16:17], v[18:19], v[16:17]
	v_lshl_add_u64 v[4:5], v[20:21], 4, s[16:17]
	v_cmp_gt_i64_e64 s5, s[8:9], 0
	v_lshl_or_b32 v44, v8, 9, v3
	s_lshl_b64 s[6:7], s[22:23], 4
	s_lshl_b64 s[16:17], s[48:49], 4
	v_add_nc_u64_e32 v[18:19], v[4:5], v[6:7]
	v_or_b32_e32 v16, 8, v16
	s_and_b32 s31, s29, s31
	s_lshl_b64 s[18:19], s[38:39], 7
	s_xor_b32 s33, vcc_lo, -1
	s_lshl_b64 s[22:23], s[26:27], 4
	s_lshl_b64 s[26:27], s[50:51], 4
	s_branch .LBB277_4
.LBB277_2:                              ;   in Loop: Header=BB277_4 Depth=1
	s_wait_xcnt 0x0
	s_or_b32 exec_lo, exec_lo, s28
.LBB277_3:                              ;   in Loop: Header=BB277_4 Depth=1
	s_add_co_i32 s24, s24, 0x10000
	s_delay_alu instid0(SALU_CYCLE_1)
	s_cmp_lt_i32 s24, s30
	s_cbranch_scc0 .LBB277_37
.LBB277_4:                              ; =>This Loop Header: Depth=1
                                        ;     Child Loop BB277_7 Depth 2
	s_wait_xcnt 0x0
	v_mov_b32_e32 v3, s24
	s_and_not1_b32 vcc_lo, exec_lo, s5
	s_clause 0x1
	global_load_b64 v[20:21], v3, s[46:47] scale_offset
	global_load_b64 v[30:31], v3, s[20:21] scale_offset
	s_cbranch_vccnz .LBB277_13
; %bb.5:                                ;   in Loop: Header=BB277_4 Depth=1
	s_lshl_b64 s[28:29], s[24:25], 3
	v_mov_b64_e32 v[24:25], 0
	s_add_nc_u64 s[34:35], s[36:37], s[28:29]
	s_add_nc_u64 s[28:29], s[14:15], s[28:29]
	s_clause 0x1
	global_load_b64 v[4:5], v2, s[34:35]
	global_load_b64 v[6:7], v2, s[28:29]
	v_mov_b64_e32 v[22:23], 0
	v_mov_b64_e32 v[28:29], 0
	;; [unrolled: 1-line block ×7, first 2 shown]
	s_wait_xcnt 0x0
	s_mov_b64 s[28:29], 0
	s_wait_loadcnt 0x1
	v_add_nc_u64_e32 v[40:41], v[4:5], v[16:17]
	s_wait_loadcnt 0x0
	v_add_nc_u64_e32 v[42:43], v[6:7], v[18:19]
	s_branch .LBB277_7
.LBB277_6:                              ;   in Loop: Header=BB277_7 Depth=2
	s_wait_xcnt 0x0
	s_or_b32 exec_lo, exec_lo, s34
	ds_store_b128 v45, v[4:7]
	s_wait_dscnt 0x0
	s_barrier_signal -1
	s_barrier_wait -1
	ds_load_b128 v[4:7], v47
	ds_load_b128 v[48:51], v46
	ds_load_b128 v[52:55], v46 offset:256
	ds_load_b128 v[56:59], v47 offset:2048
	;; [unrolled: 1-line block ×10, first 2 shown]
	s_add_nc_u64 s[28:29], s[28:29], 8
	v_add_nc_u64_e32 v[40:41], s[18:19], v[40:41]
	v_cmp_lt_i64_e64 s34, s[28:29], s[8:9]
	v_add_nc_u64_e32 v[42:43], 0x80, v[42:43]
	s_and_b32 vcc_lo, exec_lo, s34
	s_wait_dscnt 0xa
	v_mul_f64_e32 v[92:93], v[6:7], v[50:51]
	v_mul_f64_e32 v[94:95], v[4:5], v[50:51]
	s_wait_dscnt 0x9
	v_mul_f64_e32 v[96:97], v[6:7], v[54:55]
	v_mul_f64_e32 v[98:99], v[4:5], v[54:55]
	s_wait_dscnt 0x8
	v_mul_f64_e32 v[100:101], v[58:59], v[50:51]
	v_mul_f64_e32 v[102:103], v[56:57], v[50:51]
	v_mul_f64_e32 v[50:51], v[58:59], v[54:55]
	v_mul_f64_e32 v[104:105], v[56:57], v[54:55]
	s_wait_dscnt 0x6
	v_mul_f64_e32 v[106:107], v[62:63], v[66:67]
	v_mul_f64_e32 v[108:109], v[60:61], v[66:67]
	s_wait_dscnt 0x5
	v_mul_f64_e32 v[110:111], v[62:63], v[70:71]
	v_mul_f64_e32 v[112:113], v[60:61], v[70:71]
	s_wait_dscnt 0x4
	v_mul_f64_e32 v[114:115], v[74:75], v[66:67]
	v_mul_f64_e32 v[66:67], v[72:73], v[66:67]
	v_mul_f64_e32 v[116:117], v[74:75], v[70:71]
	v_mul_f64_e32 v[70:71], v[72:73], v[70:71]
	;; [unrolled: 11-line block ×3, first 2 shown]
	v_fma_f64 v[92:93], v[4:5], v[48:49], -v[92:93]
	v_fmac_f64_e32 v[94:95], v[6:7], v[48:49]
	v_fma_f64 v[96:97], v[4:5], v[52:53], -v[96:97]
	v_fmac_f64_e32 v[98:99], v[6:7], v[52:53]
	;; [unrolled: 2-line block ×8, first 2 shown]
	ds_load_b128 v[4:7], v47 offset:48
	ds_load_b128 v[48:51], v47 offset:2096
	;; [unrolled: 1-line block ×4, first 2 shown]
	v_fma_f64 v[120:121], v[76:77], v[80:81], -v[120:121]
	v_fmac_f64_e32 v[122:123], v[78:79], v[80:81]
	v_fma_f64 v[76:77], v[76:77], v[84:85], -v[124:125]
	v_fmac_f64_e32 v[126:127], v[78:79], v[84:85]
	;; [unrolled: 2-line block ×4, first 2 shown]
	v_add_f64_e32 v[68:69], v[36:37], v[92:93]
	v_add_f64_e32 v[72:73], v[94:95], v[38:39]
	;; [unrolled: 1-line block ×8, first 2 shown]
	s_wait_dscnt 0x1
	v_mul_f64_e32 v[102:103], v[6:7], v[54:55]
	v_mul_f64_e32 v[104:105], v[4:5], v[54:55]
	s_wait_dscnt 0x0
	v_mul_f64_e32 v[110:111], v[6:7], v[58:59]
	v_mul_f64_e32 v[114:115], v[4:5], v[58:59]
	;; [unrolled: 1-line block ×6, first 2 shown]
	ds_load_b128 v[22:25], v47 offset:64
	ds_load_b128 v[26:29], v46 offset:2048
	;; [unrolled: 1-line block ×4, first 2 shown]
	v_add_f64_e32 v[84:85], v[68:69], v[106:107]
	v_add_f64_e32 v[88:89], v[108:109], v[72:73]
	;; [unrolled: 1-line block ×8, first 2 shown]
	s_wait_dscnt 0x2
	v_mul_f64_e32 v[100:101], v[24:25], v[28:29]
	v_mul_f64_e32 v[106:107], v[22:23], v[28:29]
	s_wait_dscnt 0x1
	v_mul_f64_e32 v[108:109], v[24:25], v[34:35]
	v_mul_f64_e32 v[112:113], v[22:23], v[34:35]
	;; [unrolled: 3-line block ×3, first 2 shown]
	v_mul_f64_e32 v[28:29], v[38:39], v[34:35]
	v_mul_f64_e32 v[130:131], v[36:37], v[34:35]
	v_fma_f64 v[34:35], v[4:5], v[52:53], -v[102:103]
	v_fmac_f64_e32 v[104:105], v[6:7], v[52:53]
	v_fma_f64 v[102:103], v[4:5], v[56:57], -v[110:111]
	v_fmac_f64_e32 v[114:115], v[6:7], v[56:57]
	;; [unrolled: 2-line block ×4, first 2 shown]
	ds_load_b128 v[58:61], v47 offset:80
	ds_load_b128 v[62:65], v47 offset:2128
	;; [unrolled: 1-line block ×4, first 2 shown]
	v_add_f64_e32 v[56:57], v[84:85], v[120:121]
	v_add_f64_e32 v[84:85], v[122:123], v[88:89]
	;; [unrolled: 1-line block ×8, first 2 shown]
	v_fma_f64 v[100:101], v[22:23], v[26:27], -v[100:101]
	v_fmac_f64_e32 v[106:107], v[24:25], v[26:27]
	v_fma_f64 v[108:109], v[22:23], v[32:33], -v[108:109]
	s_wait_dscnt 0x1
	v_mul_f64_e32 v[92:93], v[60:61], v[68:69]
	v_mul_f64_e32 v[94:95], v[58:59], v[68:69]
	s_wait_dscnt 0x0
	v_mul_f64_e32 v[96:97], v[60:61], v[72:73]
	v_mul_f64_e32 v[98:99], v[58:59], v[72:73]
	;; [unrolled: 1-line block ×6, first 2 shown]
	v_fmac_f64_e32 v[112:113], v[24:25], v[32:33]
	v_fma_f64 v[124:125], v[36:37], v[26:27], -v[124:125]
	v_fmac_f64_e32 v[128:129], v[38:39], v[26:27]
	v_fma_f64 v[126:127], v[36:37], v[32:33], -v[28:29]
	v_fmac_f64_e32 v[130:131], v[38:39], v[32:33]
	ds_load_b128 v[4:7], v47 offset:96
	ds_load_b128 v[48:51], v46 offset:3072
	;; [unrolled: 1-line block ×4, first 2 shown]
	v_add_f64_e32 v[56:57], v[56:57], v[34:35]
	v_add_f64_e32 v[84:85], v[104:105], v[84:85]
	;; [unrolled: 1-line block ×8, first 2 shown]
	ds_load_b128 v[22:25], v47 offset:112
	ds_load_b128 v[26:29], v47 offset:2160
	ds_load_b128 v[32:35], v46 offset:3584
	ds_load_b128 v[36:39], v46 offset:3840
	s_wait_dscnt 0x0
	v_mul_f64_e32 v[102:103], v[6:7], v[50:51]
	v_mul_f64_e32 v[104:105], v[4:5], v[50:51]
	;; [unrolled: 1-line block ×8, first 2 shown]
	v_fma_f64 v[92:93], v[58:59], v[66:67], -v[92:93]
	v_fmac_f64_e32 v[94:95], v[60:61], v[66:67]
	v_fma_f64 v[58:59], v[58:59], v[70:71], -v[96:97]
	v_fmac_f64_e32 v[98:99], v[60:61], v[70:71]
	;; [unrolled: 2-line block ×4, first 2 shown]
	s_barrier_signal -1
	s_barrier_wait -1
	v_mul_f64_e32 v[96:97], v[22:23], v[38:39]
	v_add_f64_e32 v[56:57], v[56:57], v[100:101]
	v_add_f64_e32 v[64:65], v[106:107], v[84:85]
	;; [unrolled: 1-line block ×8, first 2 shown]
	v_mul_f64_e32 v[86:87], v[24:25], v[34:35]
	v_mul_f64_e32 v[88:89], v[22:23], v[34:35]
	v_mul_f64_e32 v[90:91], v[24:25], v[38:39]
	v_mul_f64_e32 v[100:101], v[28:29], v[34:35]
	v_mul_f64_e32 v[106:107], v[26:27], v[34:35]
	v_mul_f64_e32 v[34:35], v[28:29], v[38:39]
	v_mul_f64_e32 v[108:109], v[26:27], v[38:39]
	v_fma_f64 v[38:39], v[4:5], v[48:49], -v[102:103]
	v_fmac_f64_e32 v[104:105], v[6:7], v[48:49]
	v_fma_f64 v[4:5], v[4:5], v[52:53], -v[110:111]
	v_fmac_f64_e32 v[114:115], v[6:7], v[52:53]
	;; [unrolled: 2-line block ×4, first 2 shown]
	v_fmac_f64_e32 v[96:97], v[24:25], v[36:37]
	v_add_f64_e32 v[52:53], v[56:57], v[92:93]
	v_add_f64_e32 v[56:57], v[94:95], v[64:65]
	;; [unrolled: 1-line block ×8, first 2 shown]
	v_fma_f64 v[70:71], v[22:23], v[32:33], -v[86:87]
	v_fmac_f64_e32 v[88:89], v[24:25], v[32:33]
	v_fma_f64 v[22:23], v[22:23], v[36:37], -v[90:91]
	v_fma_f64 v[24:25], v[26:27], v[32:33], -v[100:101]
	v_fmac_f64_e32 v[106:107], v[28:29], v[32:33]
	v_fma_f64 v[72:73], v[26:27], v[36:37], -v[34:35]
	v_fmac_f64_e32 v[108:109], v[28:29], v[36:37]
	v_add_f64_e32 v[26:27], v[52:53], v[38:39]
	v_add_f64_e32 v[28:29], v[104:105], v[56:57]
	v_add_f64_e32 v[4:5], v[58:59], v[4:5]
	v_add_f64_e32 v[34:35], v[114:115], v[64:65]
	v_add_f64_e32 v[6:7], v[60:61], v[6:7]
	v_add_f64_e32 v[50:51], v[50:51], v[66:67]
	v_add_f64_e32 v[48:49], v[62:63], v[48:49]
	v_add_f64_e32 v[52:53], v[54:55], v[68:69]
	v_add_f64_e32 v[36:37], v[26:27], v[70:71]
	v_add_f64_e32 v[38:39], v[88:89], v[28:29]
	v_add_f64_e32 v[32:33], v[4:5], v[22:23]
	v_add_f64_e32 v[34:35], v[96:97], v[34:35]
	v_add_f64_e32 v[26:27], v[6:7], v[24:25]
	v_add_f64_e32 v[28:29], v[106:107], v[50:51]
	v_add_f64_e32 v[22:23], v[48:49], v[72:73]
	v_add_f64_e32 v[24:25], v[108:109], v[52:53]
	s_cbranch_vccz .LBB277_14
.LBB277_7:                              ;   Parent Loop BB277_4 Depth=1
                                        ; =>  This Inner Loop Header: Depth=2
	v_add_nc_u64_e32 v[4:5], s[28:29], v[8:9]
	s_delay_alu instid0(VALU_DEP_1) | instskip(SKIP_1) | instid1(SALU_CYCLE_1)
	v_cmp_le_i64_e32 vcc_lo, s[8:9], v[4:5]
	s_or_b32 s34, s33, vcc_lo
	s_and_saveexec_b32 s35, s34
	s_delay_alu instid0(SALU_CYCLE_1)
	s_xor_b32 s34, exec_lo, s35
; %bb.8:                                ;   in Loop: Header=BB277_7 Depth=2
	v_dual_mov_b32 v3, v2 :: v_dual_mov_b32 v4, v2
	v_mov_b32_e32 v5, v2
	ds_store_b128 v44, v[2:5]
; %bb.9:                                ;   in Loop: Header=BB277_7 Depth=2
	s_and_not1_saveexec_b32 s34, s34
	s_cbranch_execz .LBB277_11
; %bb.10:                               ;   in Loop: Header=BB277_7 Depth=2
	flat_load_b128 v[4:7], v[42:43]
	s_wait_loadcnt_dscnt 0x0
	ds_store_2addr_b64 v44, v[4:5], v[6:7] offset1:1
.LBB277_11:                             ;   in Loop: Header=BB277_7 Depth=2
	s_wait_xcnt 0x0
	s_or_b32 exec_lo, exec_lo, s34
	v_add_nc_u64_e32 v[4:5], s[28:29], v[0:1]
	v_mov_b64_e32 v[6:7], 0
	s_delay_alu instid0(VALU_DEP_2) | instskip(SKIP_2) | instid1(SALU_CYCLE_1)
	v_cmp_gt_i64_e32 vcc_lo, s[8:9], v[4:5]
	v_mov_b64_e32 v[4:5], 0
	s_and_b32 s35, vcc_lo, s0
	s_and_saveexec_b32 s34, s35
	s_cbranch_execz .LBB277_6
; %bb.12:                               ;   in Loop: Header=BB277_7 Depth=2
	flat_load_b128 v[4:7], v[40:41] offset:-8
	s_wait_loadcnt_dscnt 0x0
	v_xor_b32_e32 v7, 0x80000000, v7
	s_branch .LBB277_6
.LBB277_13:                             ;   in Loop: Header=BB277_4 Depth=1
	v_mov_b64_e32 v[36:37], 0
	v_mov_b64_e32 v[38:39], 0
	;; [unrolled: 1-line block ×8, first 2 shown]
.LBB277_14:                             ;   in Loop: Header=BB277_4 Depth=1
	s_wait_loadcnt 0x0
	v_add_nc_u64_e32 v[4:5], s[22:23], v[30:31]
	s_and_not1_b32 vcc_lo, exec_lo, s31
	s_mov_b32 s28, -1
	s_cbranch_vccz .LBB277_16
; %bb.15:                               ;   in Loop: Header=BB277_4 Depth=1
	s_and_not1_b32 vcc_lo, exec_lo, s28
	s_cbranch_vccnz .LBB277_3
	s_branch .LBB277_27
.LBB277_16:                             ;   in Loop: Header=BB277_4 Depth=1
	s_wait_xcnt 0x0
	s_and_saveexec_b32 s28, s1
	s_cbranch_execz .LBB277_26
; %bb.17:                               ;   in Loop: Header=BB277_4 Depth=1
	v_lshl_add_u64 v[6:7], v[12:13], 4, v[4:5]
	s_delay_alu instid0(VALU_DEP_1)
	v_lshl_add_u64 v[30:31], v[10:11], 4, v[6:7]
	s_and_saveexec_b32 s29, s2
	s_cbranch_execnz .LBB277_20
; %bb.18:                               ;   in Loop: Header=BB277_4 Depth=1
	s_or_b32 exec_lo, exec_lo, s29
	s_and_saveexec_b32 s29, s3
	s_cbranch_execnz .LBB277_21
.LBB277_19:                             ;   in Loop: Header=BB277_4 Depth=1
	s_or_b32 exec_lo, exec_lo, s29
	s_delay_alu instid0(SALU_CYCLE_1)
	s_and_b32 exec_lo, exec_lo, s4
	s_cbranch_execnz .LBB277_22
	s_branch .LBB277_26
.LBB277_20:                             ;   in Loop: Header=BB277_4 Depth=1
	v_mul_f64_e32 v[40:41], s[12:13], v[38:39]
	v_mul_f64_e32 v[42:43], s[10:11], v[38:39]
	s_delay_alu instid0(VALU_DEP_2) | instskip(NEXT) | instid1(VALU_DEP_2)
	v_fma_f64 v[40:41], s[10:11], v[36:37], -v[40:41]
	v_fmac_f64_e32 v[42:43], s[12:13], v[36:37]
	flat_store_b128 v[30:31], v[40:43]
	s_wait_xcnt 0x0
	s_or_b32 exec_lo, exec_lo, s29
	s_and_saveexec_b32 s29, s3
	s_cbranch_execz .LBB277_19
.LBB277_21:                             ;   in Loop: Header=BB277_4 Depth=1
	v_mul_f64_e32 v[40:41], s[12:13], v[34:35]
	v_mul_f64_e32 v[42:43], s[10:11], v[34:35]
	s_delay_alu instid0(VALU_DEP_2) | instskip(NEXT) | instid1(VALU_DEP_2)
	v_fma_f64 v[40:41], s[10:11], v[32:33], -v[40:41]
	v_fmac_f64_e32 v[42:43], s[12:13], v[32:33]
	flat_store_b128 v[30:31], v[40:43] offset:256
	s_wait_xcnt 0x0
	s_or_b32 exec_lo, exec_lo, s29
	s_delay_alu instid0(SALU_CYCLE_1)
	s_and_b32 exec_lo, exec_lo, s4
	s_cbranch_execz .LBB277_26
.LBB277_22:                             ;   in Loop: Header=BB277_4 Depth=1
	v_lshl_add_u64 v[6:7], s[6:7], 4, v[6:7]
	s_delay_alu instid0(VALU_DEP_1)
	v_lshl_add_u64 v[6:7], v[10:11], 4, v[6:7]
	s_and_saveexec_b32 s29, s2
	s_cbranch_execz .LBB277_24
; %bb.23:                               ;   in Loop: Header=BB277_4 Depth=1
	v_mul_f64_e32 v[30:31], s[12:13], v[28:29]
	v_mul_f64_e32 v[42:43], s[10:11], v[28:29]
	s_delay_alu instid0(VALU_DEP_2) | instskip(NEXT) | instid1(VALU_DEP_2)
	v_fma_f64 v[40:41], s[10:11], v[26:27], -v[30:31]
	v_fmac_f64_e32 v[42:43], s[12:13], v[26:27]
	flat_store_b128 v[6:7], v[40:43]
.LBB277_24:                             ;   in Loop: Header=BB277_4 Depth=1
	s_wait_xcnt 0x0
	s_or_b32 exec_lo, exec_lo, s29
	s_delay_alu instid0(SALU_CYCLE_1)
	s_and_b32 exec_lo, exec_lo, s3
	s_cbranch_execz .LBB277_26
; %bb.25:                               ;   in Loop: Header=BB277_4 Depth=1
	v_mul_f64_e32 v[30:31], s[12:13], v[24:25]
	v_mul_f64_e32 v[42:43], s[10:11], v[24:25]
	s_delay_alu instid0(VALU_DEP_2) | instskip(NEXT) | instid1(VALU_DEP_2)
	v_fma_f64 v[40:41], s[10:11], v[22:23], -v[30:31]
	v_fmac_f64_e32 v[42:43], s[12:13], v[22:23]
	flat_store_b128 v[6:7], v[40:43] offset:256
.LBB277_26:                             ;   in Loop: Header=BB277_4 Depth=1
	s_wait_xcnt 0x0
	s_or_b32 exec_lo, exec_lo, s28
	s_cbranch_execnz .LBB277_3
.LBB277_27:                             ;   in Loop: Header=BB277_4 Depth=1
	s_wait_xcnt 0x0
	s_and_saveexec_b32 s28, s1
	s_cbranch_execz .LBB277_2
; %bb.28:                               ;   in Loop: Header=BB277_4 Depth=1
	v_add_nc_u64_e32 v[20:21], s[26:27], v[20:21]
	v_lshlrev_b64_e32 v[6:7], 4, v[10:11]
	v_lshl_add_u64 v[4:5], v[12:13], 4, v[4:5]
	s_delay_alu instid0(VALU_DEP_3) | instskip(NEXT) | instid1(VALU_DEP_2)
	v_lshl_add_u64 v[20:21], v[14:15], 4, v[20:21]
	v_add_nc_u64_e32 v[30:31], v[4:5], v[6:7]
	s_delay_alu instid0(VALU_DEP_2)
	v_add_nc_u64_e32 v[40:41], v[20:21], v[6:7]
	s_and_saveexec_b32 s29, s2
	s_cbranch_execnz .LBB277_31
; %bb.29:                               ;   in Loop: Header=BB277_4 Depth=1
	s_or_b32 exec_lo, exec_lo, s29
	s_and_saveexec_b32 s29, s3
	s_cbranch_execnz .LBB277_32
.LBB277_30:                             ;   in Loop: Header=BB277_4 Depth=1
	s_or_b32 exec_lo, exec_lo, s29
	s_delay_alu instid0(SALU_CYCLE_1)
	s_and_b32 exec_lo, exec_lo, s4
	s_cbranch_execz .LBB277_2
	s_branch .LBB277_33
.LBB277_31:                             ;   in Loop: Header=BB277_4 Depth=1
	flat_load_b128 v[48:51], v[40:41]
	v_mul_f64_e32 v[42:43], s[12:13], v[38:39]
	v_mul_f64_e32 v[38:39], s[10:11], v[38:39]
	s_delay_alu instid0(VALU_DEP_2) | instskip(NEXT) | instid1(VALU_DEP_2)
	v_fma_f64 v[42:43], s[10:11], v[36:37], -v[42:43]
	v_fmac_f64_e32 v[38:39], s[12:13], v[36:37]
	s_wait_loadcnt_dscnt 0x0
	v_mul_f64_e32 v[52:53], s[44:45], v[50:51]
	v_mul_f64_e32 v[50:51], s[42:43], v[50:51]
	s_delay_alu instid0(VALU_DEP_2) | instskip(NEXT) | instid1(VALU_DEP_2)
	v_fma_f64 v[36:37], s[42:43], v[48:49], -v[52:53]
	v_fmac_f64_e32 v[50:51], s[44:45], v[48:49]
	s_delay_alu instid0(VALU_DEP_2) | instskip(NEXT) | instid1(VALU_DEP_2)
	v_add_f64_e32 v[36:37], v[42:43], v[36:37]
	v_add_f64_e32 v[38:39], v[38:39], v[50:51]
	flat_store_b128 v[30:31], v[36:39]
	s_wait_xcnt 0x0
	s_or_b32 exec_lo, exec_lo, s29
	s_and_saveexec_b32 s29, s3
	s_cbranch_execz .LBB277_30
.LBB277_32:                             ;   in Loop: Header=BB277_4 Depth=1
	flat_load_b128 v[36:39], v[40:41] offset:256
	s_wait_xcnt 0x0
	v_mul_f64_e32 v[40:41], s[12:13], v[34:35]
	v_mul_f64_e32 v[34:35], s[10:11], v[34:35]
	s_delay_alu instid0(VALU_DEP_2) | instskip(NEXT) | instid1(VALU_DEP_2)
	v_fma_f64 v[40:41], s[10:11], v[32:33], -v[40:41]
	v_fmac_f64_e32 v[34:35], s[12:13], v[32:33]
	s_wait_loadcnt_dscnt 0x0
	v_mul_f64_e32 v[42:43], s[44:45], v[38:39]
	v_mul_f64_e32 v[38:39], s[42:43], v[38:39]
	s_delay_alu instid0(VALU_DEP_2) | instskip(NEXT) | instid1(VALU_DEP_2)
	v_fma_f64 v[32:33], s[42:43], v[36:37], -v[42:43]
	v_fmac_f64_e32 v[38:39], s[44:45], v[36:37]
	s_delay_alu instid0(VALU_DEP_2) | instskip(NEXT) | instid1(VALU_DEP_2)
	v_add_f64_e32 v[32:33], v[40:41], v[32:33]
	v_add_f64_e32 v[34:35], v[34:35], v[38:39]
	flat_store_b128 v[30:31], v[32:35] offset:256
	s_wait_xcnt 0x0
	s_or_b32 exec_lo, exec_lo, s29
	s_delay_alu instid0(SALU_CYCLE_1)
	s_and_b32 exec_lo, exec_lo, s4
	s_cbranch_execz .LBB277_2
.LBB277_33:                             ;   in Loop: Header=BB277_4 Depth=1
	v_lshl_add_u64 v[20:21], s[16:17], 4, v[20:21]
	v_lshl_add_u64 v[4:5], s[6:7], 4, v[4:5]
	s_delay_alu instid0(VALU_DEP_2) | instskip(NEXT) | instid1(VALU_DEP_2)
	v_add_nc_u64_e32 v[20:21], v[20:21], v[6:7]
	v_add_nc_u64_e32 v[4:5], v[4:5], v[6:7]
	s_and_saveexec_b32 s29, s2
	s_cbranch_execz .LBB277_35
; %bb.34:                               ;   in Loop: Header=BB277_4 Depth=1
	flat_load_b128 v[30:33], v[20:21]
	v_mul_f64_e32 v[6:7], s[12:13], v[28:29]
	v_mul_f64_e32 v[28:29], s[10:11], v[28:29]
	s_delay_alu instid0(VALU_DEP_2) | instskip(NEXT) | instid1(VALU_DEP_2)
	v_fma_f64 v[6:7], s[10:11], v[26:27], -v[6:7]
	v_fmac_f64_e32 v[28:29], s[12:13], v[26:27]
	s_wait_loadcnt_dscnt 0x0
	v_mul_f64_e32 v[34:35], s[44:45], v[32:33]
	v_mul_f64_e32 v[32:33], s[42:43], v[32:33]
	s_delay_alu instid0(VALU_DEP_2) | instskip(NEXT) | instid1(VALU_DEP_2)
	v_fma_f64 v[26:27], s[42:43], v[30:31], -v[34:35]
	v_fmac_f64_e32 v[32:33], s[44:45], v[30:31]
	s_delay_alu instid0(VALU_DEP_2) | instskip(NEXT) | instid1(VALU_DEP_2)
	v_add_f64_e32 v[26:27], v[6:7], v[26:27]
	v_add_f64_e32 v[28:29], v[28:29], v[32:33]
	flat_store_b128 v[4:5], v[26:29]
.LBB277_35:                             ;   in Loop: Header=BB277_4 Depth=1
	s_wait_xcnt 0x0
	s_or_b32 exec_lo, exec_lo, s29
	s_delay_alu instid0(SALU_CYCLE_1)
	s_and_b32 exec_lo, exec_lo, s3
	s_cbranch_execz .LBB277_2
; %bb.36:                               ;   in Loop: Header=BB277_4 Depth=1
	flat_load_b128 v[26:29], v[20:21] offset:256
	v_mul_f64_e32 v[6:7], s[12:13], v[24:25]
	v_mul_f64_e32 v[24:25], s[10:11], v[24:25]
	s_delay_alu instid0(VALU_DEP_2) | instskip(NEXT) | instid1(VALU_DEP_2)
	v_fma_f64 v[6:7], s[10:11], v[22:23], -v[6:7]
	v_fmac_f64_e32 v[24:25], s[12:13], v[22:23]
	s_wait_loadcnt_dscnt 0x0
	v_mul_f64_e32 v[20:21], s[44:45], v[28:29]
	v_mul_f64_e32 v[28:29], s[42:43], v[28:29]
	s_delay_alu instid0(VALU_DEP_2) | instskip(NEXT) | instid1(VALU_DEP_2)
	v_fma_f64 v[20:21], s[42:43], v[26:27], -v[20:21]
	v_fmac_f64_e32 v[28:29], s[44:45], v[26:27]
	s_delay_alu instid0(VALU_DEP_2) | instskip(NEXT) | instid1(VALU_DEP_2)
	v_add_f64_e32 v[20:21], v[6:7], v[20:21]
	v_add_f64_e32 v[22:23], v[24:25], v[28:29]
	flat_store_b128 v[4:5], v[20:23] offset:256
	s_branch .LBB277_2
.LBB277_37:
	s_sendmsg sendmsg(MSG_DEALLOC_VGPRS)
	s_endpgm
	.section	.rodata,"a",@progbits
	.p2align	6, 0x0
	.amdhsa_kernel _ZN12_GLOBAL__N_135rocblas_gemm_batched_general_kernelI19rocblas_complex_numIdELi16ELi16ELi32ELi32ELi8ELi32ELi8ELi8ELi32ELc84ELc67EKPKS2_S5_KPS2_EEvlllT_PT11_llSA_llS8_PT12_llPT13_lli
		.amdhsa_group_segment_fixed_size 8192
		.amdhsa_private_segment_fixed_size 0
		.amdhsa_kernarg_size 156
		.amdhsa_user_sgpr_count 2
		.amdhsa_user_sgpr_dispatch_ptr 0
		.amdhsa_user_sgpr_queue_ptr 0
		.amdhsa_user_sgpr_kernarg_segment_ptr 1
		.amdhsa_user_sgpr_dispatch_id 0
		.amdhsa_user_sgpr_kernarg_preload_length 0
		.amdhsa_user_sgpr_kernarg_preload_offset 0
		.amdhsa_user_sgpr_private_segment_size 0
		.amdhsa_wavefront_size32 1
		.amdhsa_uses_dynamic_stack 0
		.amdhsa_enable_private_segment 0
		.amdhsa_system_sgpr_workgroup_id_x 1
		.amdhsa_system_sgpr_workgroup_id_y 1
		.amdhsa_system_sgpr_workgroup_id_z 1
		.amdhsa_system_sgpr_workgroup_info 0
		.amdhsa_system_vgpr_workitem_id 1
		.amdhsa_next_free_vgpr 134
		.amdhsa_next_free_sgpr 52
		.amdhsa_named_barrier_count 0
		.amdhsa_reserve_vcc 1
		.amdhsa_float_round_mode_32 0
		.amdhsa_float_round_mode_16_64 0
		.amdhsa_float_denorm_mode_32 3
		.amdhsa_float_denorm_mode_16_64 3
		.amdhsa_fp16_overflow 0
		.amdhsa_memory_ordered 1
		.amdhsa_forward_progress 1
		.amdhsa_inst_pref_size 25
		.amdhsa_round_robin_scheduling 0
		.amdhsa_exception_fp_ieee_invalid_op 0
		.amdhsa_exception_fp_denorm_src 0
		.amdhsa_exception_fp_ieee_div_zero 0
		.amdhsa_exception_fp_ieee_overflow 0
		.amdhsa_exception_fp_ieee_underflow 0
		.amdhsa_exception_fp_ieee_inexact 0
		.amdhsa_exception_int_div_zero 0
	.end_amdhsa_kernel
	.section	.text._ZN12_GLOBAL__N_135rocblas_gemm_batched_general_kernelI19rocblas_complex_numIdELi16ELi16ELi32ELi32ELi8ELi32ELi8ELi8ELi32ELc84ELc67EKPKS2_S5_KPS2_EEvlllT_PT11_llSA_llS8_PT12_llPT13_lli,"axG",@progbits,_ZN12_GLOBAL__N_135rocblas_gemm_batched_general_kernelI19rocblas_complex_numIdELi16ELi16ELi32ELi32ELi8ELi32ELi8ELi8ELi32ELc84ELc67EKPKS2_S5_KPS2_EEvlllT_PT11_llSA_llS8_PT12_llPT13_lli,comdat
.Lfunc_end277:
	.size	_ZN12_GLOBAL__N_135rocblas_gemm_batched_general_kernelI19rocblas_complex_numIdELi16ELi16ELi32ELi32ELi8ELi32ELi8ELi8ELi32ELc84ELc67EKPKS2_S5_KPS2_EEvlllT_PT11_llSA_llS8_PT12_llPT13_lli, .Lfunc_end277-_ZN12_GLOBAL__N_135rocblas_gemm_batched_general_kernelI19rocblas_complex_numIdELi16ELi16ELi32ELi32ELi8ELi32ELi8ELi8ELi32ELc84ELc67EKPKS2_S5_KPS2_EEvlllT_PT11_llSA_llS8_PT12_llPT13_lli
                                        ; -- End function
	.set _ZN12_GLOBAL__N_135rocblas_gemm_batched_general_kernelI19rocblas_complex_numIdELi16ELi16ELi32ELi32ELi8ELi32ELi8ELi8ELi32ELc84ELc67EKPKS2_S5_KPS2_EEvlllT_PT11_llSA_llS8_PT12_llPT13_lli.num_vgpr, 134
	.set _ZN12_GLOBAL__N_135rocblas_gemm_batched_general_kernelI19rocblas_complex_numIdELi16ELi16ELi32ELi32ELi8ELi32ELi8ELi8ELi32ELc84ELc67EKPKS2_S5_KPS2_EEvlllT_PT11_llSA_llS8_PT12_llPT13_lli.num_agpr, 0
	.set _ZN12_GLOBAL__N_135rocblas_gemm_batched_general_kernelI19rocblas_complex_numIdELi16ELi16ELi32ELi32ELi8ELi32ELi8ELi8ELi32ELc84ELc67EKPKS2_S5_KPS2_EEvlllT_PT11_llSA_llS8_PT12_llPT13_lli.numbered_sgpr, 52
	.set _ZN12_GLOBAL__N_135rocblas_gemm_batched_general_kernelI19rocblas_complex_numIdELi16ELi16ELi32ELi32ELi8ELi32ELi8ELi8ELi32ELc84ELc67EKPKS2_S5_KPS2_EEvlllT_PT11_llSA_llS8_PT12_llPT13_lli.num_named_barrier, 0
	.set _ZN12_GLOBAL__N_135rocblas_gemm_batched_general_kernelI19rocblas_complex_numIdELi16ELi16ELi32ELi32ELi8ELi32ELi8ELi8ELi32ELc84ELc67EKPKS2_S5_KPS2_EEvlllT_PT11_llSA_llS8_PT12_llPT13_lli.private_seg_size, 0
	.set _ZN12_GLOBAL__N_135rocblas_gemm_batched_general_kernelI19rocblas_complex_numIdELi16ELi16ELi32ELi32ELi8ELi32ELi8ELi8ELi32ELc84ELc67EKPKS2_S5_KPS2_EEvlllT_PT11_llSA_llS8_PT12_llPT13_lli.uses_vcc, 1
	.set _ZN12_GLOBAL__N_135rocblas_gemm_batched_general_kernelI19rocblas_complex_numIdELi16ELi16ELi32ELi32ELi8ELi32ELi8ELi8ELi32ELc84ELc67EKPKS2_S5_KPS2_EEvlllT_PT11_llSA_llS8_PT12_llPT13_lli.uses_flat_scratch, 0
	.set _ZN12_GLOBAL__N_135rocblas_gemm_batched_general_kernelI19rocblas_complex_numIdELi16ELi16ELi32ELi32ELi8ELi32ELi8ELi8ELi32ELc84ELc67EKPKS2_S5_KPS2_EEvlllT_PT11_llSA_llS8_PT12_llPT13_lli.has_dyn_sized_stack, 0
	.set _ZN12_GLOBAL__N_135rocblas_gemm_batched_general_kernelI19rocblas_complex_numIdELi16ELi16ELi32ELi32ELi8ELi32ELi8ELi8ELi32ELc84ELc67EKPKS2_S5_KPS2_EEvlllT_PT11_llSA_llS8_PT12_llPT13_lli.has_recursion, 0
	.set _ZN12_GLOBAL__N_135rocblas_gemm_batched_general_kernelI19rocblas_complex_numIdELi16ELi16ELi32ELi32ELi8ELi32ELi8ELi8ELi32ELc84ELc67EKPKS2_S5_KPS2_EEvlllT_PT11_llSA_llS8_PT12_llPT13_lli.has_indirect_call, 0
	.section	.AMDGPU.csdata,"",@progbits
; Kernel info:
; codeLenInByte = 3088
; TotalNumSgprs: 54
; NumVgprs: 134
; ScratchSize: 0
; MemoryBound: 1
; FloatMode: 240
; IeeeMode: 1
; LDSByteSize: 8192 bytes/workgroup (compile time only)
; SGPRBlocks: 0
; VGPRBlocks: 8
; NumSGPRsForWavesPerEU: 54
; NumVGPRsForWavesPerEU: 134
; NamedBarCnt: 0
; Occupancy: 7
; WaveLimiterHint : 1
; COMPUTE_PGM_RSRC2:SCRATCH_EN: 0
; COMPUTE_PGM_RSRC2:USER_SGPR: 2
; COMPUTE_PGM_RSRC2:TRAP_HANDLER: 0
; COMPUTE_PGM_RSRC2:TGID_X_EN: 1
; COMPUTE_PGM_RSRC2:TGID_Y_EN: 1
; COMPUTE_PGM_RSRC2:TGID_Z_EN: 1
; COMPUTE_PGM_RSRC2:TIDIG_COMP_CNT: 1
	.section	.text._ZN12_GLOBAL__N_120gemm_ex_scale_kernelILi32ELi32EdPKdPdEEviiT1_T2_lllT3_llli,"axG",@progbits,_ZN12_GLOBAL__N_120gemm_ex_scale_kernelILi32ELi32EdPKdPdEEviiT1_T2_lllT3_llli,comdat
	.globl	_ZN12_GLOBAL__N_120gemm_ex_scale_kernelILi32ELi32EdPKdPdEEviiT1_T2_lllT3_llli ; -- Begin function _ZN12_GLOBAL__N_120gemm_ex_scale_kernelILi32ELi32EdPKdPdEEviiT1_T2_lllT3_llli
	.p2align	8
	.type	_ZN12_GLOBAL__N_120gemm_ex_scale_kernelILi32ELi32EdPKdPdEEviiT1_T2_lllT3_llli,@function
_ZN12_GLOBAL__N_120gemm_ex_scale_kernelILi32ELi32EdPKdPdEEviiT1_T2_lllT3_llli: ; @_ZN12_GLOBAL__N_120gemm_ex_scale_kernelILi32ELi32EdPKdPdEEviiT1_T2_lllT3_llli
; %bb.0:
	s_load_b32 s20, s[0:1], 0x50
	s_bfe_u32 s2, ttmp6, 0x40014
	s_lshr_b32 s3, ttmp7, 16
	s_add_co_i32 s2, s2, 1
	s_bfe_u32 s4, ttmp6, 0x40008
	s_mul_i32 s2, s3, s2
	s_getreg_b32 s21, hwreg(HW_REG_IB_STS2, 6, 4)
	s_add_co_i32 s4, s4, s2
	s_cmp_eq_u32 s21, 0
	s_cselect_b32 s2, s3, s4
	s_mov_b32 s3, 0
	s_wait_kmcnt 0x0
	s_cmp_ge_u32 s2, s20
	s_cbranch_scc1 .LBB278_8
; %bb.1:
	s_load_b512 s[4:19], s[0:1], 0x8
	s_bfe_u32 s22, ttmp6, 0x40010
	s_bfe_u32 s26, ttmp6, 0x4000c
	s_and_b32 s24, ttmp7, 0xffff
	s_add_co_i32 s22, s22, 1
	s_add_co_i32 s26, s26, 1
	s_bfe_u32 s23, ttmp6, 0x40004
	s_and_b32 s25, ttmp6, 15
	s_mul_i32 s22, s24, s22
	s_mul_i32 s26, ttmp9, s26
	v_bfe_u32 v1, v0, 10, 10
	s_add_co_i32 s27, s23, s22
	s_add_co_i32 s25, s25, s26
	v_mov_b32_e32 v3, 0
	v_and_b32_e32 v0, 0x3ff, v0
	s_wait_kmcnt 0x0
	s_lshl_b64 s[16:17], s[16:17], 3
	s_lshl_b64 s[22:23], s[8:9], 3
	s_cmp_eq_u32 s21, 0
	s_cselect_b32 s8, s24, s27
	s_delay_alu instid0(SALU_CYCLE_1) | instskip(SKIP_2) | instid1(VALU_DEP_2)
	v_lshl_add_u32 v2, s8, 5, v1
	v_mov_b32_e32 v1, v3
	s_load_b64 s[8:9], s[0:1], 0x48
	v_mul_u64_e32 v[4:5], s[10:11], v[2:3]
	v_mul_u64_e32 v[6:7], s[18:19], v[2:3]
	s_load_b64 s[10:11], s[0:1], 0x0
	s_wait_xcnt 0x0
	s_cselect_b32 s0, ttmp9, s25
	s_delay_alu instid0(SALU_CYCLE_1) | instskip(SKIP_2) | instid1(VALU_DEP_1)
	v_lshl_add_u32 v0, s0, 5, v0
	s_add_nc_u64 s[0:1], s[6:7], s[22:23]
	s_add_nc_u64 s[6:7], s[14:15], s[16:17]
	v_lshlrev_b64_e32 v[8:9], 3, v[0:1]
	s_wait_kmcnt 0x0
	v_cmp_gt_u32_e32 vcc_lo, s10, v0
	v_lshl_add_u64 v[4:5], v[4:5], 3, s[0:1]
	v_cmp_neq_f64_e64 s1, s[4:5], 0
	v_lshl_add_u64 v[6:7], v[6:7], 3, s[6:7]
	v_cmp_gt_u32_e64 s0, s11, v2
	s_delay_alu instid0(VALU_DEP_4) | instskip(NEXT) | instid1(VALU_DEP_3)
	v_add_nc_u64_e32 v[0:1], v[4:5], v[8:9]
	v_add_nc_u64_e32 v[2:3], v[6:7], v[8:9]
	s_and_b32 s0, vcc_lo, s0
	s_branch .LBB278_5
.LBB278_2:                              ;   in Loop: Header=BB278_5 Depth=1
	s_mul_u64 s[10:11], s[12:13], s[2:3]
	s_delay_alu instid0(SALU_CYCLE_1)
	v_lshl_add_u64 v[4:5], s[10:11], 3, v[0:1]
	global_load_b64 v[4:5], v[4:5], off
	s_wait_loadcnt 0x0
	s_wait_xcnt 0x0
	v_mul_f64_e32 v[4:5], s[4:5], v[4:5]
.LBB278_3:                              ;   in Loop: Header=BB278_5 Depth=1
	s_mul_u64 s[10:11], s[8:9], s[2:3]
	s_delay_alu instid0(SALU_CYCLE_1)
	v_lshl_add_u64 v[6:7], s[10:11], 3, v[2:3]
	global_store_b64 v[6:7], v[4:5], off
.LBB278_4:                              ;   in Loop: Header=BB278_5 Depth=1
	s_wait_xcnt 0x0
	s_or_b32 exec_lo, exec_lo, s6
	s_add_co_i32 s2, s2, 0x10000
	s_delay_alu instid0(SALU_CYCLE_1)
	s_cmp_lt_u32 s2, s20
	s_cbranch_scc0 .LBB278_8
.LBB278_5:                              ; =>This Inner Loop Header: Depth=1
	s_and_saveexec_b32 s6, s0
	s_cbranch_execz .LBB278_4
; %bb.6:                                ;   in Loop: Header=BB278_5 Depth=1
	s_and_not1_b32 vcc_lo, exec_lo, s1
	s_cbranch_vccz .LBB278_2
; %bb.7:                                ;   in Loop: Header=BB278_5 Depth=1
	v_mov_b64_e32 v[4:5], 0
	s_branch .LBB278_3
.LBB278_8:
	s_endpgm
	.section	.rodata,"a",@progbits
	.p2align	6, 0x0
	.amdhsa_kernel _ZN12_GLOBAL__N_120gemm_ex_scale_kernelILi32ELi32EdPKdPdEEviiT1_T2_lllT3_llli
		.amdhsa_group_segment_fixed_size 0
		.amdhsa_private_segment_fixed_size 0
		.amdhsa_kernarg_size 84
		.amdhsa_user_sgpr_count 2
		.amdhsa_user_sgpr_dispatch_ptr 0
		.amdhsa_user_sgpr_queue_ptr 0
		.amdhsa_user_sgpr_kernarg_segment_ptr 1
		.amdhsa_user_sgpr_dispatch_id 0
		.amdhsa_user_sgpr_kernarg_preload_length 0
		.amdhsa_user_sgpr_kernarg_preload_offset 0
		.amdhsa_user_sgpr_private_segment_size 0
		.amdhsa_wavefront_size32 1
		.amdhsa_uses_dynamic_stack 0
		.amdhsa_enable_private_segment 0
		.amdhsa_system_sgpr_workgroup_id_x 1
		.amdhsa_system_sgpr_workgroup_id_y 1
		.amdhsa_system_sgpr_workgroup_id_z 1
		.amdhsa_system_sgpr_workgroup_info 0
		.amdhsa_system_vgpr_workitem_id 1
		.amdhsa_next_free_vgpr 10
		.amdhsa_next_free_sgpr 28
		.amdhsa_named_barrier_count 0
		.amdhsa_reserve_vcc 1
		.amdhsa_float_round_mode_32 0
		.amdhsa_float_round_mode_16_64 0
		.amdhsa_float_denorm_mode_32 3
		.amdhsa_float_denorm_mode_16_64 3
		.amdhsa_fp16_overflow 0
		.amdhsa_memory_ordered 1
		.amdhsa_forward_progress 1
		.amdhsa_inst_pref_size 4
		.amdhsa_round_robin_scheduling 0
		.amdhsa_exception_fp_ieee_invalid_op 0
		.amdhsa_exception_fp_denorm_src 0
		.amdhsa_exception_fp_ieee_div_zero 0
		.amdhsa_exception_fp_ieee_overflow 0
		.amdhsa_exception_fp_ieee_underflow 0
		.amdhsa_exception_fp_ieee_inexact 0
		.amdhsa_exception_int_div_zero 0
	.end_amdhsa_kernel
	.section	.text._ZN12_GLOBAL__N_120gemm_ex_scale_kernelILi32ELi32EdPKdPdEEviiT1_T2_lllT3_llli,"axG",@progbits,_ZN12_GLOBAL__N_120gemm_ex_scale_kernelILi32ELi32EdPKdPdEEviiT1_T2_lllT3_llli,comdat
.Lfunc_end278:
	.size	_ZN12_GLOBAL__N_120gemm_ex_scale_kernelILi32ELi32EdPKdPdEEviiT1_T2_lllT3_llli, .Lfunc_end278-_ZN12_GLOBAL__N_120gemm_ex_scale_kernelILi32ELi32EdPKdPdEEviiT1_T2_lllT3_llli
                                        ; -- End function
	.set _ZN12_GLOBAL__N_120gemm_ex_scale_kernelILi32ELi32EdPKdPdEEviiT1_T2_lllT3_llli.num_vgpr, 10
	.set _ZN12_GLOBAL__N_120gemm_ex_scale_kernelILi32ELi32EdPKdPdEEviiT1_T2_lllT3_llli.num_agpr, 0
	.set _ZN12_GLOBAL__N_120gemm_ex_scale_kernelILi32ELi32EdPKdPdEEviiT1_T2_lllT3_llli.numbered_sgpr, 28
	.set _ZN12_GLOBAL__N_120gemm_ex_scale_kernelILi32ELi32EdPKdPdEEviiT1_T2_lllT3_llli.num_named_barrier, 0
	.set _ZN12_GLOBAL__N_120gemm_ex_scale_kernelILi32ELi32EdPKdPdEEviiT1_T2_lllT3_llli.private_seg_size, 0
	.set _ZN12_GLOBAL__N_120gemm_ex_scale_kernelILi32ELi32EdPKdPdEEviiT1_T2_lllT3_llli.uses_vcc, 1
	.set _ZN12_GLOBAL__N_120gemm_ex_scale_kernelILi32ELi32EdPKdPdEEviiT1_T2_lllT3_llli.uses_flat_scratch, 0
	.set _ZN12_GLOBAL__N_120gemm_ex_scale_kernelILi32ELi32EdPKdPdEEviiT1_T2_lllT3_llli.has_dyn_sized_stack, 0
	.set _ZN12_GLOBAL__N_120gemm_ex_scale_kernelILi32ELi32EdPKdPdEEviiT1_T2_lllT3_llli.has_recursion, 0
	.set _ZN12_GLOBAL__N_120gemm_ex_scale_kernelILi32ELi32EdPKdPdEEviiT1_T2_lllT3_llli.has_indirect_call, 0
	.section	.AMDGPU.csdata,"",@progbits
; Kernel info:
; codeLenInByte = 432
; TotalNumSgprs: 30
; NumVgprs: 10
; ScratchSize: 0
; MemoryBound: 0
; FloatMode: 240
; IeeeMode: 1
; LDSByteSize: 0 bytes/workgroup (compile time only)
; SGPRBlocks: 0
; VGPRBlocks: 0
; NumSGPRsForWavesPerEU: 30
; NumVGPRsForWavesPerEU: 10
; NamedBarCnt: 0
; Occupancy: 16
; WaveLimiterHint : 0
; COMPUTE_PGM_RSRC2:SCRATCH_EN: 0
; COMPUTE_PGM_RSRC2:USER_SGPR: 2
; COMPUTE_PGM_RSRC2:TRAP_HANDLER: 0
; COMPUTE_PGM_RSRC2:TGID_X_EN: 1
; COMPUTE_PGM_RSRC2:TGID_Y_EN: 1
; COMPUTE_PGM_RSRC2:TGID_Z_EN: 1
; COMPUTE_PGM_RSRC2:TIDIG_COMP_CNT: 1
	.section	.text._ZN12_GLOBAL__N_127rocblas_gemm_batched_kernelIdLi16ELi16ELi64ELi64ELi4ELi64ELi4ELi4ELi64ELc78ELc78EKdS1_dEEvlllT_PT11_llS4_llS2_PT12_llPT13_lli,"axG",@progbits,_ZN12_GLOBAL__N_127rocblas_gemm_batched_kernelIdLi16ELi16ELi64ELi64ELi4ELi64ELi4ELi4ELi64ELc78ELc78EKdS1_dEEvlllT_PT11_llS4_llS2_PT12_llPT13_lli,comdat
	.globl	_ZN12_GLOBAL__N_127rocblas_gemm_batched_kernelIdLi16ELi16ELi64ELi64ELi4ELi64ELi4ELi4ELi64ELc78ELc78EKdS1_dEEvlllT_PT11_llS4_llS2_PT12_llPT13_lli ; -- Begin function _ZN12_GLOBAL__N_127rocblas_gemm_batched_kernelIdLi16ELi16ELi64ELi64ELi4ELi64ELi4ELi4ELi64ELc78ELc78EKdS1_dEEvlllT_PT11_llS4_llS2_PT12_llPT13_lli
	.p2align	8
	.type	_ZN12_GLOBAL__N_127rocblas_gemm_batched_kernelIdLi16ELi16ELi64ELi64ELi4ELi64ELi4ELi4ELi64ELc78ELc78EKdS1_dEEvlllT_PT11_llS4_llS2_PT12_llPT13_lli,@function
_ZN12_GLOBAL__N_127rocblas_gemm_batched_kernelIdLi16ELi16ELi64ELi64ELi4ELi64ELi4ELi4ELi64ELc78ELc78EKdS1_dEEvlllT_PT11_llS4_llS2_PT12_llPT13_lli: ; @_ZN12_GLOBAL__N_127rocblas_gemm_batched_kernelIdLi16ELi16ELi64ELi64ELi4ELi64ELi4ELi4ELi64ELc78ELc78EKdS1_dEEvlllT_PT11_llS4_llS2_PT12_llPT13_lli
; %bb.0:
	s_load_b32 s28, s[0:1], 0x88
	s_bfe_u32 s2, ttmp6, 0x40014
	s_lshr_b32 s3, ttmp7, 16
	s_add_co_i32 s2, s2, 1
	s_bfe_u32 s4, ttmp6, 0x40008
	s_mul_i32 s2, s3, s2
	s_getreg_b32 s29, hwreg(HW_REG_IB_STS2, 6, 4)
	s_add_co_i32 s4, s4, s2
	s_cmp_eq_u32 s29, 0
	s_cselect_b32 s2, s3, s4
	s_mov_b32 s3, 0
	s_wait_kmcnt 0x0
	s_cmp_ge_i32 s2, s28
	s_cbranch_scc1 .LBB279_11
; %bb.1:
	v_bfe_u32 v2, v0, 10, 10
	v_and_b32_e32 v4, 0x3ff, v0
	s_bfe_u32 s31, ttmp6, 0x4000c
	s_bfe_u32 s33, ttmp6, 0x40010
	s_clause 0x1
	s_load_b512 s[4:19], s[0:1], 0x10
	s_load_b256 s[20:27], s[0:1], 0x50
	s_add_co_i32 s31, s31, 1
	s_and_b32 s34, ttmp7, 0xffff
	s_add_co_i32 s33, s33, 1
	v_lshl_add_u32 v5, v2, 4, v4
	v_mov_b32_e32 v3, 0
	s_and_b32 s30, ttmp6, 15
	s_mul_i32 s31, ttmp9, s31
	s_mul_i32 s33, s34, s33
	s_bfe_u32 s35, ttmp6, 0x40004
	s_add_co_i32 s30, s30, s31
	s_add_co_i32 s35, s35, s33
	s_cmp_eq_u32 s29, 0
	v_dual_mov_b32 v7, v3 :: v_dual_lshrrev_b32 v6, 2, v5
	v_lshlrev_b32_e32 v16, 3, v0
	s_cselect_b32 s29, s34, s35
	s_load_b256 s[36:43], s[0:1], 0x70
	s_cselect_b32 s30, ttmp9, s30
	s_lshl_b32 s34, s29, 6
	s_mov_b32 s35, s3
	s_ashr_i32 s31, s30, 31
	v_add_nc_u64_e32 v[8:9], s[34:35], v[6:7]
	v_add_nc_u64_e32 v[10:11], s[34:35], v[2:3]
	v_lshrrev_b32_e32 v7, 6, v5
	s_wait_kmcnt 0x0
	v_cmp_eq_f64_e64 s1, s[20:21], 0
	v_dual_mov_b32 v17, v3 :: v_dual_lshlrev_b32 v46, 3, v4
	v_cmp_gt_i64_e64 s0, s[4:5], 0
	v_mul_u64_e32 v[8:9], s[16:17], v[8:9]
	v_mul_u64_e32 v[12:13], s[24:25], v[10:11]
	s_lshl_b64 s[16:17], s[30:31], 6
	v_lshl_add_u32 v47, v2, 5, 0x800
	s_lshl_b64 s[24:25], s[24:25], 4
	v_mul_u64_e32 v[0:1], s[38:39], v[10:11]
	v_and_b32_e32 v10, 24, v16
	v_mad_nc_u64_u32 v[14:15], s10, v7, s[16:17]
	v_dual_mov_b32 v5, v3 :: v_dual_bitop2_b32 v16, 63, v5 bitop3:0x40
	v_mov_b32_e32 v11, v3
	s_delay_alu instid0(VALU_DEP_4) | instskip(SKIP_1) | instid1(VALU_DEP_3)
	v_lshl_or_b32 v6, v6, 5, v10
	s_lshl_b64 s[30:31], s[38:39], 4
	v_lshlrev_b32_e32 v20, 3, v16
	v_add_nc_u64_e32 v[18:19], s[16:17], v[4:5]
	s_lshl_b64 s[16:17], s[18:19], 3
	v_add_nc_u32_e32 v49, 0x800, v6
	v_mad_u32 v15, s11, v7, v15
	v_lshl_or_b32 v48, v7, 9, v20
	s_lshl_b64 s[10:11], s[10:11], 5
	s_delay_alu instid0(VALU_DEP_2) | instskip(SKIP_4) | instid1(VALU_DEP_4)
	v_add_nc_u64_e32 v[2:3], v[14:15], v[16:17]
	v_lshl_add_u64 v[6:7], v[8:9], 3, v[10:11]
	v_cndmask_b32_e64 v10, 0, 1, s0
	v_lshlrev_b64_e32 v[8:9], 3, v[18:19]
	v_lshl_add_u64 v[4:5], v[12:13], 3, s[22:23]
	v_add_nc_u64_e32 v[6:7], s[14:15], v[6:7]
	v_lshl_add_u64 v[2:3], v[2:3], 3, s[8:9]
	v_cmp_ne_u32_e64 s0, 1, v10
	s_lshl_b64 s[8:9], s[12:13], 3
	s_lshl_b64 s[12:13], s[24:25], 3
	;; [unrolled: 1-line block ×3, first 2 shown]
	s_branch .LBB279_3
.LBB279_2:                              ;   in Loop: Header=BB279_3 Depth=1
	s_add_co_i32 s2, s2, 0x10000
	s_delay_alu instid0(SALU_CYCLE_1)
	s_cmp_lt_i32 s2, s28
	s_cbranch_scc0 .LBB279_11
.LBB279_3:                              ; =>This Loop Header: Depth=1
                                        ;     Child Loop BB279_5 Depth 2
	s_and_b32 vcc_lo, exec_lo, s0
	s_cbranch_vccnz .LBB279_6
; %bb.4:                                ;   in Loop: Header=BB279_3 Depth=1
	v_mad_nc_u64_u32 v[42:43], s16, s2, v[6:7]
	s_wait_xcnt 0xc
	v_mad_nc_u64_u32 v[44:45], s8, s2, v[2:3]
	v_mov_b64_e32 v[10:11], 0
	s_wait_xcnt 0x0
	v_mov_b64_e32 v[12:13], 0
	v_mov_b64_e32 v[14:15], 0
	;; [unrolled: 1-line block ×8, first 2 shown]
	v_mad_u32 v43, s17, s2, v43
	v_mad_u32 v45, s9, s2, v45
	v_mov_b64_e32 v[28:29], 0
	v_mov_b64_e32 v[30:31], 0
	;; [unrolled: 1-line block ×7, first 2 shown]
	s_mov_b64 s[18:19], 0
.LBB279_5:                              ;   Parent Loop BB279_3 Depth=1
                                        ; =>  This Inner Loop Header: Depth=2
	global_load_b64 v[50:51], v[44:45], off
	global_load_b64 v[52:53], v[42:43], off
	s_add_nc_u64 s[18:19], s[18:19], 4
	s_wait_xcnt 0x0
	v_add_nc_u64_e32 v[42:43], 32, v[42:43]
	v_cmp_lt_i64_e64 s22, s[18:19], s[4:5]
	v_add_nc_u64_e32 v[44:45], s[10:11], v[44:45]
	s_wait_loadcnt 0x1
	ds_store_b64 v48, v[50:51]
	s_wait_loadcnt 0x0
	ds_store_b64 v49, v[52:53]
	s_wait_dscnt 0x0
	s_barrier_signal -1
	s_barrier_wait -1
	ds_load_b128 v[50:53], v47
	ds_load_2addr_b64 v[54:57], v46 offset1:16
	ds_load_b128 v[58:61], v47 offset:512
	ds_load_2addr_b64 v[62:65], v46 offset0:32 offset1:48
	ds_load_b128 v[66:69], v47 offset:1024
	ds_load_b128 v[70:73], v47 offset:1536
	ds_load_2addr_b64 v[74:77], v46 offset0:64 offset1:80
	ds_load_b128 v[78:81], v47 offset:16
	ds_load_b128 v[82:85], v47 offset:528
	;; [unrolled: 1-line block ×4, first 2 shown]
	s_and_b32 vcc_lo, exec_lo, s22
	s_wait_dscnt 0x9
	v_fmac_f64_e32 v[40:41], v[54:55], v[50:51]
	v_fmac_f64_e32 v[38:39], v[56:57], v[50:51]
	s_wait_dscnt 0x8
	v_fmac_f64_e32 v[32:33], v[54:55], v[58:59]
	v_fmac_f64_e32 v[30:31], v[56:57], v[58:59]
	;; [unrolled: 3-line block ×4, first 2 shown]
	v_fmac_f64_e32 v[28:29], v[62:63], v[58:59]
	v_fmac_f64_e32 v[26:27], v[64:65], v[58:59]
	s_wait_dscnt 0x5
	v_fmac_f64_e32 v[16:17], v[54:55], v[70:71]
	v_fmac_f64_e32 v[14:15], v[56:57], v[70:71]
	;; [unrolled: 1-line block ×6, first 2 shown]
	ds_load_2addr_b64 v[54:57], v46 offset0:96 offset1:112
	ds_load_2addr_b64 v[62:65], v46 offset0:128 offset1:144
	s_wait_dscnt 0x6
	v_fmac_f64_e32 v[40:41], v[74:75], v[52:53]
	v_fmac_f64_e32 v[38:39], v[76:77], v[52:53]
	;; [unrolled: 1-line block ×4, first 2 shown]
	s_wait_dscnt 0x1
	v_fmac_f64_e32 v[36:37], v[54:55], v[52:53]
	v_fmac_f64_e32 v[34:35], v[56:57], v[52:53]
	;; [unrolled: 1-line block ×12, first 2 shown]
	ds_load_2addr_b64 v[50:53], v46 offset0:160 offset1:176
	ds_load_2addr_b64 v[54:57], v46 offset0:192 offset1:208
	s_wait_dscnt 0x2
	v_fmac_f64_e32 v[40:41], v[62:63], v[78:79]
	v_fmac_f64_e32 v[38:39], v[64:65], v[78:79]
	;; [unrolled: 1-line block ×4, first 2 shown]
	s_wait_dscnt 0x1
	v_fmac_f64_e32 v[36:37], v[50:51], v[78:79]
	v_fmac_f64_e32 v[34:35], v[52:53], v[78:79]
	;; [unrolled: 1-line block ×12, first 2 shown]
	ds_load_2addr_b64 v[50:53], v46 offset0:224 offset1:240
	s_wait_dscnt 0x0
	s_barrier_signal -1
	s_barrier_wait -1
	v_fmac_f64_e32 v[40:41], v[54:55], v[80:81]
	v_fmac_f64_e32 v[38:39], v[56:57], v[80:81]
	;; [unrolled: 1-line block ×16, first 2 shown]
	s_cbranch_vccnz .LBB279_5
	s_branch .LBB279_7
.LBB279_6:                              ;   in Loop: Header=BB279_3 Depth=1
	v_mov_b64_e32 v[40:41], 0
	v_mov_b64_e32 v[38:39], 0
	;; [unrolled: 1-line block ×10, first 2 shown]
	s_wait_xcnt 0x4
	v_mov_b64_e32 v[20:21], 0
	s_wait_xcnt 0x1
	v_mov_b64_e32 v[18:19], 0
	;; [unrolled: 2-line block ×3, first 2 shown]
	v_mov_b64_e32 v[14:15], 0
	v_mov_b64_e32 v[12:13], 0
	v_mov_b64_e32 v[10:11], 0
.LBB279_7:                              ;   in Loop: Header=BB279_3 Depth=1
	s_mul_u64 s[18:19], s[40:41], s[2:3]
	s_and_not1_b32 vcc_lo, exec_lo, s1
	s_lshl_b64 s[18:19], s[18:19], 3
	s_delay_alu instid0(SALU_CYCLE_1) | instskip(NEXT) | instid1(SALU_CYCLE_1)
	s_add_nc_u64 s[18:19], s[36:37], s[18:19]
	v_lshl_add_u64 v[42:43], v[0:1], 3, s[18:19]
	s_delay_alu instid0(VALU_DEP_1)
	v_add_nc_u64_e32 v[44:45], v[42:43], v[8:9]
	v_add_nc_u64_e32 v[42:43], s[14:15], v[42:43]
	s_cbranch_vccnz .LBB279_9
; %bb.8:                                ;   in Loop: Header=BB279_3 Depth=1
	v_mul_f64_e32 v[50:51], s[6:7], v[40:41]
	v_mul_f64_e32 v[74:75], s[6:7], v[16:17]
	;; [unrolled: 1-line block ×16, first 2 shown]
	v_add_nc_u64_e32 v[82:83], s[14:15], v[42:43]
	v_add_nc_u64_e32 v[86:87], v[42:43], v[8:9]
	s_delay_alu instid0(VALU_DEP_2)
	v_add_nc_u64_e32 v[84:85], s[14:15], v[82:83]
	v_add_nc_u64_e32 v[82:83], v[82:83], v[8:9]
	s_clause 0xb
	global_store_b64 v[44:45], v[50:51], off
	global_store_b64 v[44:45], v[52:53], off offset:128
	global_store_b64 v[44:45], v[54:55], off offset:256
	global_store_b64 v[44:45], v[56:57], off offset:384
	global_store_b64 v[86:87], v[58:59], off
	global_store_b64 v[86:87], v[60:61], off offset:128
	global_store_b64 v[86:87], v[62:63], off offset:256
	global_store_b64 v[86:87], v[64:65], off offset:384
	;; [unrolled: 4-line block ×3, first 2 shown]
	v_add_nc_u64_e32 v[84:85], v[84:85], v[8:9]
	s_clause 0x3
	global_store_b64 v[84:85], v[74:75], off
	global_store_b64 v[84:85], v[76:77], off offset:128
	global_store_b64 v[84:85], v[78:79], off offset:256
	;; [unrolled: 1-line block ×3, first 2 shown]
	s_cbranch_execnz .LBB279_2
	s_branch .LBB279_10
.LBB279_9:                              ;   in Loop: Header=BB279_3 Depth=1
.LBB279_10:                             ;   in Loop: Header=BB279_3 Depth=1
	s_mul_u64 s[18:19], s[26:27], s[2:3]
	s_wait_xcnt 0xf
	v_lshl_add_u64 v[50:51], s[18:19], 3, v[4:5]
	s_wait_xcnt 0xe
	s_delay_alu instid0(VALU_DEP_1) | instskip(SKIP_3) | instid1(VALU_DEP_1)
	v_add_nc_u64_e32 v[52:53], v[50:51], v[8:9]
	global_load_b64 v[54:55], v[52:53], off
	s_wait_loadcnt 0x0
	v_mul_f64_e32 v[54:55], s[20:21], v[54:55]
	v_fmac_f64_e32 v[54:55], s[6:7], v[40:41]
	global_store_b64 v[44:45], v[54:55], off
	global_load_b64 v[40:41], v[52:53], off offset:128
	s_wait_loadcnt 0x0
	v_mul_f64_e32 v[40:41], s[20:21], v[40:41]
	s_delay_alu instid0(VALU_DEP_1) | instskip(SKIP_4) | instid1(VALU_DEP_1)
	v_fmac_f64_e32 v[40:41], s[6:7], v[38:39]
	global_store_b64 v[44:45], v[40:41], off offset:128
	global_load_b64 v[38:39], v[52:53], off offset:256
	s_wait_loadcnt 0x0
	v_mul_f64_e32 v[38:39], s[20:21], v[38:39]
	v_fmac_f64_e32 v[38:39], s[6:7], v[36:37]
	global_store_b64 v[44:45], v[38:39], off offset:256
	global_load_b64 v[36:37], v[52:53], off offset:384
	s_wait_loadcnt 0x0
	v_mul_f64_e32 v[36:37], s[20:21], v[36:37]
	s_delay_alu instid0(VALU_DEP_1) | instskip(SKIP_2) | instid1(VALU_DEP_1)
	v_fmac_f64_e32 v[36:37], s[6:7], v[34:35]
	v_add_nc_u64_e32 v[34:35], s[12:13], v[50:51]
	s_wait_xcnt 0x1
	v_add_nc_u64_e32 v[38:39], v[34:35], v[8:9]
	global_store_b64 v[44:45], v[36:37], off offset:384
	global_load_b64 v[36:37], v[38:39], off
	s_wait_loadcnt 0x0
	v_mul_f64_e32 v[36:37], s[20:21], v[36:37]
	s_delay_alu instid0(VALU_DEP_1)
	v_fmac_f64_e32 v[36:37], s[6:7], v[32:33]
	v_add_nc_u64_e32 v[32:33], v[42:43], v[8:9]
	global_store_b64 v[32:33], v[36:37], off
	global_load_b64 v[36:37], v[38:39], off offset:128
	s_wait_loadcnt 0x0
	v_mul_f64_e32 v[36:37], s[20:21], v[36:37]
	s_delay_alu instid0(VALU_DEP_1) | instskip(SKIP_4) | instid1(VALU_DEP_1)
	v_fmac_f64_e32 v[36:37], s[6:7], v[30:31]
	global_store_b64 v[32:33], v[36:37], off offset:128
	global_load_b64 v[30:31], v[38:39], off offset:256
	s_wait_loadcnt 0x0
	v_mul_f64_e32 v[30:31], s[20:21], v[30:31]
	v_fmac_f64_e32 v[30:31], s[6:7], v[28:29]
	global_store_b64 v[32:33], v[30:31], off offset:256
	global_load_b64 v[28:29], v[38:39], off offset:384
	s_wait_loadcnt 0x0
	v_mul_f64_e32 v[28:29], s[20:21], v[28:29]
	s_delay_alu instid0(VALU_DEP_1) | instskip(SKIP_2) | instid1(VALU_DEP_1)
	v_fmac_f64_e32 v[28:29], s[6:7], v[26:27]
	v_add_nc_u64_e32 v[26:27], s[12:13], v[34:35]
	s_wait_xcnt 0x1
	v_add_nc_u64_e32 v[30:31], v[26:27], v[8:9]
	global_store_b64 v[32:33], v[28:29], off offset:384
	global_load_b64 v[28:29], v[30:31], off
	s_wait_loadcnt 0x0
	v_mul_f64_e32 v[28:29], s[20:21], v[28:29]
	s_delay_alu instid0(VALU_DEP_1) | instskip(SKIP_1) | instid1(VALU_DEP_1)
	v_fmac_f64_e32 v[28:29], s[6:7], v[24:25]
	v_add_nc_u64_e32 v[24:25], s[14:15], v[42:43]
	v_add_nc_u64_e32 v[32:33], v[24:25], v[8:9]
	global_store_b64 v[32:33], v[28:29], off
	global_load_b64 v[28:29], v[30:31], off offset:128
	s_wait_loadcnt 0x0
	v_mul_f64_e32 v[28:29], s[20:21], v[28:29]
	s_delay_alu instid0(VALU_DEP_1) | instskip(SKIP_4) | instid1(VALU_DEP_1)
	v_fmac_f64_e32 v[28:29], s[6:7], v[22:23]
	global_store_b64 v[32:33], v[28:29], off offset:128
	global_load_b64 v[22:23], v[30:31], off offset:256
	s_wait_loadcnt 0x0
	v_mul_f64_e32 v[22:23], s[20:21], v[22:23]
	v_fmac_f64_e32 v[22:23], s[6:7], v[20:21]
	global_store_b64 v[32:33], v[22:23], off offset:256
	global_load_b64 v[20:21], v[30:31], off offset:384
	s_wait_loadcnt 0x0
	v_mul_f64_e32 v[20:21], s[20:21], v[20:21]
	s_delay_alu instid0(VALU_DEP_1) | instskip(SKIP_1) | instid1(VALU_DEP_1)
	v_fmac_f64_e32 v[20:21], s[6:7], v[18:19]
	v_add_nc_u64_e32 v[18:19], s[12:13], v[26:27]
	v_add_nc_u64_e32 v[18:19], v[18:19], v[8:9]
	global_store_b64 v[32:33], v[20:21], off offset:384
	global_load_b64 v[20:21], v[18:19], off
	s_wait_loadcnt 0x0
	v_mul_f64_e32 v[20:21], s[20:21], v[20:21]
	s_delay_alu instid0(VALU_DEP_1) | instskip(SKIP_1) | instid1(VALU_DEP_1)
	v_fmac_f64_e32 v[20:21], s[6:7], v[16:17]
	v_add_nc_u64_e32 v[16:17], s[14:15], v[24:25]
	v_add_nc_u64_e32 v[16:17], v[16:17], v[8:9]
	global_store_b64 v[16:17], v[20:21], off
	global_load_b64 v[20:21], v[18:19], off offset:128
	s_wait_loadcnt 0x0
	v_mul_f64_e32 v[20:21], s[20:21], v[20:21]
	s_delay_alu instid0(VALU_DEP_1) | instskip(SKIP_4) | instid1(VALU_DEP_1)
	v_fmac_f64_e32 v[20:21], s[6:7], v[14:15]
	global_store_b64 v[16:17], v[20:21], off offset:128
	global_load_b64 v[14:15], v[18:19], off offset:256
	s_wait_loadcnt 0x0
	v_mul_f64_e32 v[14:15], s[20:21], v[14:15]
	v_fmac_f64_e32 v[14:15], s[6:7], v[12:13]
	global_store_b64 v[16:17], v[14:15], off offset:256
	global_load_b64 v[12:13], v[18:19], off offset:384
	s_wait_loadcnt 0x0
	v_mul_f64_e32 v[12:13], s[20:21], v[12:13]
	s_delay_alu instid0(VALU_DEP_1)
	v_fmac_f64_e32 v[12:13], s[6:7], v[10:11]
	global_store_b64 v[16:17], v[12:13], off offset:384
	s_branch .LBB279_2
.LBB279_11:
	s_sendmsg sendmsg(MSG_DEALLOC_VGPRS)
	s_endpgm
	.section	.rodata,"a",@progbits
	.p2align	6, 0x0
	.amdhsa_kernel _ZN12_GLOBAL__N_127rocblas_gemm_batched_kernelIdLi16ELi16ELi64ELi64ELi4ELi64ELi4ELi4ELi64ELc78ELc78EKdS1_dEEvlllT_PT11_llS4_llS2_PT12_llPT13_lli
		.amdhsa_group_segment_fixed_size 4096
		.amdhsa_private_segment_fixed_size 0
		.amdhsa_kernarg_size 140
		.amdhsa_user_sgpr_count 2
		.amdhsa_user_sgpr_dispatch_ptr 0
		.amdhsa_user_sgpr_queue_ptr 0
		.amdhsa_user_sgpr_kernarg_segment_ptr 1
		.amdhsa_user_sgpr_dispatch_id 0
		.amdhsa_user_sgpr_kernarg_preload_length 0
		.amdhsa_user_sgpr_kernarg_preload_offset 0
		.amdhsa_user_sgpr_private_segment_size 0
		.amdhsa_wavefront_size32 1
		.amdhsa_uses_dynamic_stack 0
		.amdhsa_enable_private_segment 0
		.amdhsa_system_sgpr_workgroup_id_x 1
		.amdhsa_system_sgpr_workgroup_id_y 1
		.amdhsa_system_sgpr_workgroup_id_z 1
		.amdhsa_system_sgpr_workgroup_info 0
		.amdhsa_system_vgpr_workitem_id 1
		.amdhsa_next_free_vgpr 94
		.amdhsa_next_free_sgpr 44
		.amdhsa_named_barrier_count 0
		.amdhsa_reserve_vcc 1
		.amdhsa_float_round_mode_32 0
		.amdhsa_float_round_mode_16_64 0
		.amdhsa_float_denorm_mode_32 3
		.amdhsa_float_denorm_mode_16_64 3
		.amdhsa_fp16_overflow 0
		.amdhsa_memory_ordered 1
		.amdhsa_forward_progress 1
		.amdhsa_inst_pref_size 18
		.amdhsa_round_robin_scheduling 0
		.amdhsa_exception_fp_ieee_invalid_op 0
		.amdhsa_exception_fp_denorm_src 0
		.amdhsa_exception_fp_ieee_div_zero 0
		.amdhsa_exception_fp_ieee_overflow 0
		.amdhsa_exception_fp_ieee_underflow 0
		.amdhsa_exception_fp_ieee_inexact 0
		.amdhsa_exception_int_div_zero 0
	.end_amdhsa_kernel
	.section	.text._ZN12_GLOBAL__N_127rocblas_gemm_batched_kernelIdLi16ELi16ELi64ELi64ELi4ELi64ELi4ELi4ELi64ELc78ELc78EKdS1_dEEvlllT_PT11_llS4_llS2_PT12_llPT13_lli,"axG",@progbits,_ZN12_GLOBAL__N_127rocblas_gemm_batched_kernelIdLi16ELi16ELi64ELi64ELi4ELi64ELi4ELi4ELi64ELc78ELc78EKdS1_dEEvlllT_PT11_llS4_llS2_PT12_llPT13_lli,comdat
.Lfunc_end279:
	.size	_ZN12_GLOBAL__N_127rocblas_gemm_batched_kernelIdLi16ELi16ELi64ELi64ELi4ELi64ELi4ELi4ELi64ELc78ELc78EKdS1_dEEvlllT_PT11_llS4_llS2_PT12_llPT13_lli, .Lfunc_end279-_ZN12_GLOBAL__N_127rocblas_gemm_batched_kernelIdLi16ELi16ELi64ELi64ELi4ELi64ELi4ELi4ELi64ELc78ELc78EKdS1_dEEvlllT_PT11_llS4_llS2_PT12_llPT13_lli
                                        ; -- End function
	.set _ZN12_GLOBAL__N_127rocblas_gemm_batched_kernelIdLi16ELi16ELi64ELi64ELi4ELi64ELi4ELi4ELi64ELc78ELc78EKdS1_dEEvlllT_PT11_llS4_llS2_PT12_llPT13_lli.num_vgpr, 94
	.set _ZN12_GLOBAL__N_127rocblas_gemm_batched_kernelIdLi16ELi16ELi64ELi64ELi4ELi64ELi4ELi4ELi64ELc78ELc78EKdS1_dEEvlllT_PT11_llS4_llS2_PT12_llPT13_lli.num_agpr, 0
	.set _ZN12_GLOBAL__N_127rocblas_gemm_batched_kernelIdLi16ELi16ELi64ELi64ELi4ELi64ELi4ELi4ELi64ELc78ELc78EKdS1_dEEvlllT_PT11_llS4_llS2_PT12_llPT13_lli.numbered_sgpr, 44
	.set _ZN12_GLOBAL__N_127rocblas_gemm_batched_kernelIdLi16ELi16ELi64ELi64ELi4ELi64ELi4ELi4ELi64ELc78ELc78EKdS1_dEEvlllT_PT11_llS4_llS2_PT12_llPT13_lli.num_named_barrier, 0
	.set _ZN12_GLOBAL__N_127rocblas_gemm_batched_kernelIdLi16ELi16ELi64ELi64ELi4ELi64ELi4ELi4ELi64ELc78ELc78EKdS1_dEEvlllT_PT11_llS4_llS2_PT12_llPT13_lli.private_seg_size, 0
	.set _ZN12_GLOBAL__N_127rocblas_gemm_batched_kernelIdLi16ELi16ELi64ELi64ELi4ELi64ELi4ELi4ELi64ELc78ELc78EKdS1_dEEvlllT_PT11_llS4_llS2_PT12_llPT13_lli.uses_vcc, 1
	.set _ZN12_GLOBAL__N_127rocblas_gemm_batched_kernelIdLi16ELi16ELi64ELi64ELi4ELi64ELi4ELi4ELi64ELc78ELc78EKdS1_dEEvlllT_PT11_llS4_llS2_PT12_llPT13_lli.uses_flat_scratch, 0
	.set _ZN12_GLOBAL__N_127rocblas_gemm_batched_kernelIdLi16ELi16ELi64ELi64ELi4ELi64ELi4ELi4ELi64ELc78ELc78EKdS1_dEEvlllT_PT11_llS4_llS2_PT12_llPT13_lli.has_dyn_sized_stack, 0
	.set _ZN12_GLOBAL__N_127rocblas_gemm_batched_kernelIdLi16ELi16ELi64ELi64ELi4ELi64ELi4ELi4ELi64ELc78ELc78EKdS1_dEEvlllT_PT11_llS4_llS2_PT12_llPT13_lli.has_recursion, 0
	.set _ZN12_GLOBAL__N_127rocblas_gemm_batched_kernelIdLi16ELi16ELi64ELi64ELi4ELi64ELi4ELi4ELi64ELc78ELc78EKdS1_dEEvlllT_PT11_llS4_llS2_PT12_llPT13_lli.has_indirect_call, 0
	.section	.AMDGPU.csdata,"",@progbits
; Kernel info:
; codeLenInByte = 2240
; TotalNumSgprs: 46
; NumVgprs: 94
; ScratchSize: 0
; MemoryBound: 0
; FloatMode: 240
; IeeeMode: 1
; LDSByteSize: 4096 bytes/workgroup (compile time only)
; SGPRBlocks: 0
; VGPRBlocks: 5
; NumSGPRsForWavesPerEU: 46
; NumVGPRsForWavesPerEU: 94
; NamedBarCnt: 0
; Occupancy: 10
; WaveLimiterHint : 1
; COMPUTE_PGM_RSRC2:SCRATCH_EN: 0
; COMPUTE_PGM_RSRC2:USER_SGPR: 2
; COMPUTE_PGM_RSRC2:TRAP_HANDLER: 0
; COMPUTE_PGM_RSRC2:TGID_X_EN: 1
; COMPUTE_PGM_RSRC2:TGID_Y_EN: 1
; COMPUTE_PGM_RSRC2:TGID_Z_EN: 1
; COMPUTE_PGM_RSRC2:TIDIG_COMP_CNT: 1
	.section	.text._ZN12_GLOBAL__N_127rocblas_gemm_batched_kernelIdLi16ELi16ELi64ELi64ELi4ELi64ELi4ELi4ELi64ELc84ELc78EKdS1_dEEvlllT_PT11_llS4_llS2_PT12_llPT13_lli,"axG",@progbits,_ZN12_GLOBAL__N_127rocblas_gemm_batched_kernelIdLi16ELi16ELi64ELi64ELi4ELi64ELi4ELi4ELi64ELc84ELc78EKdS1_dEEvlllT_PT11_llS4_llS2_PT12_llPT13_lli,comdat
	.globl	_ZN12_GLOBAL__N_127rocblas_gemm_batched_kernelIdLi16ELi16ELi64ELi64ELi4ELi64ELi4ELi4ELi64ELc84ELc78EKdS1_dEEvlllT_PT11_llS4_llS2_PT12_llPT13_lli ; -- Begin function _ZN12_GLOBAL__N_127rocblas_gemm_batched_kernelIdLi16ELi16ELi64ELi64ELi4ELi64ELi4ELi4ELi64ELc84ELc78EKdS1_dEEvlllT_PT11_llS4_llS2_PT12_llPT13_lli
	.p2align	8
	.type	_ZN12_GLOBAL__N_127rocblas_gemm_batched_kernelIdLi16ELi16ELi64ELi64ELi4ELi64ELi4ELi4ELi64ELc84ELc78EKdS1_dEEvlllT_PT11_llS4_llS2_PT12_llPT13_lli,@function
_ZN12_GLOBAL__N_127rocblas_gemm_batched_kernelIdLi16ELi16ELi64ELi64ELi4ELi64ELi4ELi4ELi64ELc84ELc78EKdS1_dEEvlllT_PT11_llS4_llS2_PT12_llPT13_lli: ; @_ZN12_GLOBAL__N_127rocblas_gemm_batched_kernelIdLi16ELi16ELi64ELi64ELi4ELi64ELi4ELi4ELi64ELc84ELc78EKdS1_dEEvlllT_PT11_llS4_llS2_PT12_llPT13_lli
; %bb.0:
	s_load_b32 s28, s[0:1], 0x88
	s_bfe_u32 s2, ttmp6, 0x40014
	s_lshr_b32 s3, ttmp7, 16
	s_add_co_i32 s2, s2, 1
	s_bfe_u32 s4, ttmp6, 0x40008
	s_mul_i32 s2, s3, s2
	s_getreg_b32 s29, hwreg(HW_REG_IB_STS2, 6, 4)
	s_add_co_i32 s4, s4, s2
	s_cmp_eq_u32 s29, 0
	s_cselect_b32 s2, s3, s4
	s_mov_b32 s3, 0
	s_wait_kmcnt 0x0
	s_cmp_ge_i32 s2, s28
	s_cbranch_scc1 .LBB280_11
; %bb.1:
	v_bfe_u32 v4, v0, 10, 10
	v_and_b32_e32 v6, 0x3ff, v0
	s_clause 0x2
	s_load_b512 s[4:19], s[0:1], 0x10
	s_load_b256 s[20:27], s[0:1], 0x70
	s_load_b256 s[36:43], s[0:1], 0x50
	s_wait_xcnt 0x0
	s_bfe_u32 s1, ttmp6, 0x4000c
	s_wait_kmcnt 0x0
	s_bfe_u32 s26, ttmp6, 0x40010
	s_add_co_i32 s1, s1, 1
	s_and_b32 s27, ttmp7, 0xffff
	s_add_co_i32 s26, s26, 1
	v_lshl_add_u32 v1, v4, 4, v6
	v_mov_b32_e32 v5, 0
	s_and_b32 s0, ttmp6, 15
	s_mul_i32 s1, ttmp9, s1
	s_mul_i32 s26, s27, s26
	s_bfe_u32 s30, ttmp6, 0x40004
	s_add_co_i32 s0, s0, s1
	s_add_co_i32 s30, s30, s26
	s_cmp_eq_u32 s29, 0
	v_dual_lshrrev_b32 v8, 2, v1 :: v_dual_bitop2_b32 v18, 63, v1 bitop3:0x40
	v_mov_b32_e32 v9, v5
	s_cselect_b32 s0, ttmp9, s0
	s_cselect_b32 s26, s27, s30
	s_ashr_i32 s1, s0, 31
	s_lshl_b32 s26, s26, 6
	s_mov_b32 s27, s3
	s_lshl_b64 s[30:31], s[0:1], 6
	v_add_nc_u64_e32 v[2:3], s[26:27], v[8:9]
	v_dual_mov_b32 v11, s31 :: v_dual_bitop2_b32 v10, s30, v18 bitop3:0x54
	v_add_nc_u64_e32 v[12:13], s[26:27], v[4:5]
	v_cmp_eq_f64_e64 s1, s[36:37], 0
	v_dual_mov_b32 v7, v5 :: v_dual_lshlrev_b32 v0, 3, v0
	s_delay_alu instid0(VALU_DEP_4)
	v_mul_u64_e32 v[10:11], s[10:11], v[10:11]
	v_mul_u64_e32 v[14:15], s[16:17], v[2:3]
	v_lshl_add_u32 v47, v4, 5, 0x800
	v_mul_u64_e32 v[16:17], s[40:41], v[12:13]
	v_mul_u64_e32 v[2:3], s[22:23], v[12:13]
	v_dual_lshrrev_b32 v12, 6, v1 :: v_dual_lshlrev_b32 v13, 3, v18
	v_dual_lshlrev_b32 v46, 3, v6 :: v_dual_bitop2_b32 v0, 24, v0 bitop3:0x40
	s_delay_alu instid0(VALU_DEP_2) | instskip(SKIP_1) | instid1(VALU_DEP_3)
	v_dual_mov_b32 v1, v5 :: v_dual_lshlrev_b32 v4, 3, v12
	v_cmp_gt_i64_e64 s0, s[4:5], 0
	v_lshl_or_b32 v18, v8, 5, v0
	v_add_nc_u64_e32 v[8:9], s[30:31], v[6:7]
	v_lshl_or_b32 v48, v12, 9, v13
	s_lshl_b64 s[16:17], s[22:23], 4
	s_lshl_b64 s[22:23], s[40:41], 4
	v_add_nc_u32_e32 v49, 0x800, v18
	s_lshl_b64 s[10:11], s[12:13], 3
	s_lshl_b64 s[12:13], s[22:23], 3
	v_lshlrev_b64_e32 v[8:9], 3, v[8:9]
	v_lshl_add_u64 v[4:5], v[10:11], 3, v[4:5]
	v_lshl_add_u64 v[6:7], v[14:15], 3, v[0:1]
	v_cndmask_b32_e64 v10, 0, 1, s0
	v_lshl_add_u64 v[0:1], v[16:17], 3, s[38:39]
	s_delay_alu instid0(VALU_DEP_4) | instskip(NEXT) | instid1(VALU_DEP_4)
	v_add_nc_u64_e32 v[4:5], s[8:9], v[4:5]
	v_add_nc_u64_e32 v[6:7], s[14:15], v[6:7]
	s_delay_alu instid0(VALU_DEP_4)
	v_cmp_ne_u32_e64 s0, 1, v10
	s_lshl_b64 s[8:9], s[18:19], 3
	s_lshl_b64 s[14:15], s[16:17], 3
	s_branch .LBB280_3
.LBB280_2:                              ;   in Loop: Header=BB280_3 Depth=1
	s_add_co_i32 s2, s2, 0x10000
	s_delay_alu instid0(SALU_CYCLE_1)
	s_cmp_lt_i32 s2, s28
	s_cbranch_scc0 .LBB280_11
.LBB280_3:                              ; =>This Loop Header: Depth=1
                                        ;     Child Loop BB280_5 Depth 2
	s_and_b32 vcc_lo, exec_lo, s0
	s_cbranch_vccnz .LBB280_6
; %bb.4:                                ;   in Loop: Header=BB280_3 Depth=1
	v_mad_nc_u64_u32 v[42:43], s8, s2, v[6:7]
	s_wait_xcnt 0xc
	v_mad_nc_u64_u32 v[44:45], s10, s2, v[4:5]
	v_mov_b64_e32 v[10:11], 0
	s_wait_xcnt 0x0
	v_mov_b64_e32 v[12:13], 0
	v_mov_b64_e32 v[14:15], 0
	v_mov_b64_e32 v[16:17], 0
	v_mov_b64_e32 v[18:19], 0
	v_mov_b64_e32 v[20:21], 0
	v_mov_b64_e32 v[22:23], 0
	v_mov_b64_e32 v[24:25], 0
	v_mov_b64_e32 v[26:27], 0
	v_mad_u32 v43, s9, s2, v43
	v_mad_u32 v45, s11, s2, v45
	v_mov_b64_e32 v[28:29], 0
	v_mov_b64_e32 v[30:31], 0
	;; [unrolled: 1-line block ×7, first 2 shown]
	s_mov_b64 s[16:17], 0
.LBB280_5:                              ;   Parent Loop BB280_3 Depth=1
                                        ; =>  This Inner Loop Header: Depth=2
	global_load_b64 v[50:51], v[44:45], off
	global_load_b64 v[52:53], v[42:43], off
	s_add_nc_u64 s[16:17], s[16:17], 4
	s_wait_xcnt 0x0
	v_add_nc_u64_e32 v[42:43], 32, v[42:43]
	v_cmp_lt_i64_e64 s18, s[16:17], s[4:5]
	v_add_nc_u64_e32 v[44:45], 32, v[44:45]
	s_wait_loadcnt 0x1
	ds_store_b64 v48, v[50:51]
	s_wait_loadcnt 0x0
	ds_store_b64 v49, v[52:53]
	s_wait_dscnt 0x0
	s_barrier_signal -1
	s_barrier_wait -1
	ds_load_b128 v[50:53], v47
	ds_load_2addr_b64 v[54:57], v46 offset1:16
	ds_load_b128 v[58:61], v47 offset:512
	ds_load_2addr_b64 v[62:65], v46 offset0:32 offset1:48
	ds_load_b128 v[66:69], v47 offset:1024
	ds_load_b128 v[70:73], v47 offset:1536
	ds_load_2addr_b64 v[74:77], v46 offset0:64 offset1:80
	ds_load_b128 v[78:81], v47 offset:16
	ds_load_b128 v[82:85], v47 offset:528
	;; [unrolled: 1-line block ×4, first 2 shown]
	s_and_b32 vcc_lo, exec_lo, s18
	s_wait_dscnt 0x9
	v_fmac_f64_e32 v[40:41], v[54:55], v[50:51]
	v_fmac_f64_e32 v[38:39], v[56:57], v[50:51]
	s_wait_dscnt 0x8
	v_fmac_f64_e32 v[32:33], v[54:55], v[58:59]
	v_fmac_f64_e32 v[30:31], v[56:57], v[58:59]
	;; [unrolled: 3-line block ×4, first 2 shown]
	v_fmac_f64_e32 v[28:29], v[62:63], v[58:59]
	v_fmac_f64_e32 v[26:27], v[64:65], v[58:59]
	s_wait_dscnt 0x5
	v_fmac_f64_e32 v[16:17], v[54:55], v[70:71]
	v_fmac_f64_e32 v[14:15], v[56:57], v[70:71]
	;; [unrolled: 1-line block ×6, first 2 shown]
	ds_load_2addr_b64 v[54:57], v46 offset0:96 offset1:112
	ds_load_2addr_b64 v[62:65], v46 offset0:128 offset1:144
	s_wait_dscnt 0x6
	v_fmac_f64_e32 v[40:41], v[74:75], v[52:53]
	v_fmac_f64_e32 v[38:39], v[76:77], v[52:53]
	;; [unrolled: 1-line block ×4, first 2 shown]
	s_wait_dscnt 0x1
	v_fmac_f64_e32 v[36:37], v[54:55], v[52:53]
	v_fmac_f64_e32 v[34:35], v[56:57], v[52:53]
	;; [unrolled: 1-line block ×12, first 2 shown]
	ds_load_2addr_b64 v[50:53], v46 offset0:160 offset1:176
	ds_load_2addr_b64 v[54:57], v46 offset0:192 offset1:208
	s_wait_dscnt 0x2
	v_fmac_f64_e32 v[40:41], v[62:63], v[78:79]
	v_fmac_f64_e32 v[38:39], v[64:65], v[78:79]
	;; [unrolled: 1-line block ×4, first 2 shown]
	s_wait_dscnt 0x1
	v_fmac_f64_e32 v[36:37], v[50:51], v[78:79]
	v_fmac_f64_e32 v[34:35], v[52:53], v[78:79]
	;; [unrolled: 1-line block ×12, first 2 shown]
	ds_load_2addr_b64 v[50:53], v46 offset0:224 offset1:240
	s_wait_dscnt 0x0
	s_barrier_signal -1
	s_barrier_wait -1
	v_fmac_f64_e32 v[40:41], v[54:55], v[80:81]
	v_fmac_f64_e32 v[38:39], v[56:57], v[80:81]
	;; [unrolled: 1-line block ×16, first 2 shown]
	s_cbranch_vccnz .LBB280_5
	s_branch .LBB280_7
.LBB280_6:                              ;   in Loop: Header=BB280_3 Depth=1
	v_mov_b64_e32 v[40:41], 0
	v_mov_b64_e32 v[38:39], 0
	;; [unrolled: 1-line block ×10, first 2 shown]
	s_wait_xcnt 0x4
	v_mov_b64_e32 v[20:21], 0
	s_wait_xcnt 0x1
	v_mov_b64_e32 v[18:19], 0
	;; [unrolled: 2-line block ×3, first 2 shown]
	v_mov_b64_e32 v[14:15], 0
	v_mov_b64_e32 v[12:13], 0
	v_mov_b64_e32 v[10:11], 0
.LBB280_7:                              ;   in Loop: Header=BB280_3 Depth=1
	s_mul_u64 s[16:17], s[24:25], s[2:3]
	s_and_not1_b32 vcc_lo, exec_lo, s1
	s_lshl_b64 s[16:17], s[16:17], 3
	s_delay_alu instid0(SALU_CYCLE_1) | instskip(NEXT) | instid1(SALU_CYCLE_1)
	s_add_nc_u64 s[16:17], s[20:21], s[16:17]
	v_lshl_add_u64 v[42:43], v[2:3], 3, s[16:17]
	s_delay_alu instid0(VALU_DEP_1)
	v_add_nc_u64_e32 v[44:45], v[42:43], v[8:9]
	v_add_nc_u64_e32 v[42:43], s[14:15], v[42:43]
	s_cbranch_vccnz .LBB280_9
; %bb.8:                                ;   in Loop: Header=BB280_3 Depth=1
	v_mul_f64_e32 v[50:51], s[6:7], v[40:41]
	v_mul_f64_e32 v[74:75], s[6:7], v[16:17]
	;; [unrolled: 1-line block ×16, first 2 shown]
	v_add_nc_u64_e32 v[82:83], s[14:15], v[42:43]
	v_add_nc_u64_e32 v[86:87], v[42:43], v[8:9]
	s_delay_alu instid0(VALU_DEP_2)
	v_add_nc_u64_e32 v[84:85], s[14:15], v[82:83]
	v_add_nc_u64_e32 v[82:83], v[82:83], v[8:9]
	s_clause 0xb
	global_store_b64 v[44:45], v[50:51], off
	global_store_b64 v[44:45], v[52:53], off offset:128
	global_store_b64 v[44:45], v[54:55], off offset:256
	global_store_b64 v[44:45], v[56:57], off offset:384
	global_store_b64 v[86:87], v[58:59], off
	global_store_b64 v[86:87], v[60:61], off offset:128
	global_store_b64 v[86:87], v[62:63], off offset:256
	global_store_b64 v[86:87], v[64:65], off offset:384
	;; [unrolled: 4-line block ×3, first 2 shown]
	v_add_nc_u64_e32 v[84:85], v[84:85], v[8:9]
	s_clause 0x3
	global_store_b64 v[84:85], v[74:75], off
	global_store_b64 v[84:85], v[76:77], off offset:128
	global_store_b64 v[84:85], v[78:79], off offset:256
	;; [unrolled: 1-line block ×3, first 2 shown]
	s_cbranch_execnz .LBB280_2
	s_branch .LBB280_10
.LBB280_9:                              ;   in Loop: Header=BB280_3 Depth=1
.LBB280_10:                             ;   in Loop: Header=BB280_3 Depth=1
	s_mul_u64 s[16:17], s[42:43], s[2:3]
	s_wait_xcnt 0xf
	v_lshl_add_u64 v[50:51], s[16:17], 3, v[0:1]
	s_wait_xcnt 0xe
	s_delay_alu instid0(VALU_DEP_1) | instskip(SKIP_3) | instid1(VALU_DEP_1)
	v_add_nc_u64_e32 v[52:53], v[50:51], v[8:9]
	global_load_b64 v[54:55], v[52:53], off
	s_wait_loadcnt 0x0
	v_mul_f64_e32 v[54:55], s[36:37], v[54:55]
	v_fmac_f64_e32 v[54:55], s[6:7], v[40:41]
	global_store_b64 v[44:45], v[54:55], off
	global_load_b64 v[40:41], v[52:53], off offset:128
	s_wait_loadcnt 0x0
	v_mul_f64_e32 v[40:41], s[36:37], v[40:41]
	s_delay_alu instid0(VALU_DEP_1) | instskip(SKIP_4) | instid1(VALU_DEP_1)
	v_fmac_f64_e32 v[40:41], s[6:7], v[38:39]
	global_store_b64 v[44:45], v[40:41], off offset:128
	global_load_b64 v[38:39], v[52:53], off offset:256
	s_wait_loadcnt 0x0
	v_mul_f64_e32 v[38:39], s[36:37], v[38:39]
	v_fmac_f64_e32 v[38:39], s[6:7], v[36:37]
	global_store_b64 v[44:45], v[38:39], off offset:256
	global_load_b64 v[36:37], v[52:53], off offset:384
	s_wait_loadcnt 0x0
	v_mul_f64_e32 v[36:37], s[36:37], v[36:37]
	s_delay_alu instid0(VALU_DEP_1) | instskip(SKIP_2) | instid1(VALU_DEP_1)
	v_fmac_f64_e32 v[36:37], s[6:7], v[34:35]
	v_add_nc_u64_e32 v[34:35], s[12:13], v[50:51]
	s_wait_xcnt 0x1
	v_add_nc_u64_e32 v[38:39], v[34:35], v[8:9]
	global_store_b64 v[44:45], v[36:37], off offset:384
	global_load_b64 v[36:37], v[38:39], off
	s_wait_loadcnt 0x0
	v_mul_f64_e32 v[36:37], s[36:37], v[36:37]
	s_delay_alu instid0(VALU_DEP_1)
	v_fmac_f64_e32 v[36:37], s[6:7], v[32:33]
	v_add_nc_u64_e32 v[32:33], v[42:43], v[8:9]
	global_store_b64 v[32:33], v[36:37], off
	global_load_b64 v[36:37], v[38:39], off offset:128
	s_wait_loadcnt 0x0
	v_mul_f64_e32 v[36:37], s[36:37], v[36:37]
	s_delay_alu instid0(VALU_DEP_1) | instskip(SKIP_4) | instid1(VALU_DEP_1)
	v_fmac_f64_e32 v[36:37], s[6:7], v[30:31]
	global_store_b64 v[32:33], v[36:37], off offset:128
	global_load_b64 v[30:31], v[38:39], off offset:256
	s_wait_loadcnt 0x0
	v_mul_f64_e32 v[30:31], s[36:37], v[30:31]
	v_fmac_f64_e32 v[30:31], s[6:7], v[28:29]
	global_store_b64 v[32:33], v[30:31], off offset:256
	global_load_b64 v[28:29], v[38:39], off offset:384
	s_wait_loadcnt 0x0
	v_mul_f64_e32 v[28:29], s[36:37], v[28:29]
	s_delay_alu instid0(VALU_DEP_1) | instskip(SKIP_2) | instid1(VALU_DEP_1)
	v_fmac_f64_e32 v[28:29], s[6:7], v[26:27]
	v_add_nc_u64_e32 v[26:27], s[12:13], v[34:35]
	s_wait_xcnt 0x1
	v_add_nc_u64_e32 v[30:31], v[26:27], v[8:9]
	global_store_b64 v[32:33], v[28:29], off offset:384
	global_load_b64 v[28:29], v[30:31], off
	s_wait_loadcnt 0x0
	v_mul_f64_e32 v[28:29], s[36:37], v[28:29]
	s_delay_alu instid0(VALU_DEP_1) | instskip(SKIP_1) | instid1(VALU_DEP_1)
	v_fmac_f64_e32 v[28:29], s[6:7], v[24:25]
	v_add_nc_u64_e32 v[24:25], s[14:15], v[42:43]
	v_add_nc_u64_e32 v[32:33], v[24:25], v[8:9]
	global_store_b64 v[32:33], v[28:29], off
	global_load_b64 v[28:29], v[30:31], off offset:128
	s_wait_loadcnt 0x0
	v_mul_f64_e32 v[28:29], s[36:37], v[28:29]
	s_delay_alu instid0(VALU_DEP_1) | instskip(SKIP_4) | instid1(VALU_DEP_1)
	v_fmac_f64_e32 v[28:29], s[6:7], v[22:23]
	global_store_b64 v[32:33], v[28:29], off offset:128
	global_load_b64 v[22:23], v[30:31], off offset:256
	s_wait_loadcnt 0x0
	v_mul_f64_e32 v[22:23], s[36:37], v[22:23]
	v_fmac_f64_e32 v[22:23], s[6:7], v[20:21]
	global_store_b64 v[32:33], v[22:23], off offset:256
	global_load_b64 v[20:21], v[30:31], off offset:384
	s_wait_loadcnt 0x0
	v_mul_f64_e32 v[20:21], s[36:37], v[20:21]
	s_delay_alu instid0(VALU_DEP_1) | instskip(SKIP_1) | instid1(VALU_DEP_1)
	v_fmac_f64_e32 v[20:21], s[6:7], v[18:19]
	v_add_nc_u64_e32 v[18:19], s[12:13], v[26:27]
	v_add_nc_u64_e32 v[18:19], v[18:19], v[8:9]
	global_store_b64 v[32:33], v[20:21], off offset:384
	global_load_b64 v[20:21], v[18:19], off
	s_wait_loadcnt 0x0
	v_mul_f64_e32 v[20:21], s[36:37], v[20:21]
	s_delay_alu instid0(VALU_DEP_1) | instskip(SKIP_1) | instid1(VALU_DEP_1)
	v_fmac_f64_e32 v[20:21], s[6:7], v[16:17]
	v_add_nc_u64_e32 v[16:17], s[14:15], v[24:25]
	v_add_nc_u64_e32 v[16:17], v[16:17], v[8:9]
	global_store_b64 v[16:17], v[20:21], off
	global_load_b64 v[20:21], v[18:19], off offset:128
	s_wait_loadcnt 0x0
	v_mul_f64_e32 v[20:21], s[36:37], v[20:21]
	s_delay_alu instid0(VALU_DEP_1) | instskip(SKIP_4) | instid1(VALU_DEP_1)
	v_fmac_f64_e32 v[20:21], s[6:7], v[14:15]
	global_store_b64 v[16:17], v[20:21], off offset:128
	global_load_b64 v[14:15], v[18:19], off offset:256
	s_wait_loadcnt 0x0
	v_mul_f64_e32 v[14:15], s[36:37], v[14:15]
	v_fmac_f64_e32 v[14:15], s[6:7], v[12:13]
	global_store_b64 v[16:17], v[14:15], off offset:256
	global_load_b64 v[12:13], v[18:19], off offset:384
	s_wait_loadcnt 0x0
	v_mul_f64_e32 v[12:13], s[36:37], v[12:13]
	s_delay_alu instid0(VALU_DEP_1)
	v_fmac_f64_e32 v[12:13], s[6:7], v[10:11]
	global_store_b64 v[16:17], v[12:13], off offset:384
	s_branch .LBB280_2
.LBB280_11:
	s_sendmsg sendmsg(MSG_DEALLOC_VGPRS)
	s_endpgm
	.section	.rodata,"a",@progbits
	.p2align	6, 0x0
	.amdhsa_kernel _ZN12_GLOBAL__N_127rocblas_gemm_batched_kernelIdLi16ELi16ELi64ELi64ELi4ELi64ELi4ELi4ELi64ELc84ELc78EKdS1_dEEvlllT_PT11_llS4_llS2_PT12_llPT13_lli
		.amdhsa_group_segment_fixed_size 4096
		.amdhsa_private_segment_fixed_size 0
		.amdhsa_kernarg_size 140
		.amdhsa_user_sgpr_count 2
		.amdhsa_user_sgpr_dispatch_ptr 0
		.amdhsa_user_sgpr_queue_ptr 0
		.amdhsa_user_sgpr_kernarg_segment_ptr 1
		.amdhsa_user_sgpr_dispatch_id 0
		.amdhsa_user_sgpr_kernarg_preload_length 0
		.amdhsa_user_sgpr_kernarg_preload_offset 0
		.amdhsa_user_sgpr_private_segment_size 0
		.amdhsa_wavefront_size32 1
		.amdhsa_uses_dynamic_stack 0
		.amdhsa_enable_private_segment 0
		.amdhsa_system_sgpr_workgroup_id_x 1
		.amdhsa_system_sgpr_workgroup_id_y 1
		.amdhsa_system_sgpr_workgroup_id_z 1
		.amdhsa_system_sgpr_workgroup_info 0
		.amdhsa_system_vgpr_workitem_id 1
		.amdhsa_next_free_vgpr 94
		.amdhsa_next_free_sgpr 44
		.amdhsa_named_barrier_count 0
		.amdhsa_reserve_vcc 1
		.amdhsa_float_round_mode_32 0
		.amdhsa_float_round_mode_16_64 0
		.amdhsa_float_denorm_mode_32 3
		.amdhsa_float_denorm_mode_16_64 3
		.amdhsa_fp16_overflow 0
		.amdhsa_memory_ordered 1
		.amdhsa_forward_progress 1
		.amdhsa_inst_pref_size 18
		.amdhsa_round_robin_scheduling 0
		.amdhsa_exception_fp_ieee_invalid_op 0
		.amdhsa_exception_fp_denorm_src 0
		.amdhsa_exception_fp_ieee_div_zero 0
		.amdhsa_exception_fp_ieee_overflow 0
		.amdhsa_exception_fp_ieee_underflow 0
		.amdhsa_exception_fp_ieee_inexact 0
		.amdhsa_exception_int_div_zero 0
	.end_amdhsa_kernel
	.section	.text._ZN12_GLOBAL__N_127rocblas_gemm_batched_kernelIdLi16ELi16ELi64ELi64ELi4ELi64ELi4ELi4ELi64ELc84ELc78EKdS1_dEEvlllT_PT11_llS4_llS2_PT12_llPT13_lli,"axG",@progbits,_ZN12_GLOBAL__N_127rocblas_gemm_batched_kernelIdLi16ELi16ELi64ELi64ELi4ELi64ELi4ELi4ELi64ELc84ELc78EKdS1_dEEvlllT_PT11_llS4_llS2_PT12_llPT13_lli,comdat
.Lfunc_end280:
	.size	_ZN12_GLOBAL__N_127rocblas_gemm_batched_kernelIdLi16ELi16ELi64ELi64ELi4ELi64ELi4ELi4ELi64ELc84ELc78EKdS1_dEEvlllT_PT11_llS4_llS2_PT12_llPT13_lli, .Lfunc_end280-_ZN12_GLOBAL__N_127rocblas_gemm_batched_kernelIdLi16ELi16ELi64ELi64ELi4ELi64ELi4ELi4ELi64ELc84ELc78EKdS1_dEEvlllT_PT11_llS4_llS2_PT12_llPT13_lli
                                        ; -- End function
	.set _ZN12_GLOBAL__N_127rocblas_gemm_batched_kernelIdLi16ELi16ELi64ELi64ELi4ELi64ELi4ELi4ELi64ELc84ELc78EKdS1_dEEvlllT_PT11_llS4_llS2_PT12_llPT13_lli.num_vgpr, 94
	.set _ZN12_GLOBAL__N_127rocblas_gemm_batched_kernelIdLi16ELi16ELi64ELi64ELi4ELi64ELi4ELi4ELi64ELc84ELc78EKdS1_dEEvlllT_PT11_llS4_llS2_PT12_llPT13_lli.num_agpr, 0
	.set _ZN12_GLOBAL__N_127rocblas_gemm_batched_kernelIdLi16ELi16ELi64ELi64ELi4ELi64ELi4ELi4ELi64ELc84ELc78EKdS1_dEEvlllT_PT11_llS4_llS2_PT12_llPT13_lli.numbered_sgpr, 44
	.set _ZN12_GLOBAL__N_127rocblas_gemm_batched_kernelIdLi16ELi16ELi64ELi64ELi4ELi64ELi4ELi4ELi64ELc84ELc78EKdS1_dEEvlllT_PT11_llS4_llS2_PT12_llPT13_lli.num_named_barrier, 0
	.set _ZN12_GLOBAL__N_127rocblas_gemm_batched_kernelIdLi16ELi16ELi64ELi64ELi4ELi64ELi4ELi4ELi64ELc84ELc78EKdS1_dEEvlllT_PT11_llS4_llS2_PT12_llPT13_lli.private_seg_size, 0
	.set _ZN12_GLOBAL__N_127rocblas_gemm_batched_kernelIdLi16ELi16ELi64ELi64ELi4ELi64ELi4ELi4ELi64ELc84ELc78EKdS1_dEEvlllT_PT11_llS4_llS2_PT12_llPT13_lli.uses_vcc, 1
	.set _ZN12_GLOBAL__N_127rocblas_gemm_batched_kernelIdLi16ELi16ELi64ELi64ELi4ELi64ELi4ELi4ELi64ELc84ELc78EKdS1_dEEvlllT_PT11_llS4_llS2_PT12_llPT13_lli.uses_flat_scratch, 0
	.set _ZN12_GLOBAL__N_127rocblas_gemm_batched_kernelIdLi16ELi16ELi64ELi64ELi4ELi64ELi4ELi4ELi64ELc84ELc78EKdS1_dEEvlllT_PT11_llS4_llS2_PT12_llPT13_lli.has_dyn_sized_stack, 0
	.set _ZN12_GLOBAL__N_127rocblas_gemm_batched_kernelIdLi16ELi16ELi64ELi64ELi4ELi64ELi4ELi4ELi64ELc84ELc78EKdS1_dEEvlllT_PT11_llS4_llS2_PT12_llPT13_lli.has_recursion, 0
	.set _ZN12_GLOBAL__N_127rocblas_gemm_batched_kernelIdLi16ELi16ELi64ELi64ELi4ELi64ELi4ELi4ELi64ELc84ELc78EKdS1_dEEvlllT_PT11_llS4_llS2_PT12_llPT13_lli.has_indirect_call, 0
	.section	.AMDGPU.csdata,"",@progbits
; Kernel info:
; codeLenInByte = 2256
; TotalNumSgprs: 46
; NumVgprs: 94
; ScratchSize: 0
; MemoryBound: 0
; FloatMode: 240
; IeeeMode: 1
; LDSByteSize: 4096 bytes/workgroup (compile time only)
; SGPRBlocks: 0
; VGPRBlocks: 5
; NumSGPRsForWavesPerEU: 46
; NumVGPRsForWavesPerEU: 94
; NamedBarCnt: 0
; Occupancy: 10
; WaveLimiterHint : 1
; COMPUTE_PGM_RSRC2:SCRATCH_EN: 0
; COMPUTE_PGM_RSRC2:USER_SGPR: 2
; COMPUTE_PGM_RSRC2:TRAP_HANDLER: 0
; COMPUTE_PGM_RSRC2:TGID_X_EN: 1
; COMPUTE_PGM_RSRC2:TGID_Y_EN: 1
; COMPUTE_PGM_RSRC2:TGID_Z_EN: 1
; COMPUTE_PGM_RSRC2:TIDIG_COMP_CNT: 1
	.section	.text._ZN12_GLOBAL__N_127rocblas_gemm_batched_kernelIdLi16ELi16ELi64ELi64ELi4ELi64ELi4ELi4ELi64ELc78ELc84EKdS1_dEEvlllT_PT11_llS4_llS2_PT12_llPT13_lli,"axG",@progbits,_ZN12_GLOBAL__N_127rocblas_gemm_batched_kernelIdLi16ELi16ELi64ELi64ELi4ELi64ELi4ELi4ELi64ELc78ELc84EKdS1_dEEvlllT_PT11_llS4_llS2_PT12_llPT13_lli,comdat
	.globl	_ZN12_GLOBAL__N_127rocblas_gemm_batched_kernelIdLi16ELi16ELi64ELi64ELi4ELi64ELi4ELi4ELi64ELc78ELc84EKdS1_dEEvlllT_PT11_llS4_llS2_PT12_llPT13_lli ; -- Begin function _ZN12_GLOBAL__N_127rocblas_gemm_batched_kernelIdLi16ELi16ELi64ELi64ELi4ELi64ELi4ELi4ELi64ELc78ELc84EKdS1_dEEvlllT_PT11_llS4_llS2_PT12_llPT13_lli
	.p2align	8
	.type	_ZN12_GLOBAL__N_127rocblas_gemm_batched_kernelIdLi16ELi16ELi64ELi64ELi4ELi64ELi4ELi4ELi64ELc78ELc84EKdS1_dEEvlllT_PT11_llS4_llS2_PT12_llPT13_lli,@function
_ZN12_GLOBAL__N_127rocblas_gemm_batched_kernelIdLi16ELi16ELi64ELi64ELi4ELi64ELi4ELi4ELi64ELc78ELc84EKdS1_dEEvlllT_PT11_llS4_llS2_PT12_llPT13_lli: ; @_ZN12_GLOBAL__N_127rocblas_gemm_batched_kernelIdLi16ELi16ELi64ELi64ELi4ELi64ELi4ELi4ELi64ELc78ELc84EKdS1_dEEvlllT_PT11_llS4_llS2_PT12_llPT13_lli
; %bb.0:
	s_load_b32 s28, s[0:1], 0x88
	s_bfe_u32 s2, ttmp6, 0x40014
	s_lshr_b32 s3, ttmp7, 16
	s_add_co_i32 s2, s2, 1
	s_bfe_u32 s4, ttmp6, 0x40008
	s_mul_i32 s2, s3, s2
	s_getreg_b32 s29, hwreg(HW_REG_IB_STS2, 6, 4)
	s_add_co_i32 s4, s4, s2
	s_cmp_eq_u32 s29, 0
	s_cselect_b32 s2, s3, s4
	s_mov_b32 s3, 0
	s_wait_kmcnt 0x0
	s_cmp_ge_i32 s2, s28
	s_cbranch_scc1 .LBB281_11
; %bb.1:
	s_clause 0x1
	s_load_b512 s[4:19], s[0:1], 0x10
	s_load_b256 s[20:27], s[0:1], 0x50
	s_bfe_u32 s30, ttmp6, 0x4000c
	s_bfe_u32 s33, ttmp6, 0x40010
	s_add_co_i32 s30, s30, 1
	s_and_b32 s34, ttmp7, 0xffff
	s_add_co_i32 s33, s33, 1
	s_and_b32 s31, ttmp6, 15
	s_mul_i32 s30, ttmp9, s30
	s_mul_i32 s33, s34, s33
	s_bfe_u32 s35, ttmp6, 0x40004
	s_add_co_i32 s31, s31, s30
	s_add_co_i32 s35, s35, s33
	s_cmp_eq_u32 s29, 0
	v_bfe_u32 v2, v0, 10, 10
	v_dual_mov_b32 v3, 0 :: v_dual_bitop2_b32 v17, 3, v0 bitop3:0x40
	s_cselect_b32 s29, s34, s35
	s_load_b256 s[36:43], s[0:1], 0x70
	s_cselect_b32 s30, ttmp9, s31
	s_lshl_b32 s34, s29, 6
	s_mov_b32 s35, s3
	v_and_b32_e32 v4, 0x3ff, v0
	v_add_nc_u64_e32 v[6:7], s[34:35], v[2:3]
	v_mov_b32_e32 v9, v3
	s_ashr_i32 s31, s30, 31
	v_mov_b32_e32 v5, v3
	v_lshl_add_u32 v16, v2, 4, v4
	s_lshl_b64 s[30:31], s[30:31], 6
	s_wait_kmcnt 0x0
	v_cmp_eq_f64_e64 s1, s[20:21], 0
	v_mul_u64_e32 v[10:11], s[24:25], v[6:7]
	v_cmp_gt_i64_e64 s0, s[4:5], 0
	v_dual_lshrrev_b32 v8, 2, v16 :: v_dual_lshrrev_b32 v18, 6, v16
	v_lshlrev_b32_e32 v46, 3, v4
	v_lshl_add_u32 v47, v2, 5, 0x800
	s_lshl_b64 s[24:25], s[24:25], 4
	s_delay_alu instid0(VALU_DEP_3) | instskip(SKIP_3) | instid1(VALU_DEP_1)
	v_mad_nc_u64_u32 v[12:13], s16, v17, v[8:9]
	v_mad_nc_u64_u32 v[14:15], s10, v18, s[30:31]
	v_mul_u64_e32 v[0:1], s[38:39], v[6:7]
	v_dual_lshlrev_b32 v9, 3, v17 :: v_dual_bitop2_b32 v6, 63, v16 bitop3:0x40
	v_dual_mov_b32 v7, v3 :: v_dual_lshlrev_b32 v3, 3, v6
	s_delay_alu instid0(VALU_DEP_2)
	v_lshl_or_b32 v16, v8, 5, v9
	v_add_nc_u64_e32 v[8:9], s[30:31], v[4:5]
	v_mad_u32 v13, s17, v17, v13
	v_mad_u32 v15, s11, v18, v15
	v_lshl_or_b32 v48, v18, 9, v3
	v_add_nc_u32_e32 v49, 0x800, v16
	s_lshl_b64 s[30:31], s[38:39], 4
	s_lshl_b64 s[16:17], s[16:17], 5
	v_lshlrev_b64_e32 v[8:9], 3, v[8:9]
	s_lshl_b64 s[10:11], s[10:11], 5
	v_add_nc_u64_e32 v[4:5], s[34:35], v[12:13]
	v_add_nc_u64_e32 v[6:7], v[14:15], v[6:7]
	v_lshl_add_u64 v[2:3], v[10:11], 3, s[22:23]
	v_cndmask_b32_e64 v10, 0, 1, s0
	s_delay_alu instid0(VALU_DEP_4) | instskip(NEXT) | instid1(VALU_DEP_4)
	v_lshl_add_u64 v[4:5], v[4:5], 3, s[14:15]
	v_lshl_add_u64 v[6:7], v[6:7], 3, s[8:9]
	s_delay_alu instid0(VALU_DEP_3)
	v_cmp_ne_u32_e64 s0, 1, v10
	s_lshl_b64 s[14:15], s[18:19], 3
	s_lshl_b64 s[8:9], s[12:13], 3
	;; [unrolled: 1-line block ×4, first 2 shown]
	s_branch .LBB281_3
.LBB281_2:                              ;   in Loop: Header=BB281_3 Depth=1
	s_add_co_i32 s2, s2, 0x10000
	s_delay_alu instid0(SALU_CYCLE_1)
	s_cmp_lt_i32 s2, s28
	s_cbranch_scc0 .LBB281_11
.LBB281_3:                              ; =>This Loop Header: Depth=1
                                        ;     Child Loop BB281_5 Depth 2
	s_and_b32 vcc_lo, exec_lo, s0
	s_cbranch_vccnz .LBB281_6
; %bb.4:                                ;   in Loop: Header=BB281_3 Depth=1
	v_mad_nc_u64_u32 v[42:43], s14, s2, v[4:5]
	s_wait_xcnt 0xc
	v_mad_nc_u64_u32 v[44:45], s8, s2, v[6:7]
	v_mov_b64_e32 v[10:11], 0
	s_wait_xcnt 0x0
	v_mov_b64_e32 v[12:13], 0
	v_mov_b64_e32 v[14:15], 0
	;; [unrolled: 1-line block ×8, first 2 shown]
	v_mad_u32 v43, s15, s2, v43
	v_mad_u32 v45, s9, s2, v45
	v_mov_b64_e32 v[28:29], 0
	v_mov_b64_e32 v[30:31], 0
	;; [unrolled: 1-line block ×7, first 2 shown]
	s_mov_b64 s[22:23], 0
.LBB281_5:                              ;   Parent Loop BB281_3 Depth=1
                                        ; =>  This Inner Loop Header: Depth=2
	global_load_b64 v[50:51], v[44:45], off
	global_load_b64 v[52:53], v[42:43], off
	s_add_nc_u64 s[22:23], s[22:23], 4
	s_wait_xcnt 0x0
	v_add_nc_u64_e32 v[42:43], s[16:17], v[42:43]
	v_cmp_lt_i64_e64 s24, s[22:23], s[4:5]
	v_add_nc_u64_e32 v[44:45], s[10:11], v[44:45]
	s_wait_loadcnt 0x1
	ds_store_b64 v48, v[50:51]
	s_wait_loadcnt 0x0
	ds_store_b64 v49, v[52:53]
	s_wait_dscnt 0x0
	s_barrier_signal -1
	s_barrier_wait -1
	ds_load_b128 v[50:53], v47
	ds_load_2addr_b64 v[54:57], v46 offset1:16
	ds_load_b128 v[58:61], v47 offset:512
	ds_load_2addr_b64 v[62:65], v46 offset0:32 offset1:48
	ds_load_b128 v[66:69], v47 offset:1024
	ds_load_b128 v[70:73], v47 offset:1536
	ds_load_2addr_b64 v[74:77], v46 offset0:64 offset1:80
	ds_load_b128 v[78:81], v47 offset:16
	ds_load_b128 v[82:85], v47 offset:528
	;; [unrolled: 1-line block ×4, first 2 shown]
	s_and_b32 vcc_lo, exec_lo, s24
	s_wait_dscnt 0x9
	v_fmac_f64_e32 v[40:41], v[54:55], v[50:51]
	v_fmac_f64_e32 v[38:39], v[56:57], v[50:51]
	s_wait_dscnt 0x8
	v_fmac_f64_e32 v[32:33], v[54:55], v[58:59]
	v_fmac_f64_e32 v[30:31], v[56:57], v[58:59]
	;; [unrolled: 3-line block ×4, first 2 shown]
	v_fmac_f64_e32 v[28:29], v[62:63], v[58:59]
	v_fmac_f64_e32 v[26:27], v[64:65], v[58:59]
	s_wait_dscnt 0x5
	v_fmac_f64_e32 v[16:17], v[54:55], v[70:71]
	v_fmac_f64_e32 v[14:15], v[56:57], v[70:71]
	;; [unrolled: 1-line block ×6, first 2 shown]
	ds_load_2addr_b64 v[54:57], v46 offset0:96 offset1:112
	ds_load_2addr_b64 v[62:65], v46 offset0:128 offset1:144
	s_wait_dscnt 0x6
	v_fmac_f64_e32 v[40:41], v[74:75], v[52:53]
	v_fmac_f64_e32 v[38:39], v[76:77], v[52:53]
	;; [unrolled: 1-line block ×4, first 2 shown]
	s_wait_dscnt 0x1
	v_fmac_f64_e32 v[36:37], v[54:55], v[52:53]
	v_fmac_f64_e32 v[34:35], v[56:57], v[52:53]
	;; [unrolled: 1-line block ×12, first 2 shown]
	ds_load_2addr_b64 v[50:53], v46 offset0:160 offset1:176
	ds_load_2addr_b64 v[54:57], v46 offset0:192 offset1:208
	s_wait_dscnt 0x2
	v_fmac_f64_e32 v[40:41], v[62:63], v[78:79]
	v_fmac_f64_e32 v[38:39], v[64:65], v[78:79]
	;; [unrolled: 1-line block ×4, first 2 shown]
	s_wait_dscnt 0x1
	v_fmac_f64_e32 v[36:37], v[50:51], v[78:79]
	v_fmac_f64_e32 v[34:35], v[52:53], v[78:79]
	;; [unrolled: 1-line block ×12, first 2 shown]
	ds_load_2addr_b64 v[50:53], v46 offset0:224 offset1:240
	s_wait_dscnt 0x0
	s_barrier_signal -1
	s_barrier_wait -1
	v_fmac_f64_e32 v[40:41], v[54:55], v[80:81]
	v_fmac_f64_e32 v[38:39], v[56:57], v[80:81]
	;; [unrolled: 1-line block ×16, first 2 shown]
	s_cbranch_vccnz .LBB281_5
	s_branch .LBB281_7
.LBB281_6:                              ;   in Loop: Header=BB281_3 Depth=1
	v_mov_b64_e32 v[40:41], 0
	v_mov_b64_e32 v[38:39], 0
	;; [unrolled: 1-line block ×10, first 2 shown]
	s_wait_xcnt 0x4
	v_mov_b64_e32 v[20:21], 0
	s_wait_xcnt 0x1
	v_mov_b64_e32 v[18:19], 0
	;; [unrolled: 2-line block ×3, first 2 shown]
	v_mov_b64_e32 v[14:15], 0
	v_mov_b64_e32 v[12:13], 0
	;; [unrolled: 1-line block ×3, first 2 shown]
.LBB281_7:                              ;   in Loop: Header=BB281_3 Depth=1
	s_mul_u64 s[22:23], s[40:41], s[2:3]
	s_and_not1_b32 vcc_lo, exec_lo, s1
	s_lshl_b64 s[22:23], s[22:23], 3
	s_delay_alu instid0(SALU_CYCLE_1) | instskip(NEXT) | instid1(SALU_CYCLE_1)
	s_add_nc_u64 s[22:23], s[36:37], s[22:23]
	v_lshl_add_u64 v[42:43], v[0:1], 3, s[22:23]
	s_delay_alu instid0(VALU_DEP_1)
	v_add_nc_u64_e32 v[44:45], v[42:43], v[8:9]
	v_add_nc_u64_e32 v[42:43], s[18:19], v[42:43]
	s_cbranch_vccnz .LBB281_9
; %bb.8:                                ;   in Loop: Header=BB281_3 Depth=1
	v_mul_f64_e32 v[50:51], s[6:7], v[40:41]
	v_mul_f64_e32 v[74:75], s[6:7], v[16:17]
	;; [unrolled: 1-line block ×16, first 2 shown]
	v_add_nc_u64_e32 v[82:83], s[18:19], v[42:43]
	v_add_nc_u64_e32 v[86:87], v[42:43], v[8:9]
	s_delay_alu instid0(VALU_DEP_2)
	v_add_nc_u64_e32 v[84:85], s[18:19], v[82:83]
	v_add_nc_u64_e32 v[82:83], v[82:83], v[8:9]
	s_clause 0xb
	global_store_b64 v[44:45], v[50:51], off
	global_store_b64 v[44:45], v[52:53], off offset:128
	global_store_b64 v[44:45], v[54:55], off offset:256
	global_store_b64 v[44:45], v[56:57], off offset:384
	global_store_b64 v[86:87], v[58:59], off
	global_store_b64 v[86:87], v[60:61], off offset:128
	global_store_b64 v[86:87], v[62:63], off offset:256
	global_store_b64 v[86:87], v[64:65], off offset:384
	;; [unrolled: 4-line block ×3, first 2 shown]
	v_add_nc_u64_e32 v[84:85], v[84:85], v[8:9]
	s_clause 0x3
	global_store_b64 v[84:85], v[74:75], off
	global_store_b64 v[84:85], v[76:77], off offset:128
	global_store_b64 v[84:85], v[78:79], off offset:256
	;; [unrolled: 1-line block ×3, first 2 shown]
	s_cbranch_execnz .LBB281_2
	s_branch .LBB281_10
.LBB281_9:                              ;   in Loop: Header=BB281_3 Depth=1
.LBB281_10:                             ;   in Loop: Header=BB281_3 Depth=1
	s_mul_u64 s[22:23], s[26:27], s[2:3]
	s_wait_xcnt 0xf
	v_lshl_add_u64 v[50:51], s[22:23], 3, v[2:3]
	s_wait_xcnt 0xe
	s_delay_alu instid0(VALU_DEP_1) | instskip(SKIP_3) | instid1(VALU_DEP_1)
	v_add_nc_u64_e32 v[52:53], v[50:51], v[8:9]
	global_load_b64 v[54:55], v[52:53], off
	s_wait_loadcnt 0x0
	v_mul_f64_e32 v[54:55], s[20:21], v[54:55]
	v_fmac_f64_e32 v[54:55], s[6:7], v[40:41]
	global_store_b64 v[44:45], v[54:55], off
	global_load_b64 v[40:41], v[52:53], off offset:128
	s_wait_loadcnt 0x0
	v_mul_f64_e32 v[40:41], s[20:21], v[40:41]
	s_delay_alu instid0(VALU_DEP_1) | instskip(SKIP_4) | instid1(VALU_DEP_1)
	v_fmac_f64_e32 v[40:41], s[6:7], v[38:39]
	global_store_b64 v[44:45], v[40:41], off offset:128
	global_load_b64 v[38:39], v[52:53], off offset:256
	s_wait_loadcnt 0x0
	v_mul_f64_e32 v[38:39], s[20:21], v[38:39]
	v_fmac_f64_e32 v[38:39], s[6:7], v[36:37]
	global_store_b64 v[44:45], v[38:39], off offset:256
	global_load_b64 v[36:37], v[52:53], off offset:384
	s_wait_loadcnt 0x0
	v_mul_f64_e32 v[36:37], s[20:21], v[36:37]
	s_delay_alu instid0(VALU_DEP_1) | instskip(SKIP_2) | instid1(VALU_DEP_1)
	v_fmac_f64_e32 v[36:37], s[6:7], v[34:35]
	v_add_nc_u64_e32 v[34:35], s[12:13], v[50:51]
	s_wait_xcnt 0x1
	v_add_nc_u64_e32 v[38:39], v[34:35], v[8:9]
	global_store_b64 v[44:45], v[36:37], off offset:384
	global_load_b64 v[36:37], v[38:39], off
	s_wait_loadcnt 0x0
	v_mul_f64_e32 v[36:37], s[20:21], v[36:37]
	s_delay_alu instid0(VALU_DEP_1)
	v_fmac_f64_e32 v[36:37], s[6:7], v[32:33]
	v_add_nc_u64_e32 v[32:33], v[42:43], v[8:9]
	global_store_b64 v[32:33], v[36:37], off
	global_load_b64 v[36:37], v[38:39], off offset:128
	s_wait_loadcnt 0x0
	v_mul_f64_e32 v[36:37], s[20:21], v[36:37]
	s_delay_alu instid0(VALU_DEP_1) | instskip(SKIP_4) | instid1(VALU_DEP_1)
	v_fmac_f64_e32 v[36:37], s[6:7], v[30:31]
	global_store_b64 v[32:33], v[36:37], off offset:128
	global_load_b64 v[30:31], v[38:39], off offset:256
	s_wait_loadcnt 0x0
	v_mul_f64_e32 v[30:31], s[20:21], v[30:31]
	v_fmac_f64_e32 v[30:31], s[6:7], v[28:29]
	global_store_b64 v[32:33], v[30:31], off offset:256
	global_load_b64 v[28:29], v[38:39], off offset:384
	s_wait_loadcnt 0x0
	v_mul_f64_e32 v[28:29], s[20:21], v[28:29]
	s_delay_alu instid0(VALU_DEP_1) | instskip(SKIP_2) | instid1(VALU_DEP_1)
	v_fmac_f64_e32 v[28:29], s[6:7], v[26:27]
	v_add_nc_u64_e32 v[26:27], s[12:13], v[34:35]
	s_wait_xcnt 0x1
	v_add_nc_u64_e32 v[30:31], v[26:27], v[8:9]
	global_store_b64 v[32:33], v[28:29], off offset:384
	global_load_b64 v[28:29], v[30:31], off
	s_wait_loadcnt 0x0
	v_mul_f64_e32 v[28:29], s[20:21], v[28:29]
	s_delay_alu instid0(VALU_DEP_1) | instskip(SKIP_1) | instid1(VALU_DEP_1)
	v_fmac_f64_e32 v[28:29], s[6:7], v[24:25]
	v_add_nc_u64_e32 v[24:25], s[18:19], v[42:43]
	v_add_nc_u64_e32 v[32:33], v[24:25], v[8:9]
	global_store_b64 v[32:33], v[28:29], off
	global_load_b64 v[28:29], v[30:31], off offset:128
	s_wait_loadcnt 0x0
	v_mul_f64_e32 v[28:29], s[20:21], v[28:29]
	s_delay_alu instid0(VALU_DEP_1) | instskip(SKIP_4) | instid1(VALU_DEP_1)
	v_fmac_f64_e32 v[28:29], s[6:7], v[22:23]
	global_store_b64 v[32:33], v[28:29], off offset:128
	global_load_b64 v[22:23], v[30:31], off offset:256
	s_wait_loadcnt 0x0
	v_mul_f64_e32 v[22:23], s[20:21], v[22:23]
	v_fmac_f64_e32 v[22:23], s[6:7], v[20:21]
	global_store_b64 v[32:33], v[22:23], off offset:256
	global_load_b64 v[20:21], v[30:31], off offset:384
	s_wait_loadcnt 0x0
	v_mul_f64_e32 v[20:21], s[20:21], v[20:21]
	s_delay_alu instid0(VALU_DEP_1) | instskip(SKIP_1) | instid1(VALU_DEP_1)
	v_fmac_f64_e32 v[20:21], s[6:7], v[18:19]
	v_add_nc_u64_e32 v[18:19], s[12:13], v[26:27]
	v_add_nc_u64_e32 v[18:19], v[18:19], v[8:9]
	global_store_b64 v[32:33], v[20:21], off offset:384
	global_load_b64 v[20:21], v[18:19], off
	s_wait_loadcnt 0x0
	v_mul_f64_e32 v[20:21], s[20:21], v[20:21]
	s_delay_alu instid0(VALU_DEP_1) | instskip(SKIP_1) | instid1(VALU_DEP_1)
	v_fmac_f64_e32 v[20:21], s[6:7], v[16:17]
	v_add_nc_u64_e32 v[16:17], s[18:19], v[24:25]
	v_add_nc_u64_e32 v[16:17], v[16:17], v[8:9]
	global_store_b64 v[16:17], v[20:21], off
	global_load_b64 v[20:21], v[18:19], off offset:128
	s_wait_loadcnt 0x0
	v_mul_f64_e32 v[20:21], s[20:21], v[20:21]
	s_delay_alu instid0(VALU_DEP_1) | instskip(SKIP_4) | instid1(VALU_DEP_1)
	v_fmac_f64_e32 v[20:21], s[6:7], v[14:15]
	global_store_b64 v[16:17], v[20:21], off offset:128
	global_load_b64 v[14:15], v[18:19], off offset:256
	s_wait_loadcnt 0x0
	v_mul_f64_e32 v[14:15], s[20:21], v[14:15]
	v_fmac_f64_e32 v[14:15], s[6:7], v[12:13]
	global_store_b64 v[16:17], v[14:15], off offset:256
	global_load_b64 v[12:13], v[18:19], off offset:384
	s_wait_loadcnt 0x0
	v_mul_f64_e32 v[12:13], s[20:21], v[12:13]
	s_delay_alu instid0(VALU_DEP_1)
	v_fmac_f64_e32 v[12:13], s[6:7], v[10:11]
	global_store_b64 v[16:17], v[12:13], off offset:384
	s_branch .LBB281_2
.LBB281_11:
	s_sendmsg sendmsg(MSG_DEALLOC_VGPRS)
	s_endpgm
	.section	.rodata,"a",@progbits
	.p2align	6, 0x0
	.amdhsa_kernel _ZN12_GLOBAL__N_127rocblas_gemm_batched_kernelIdLi16ELi16ELi64ELi64ELi4ELi64ELi4ELi4ELi64ELc78ELc84EKdS1_dEEvlllT_PT11_llS4_llS2_PT12_llPT13_lli
		.amdhsa_group_segment_fixed_size 4096
		.amdhsa_private_segment_fixed_size 0
		.amdhsa_kernarg_size 140
		.amdhsa_user_sgpr_count 2
		.amdhsa_user_sgpr_dispatch_ptr 0
		.amdhsa_user_sgpr_queue_ptr 0
		.amdhsa_user_sgpr_kernarg_segment_ptr 1
		.amdhsa_user_sgpr_dispatch_id 0
		.amdhsa_user_sgpr_kernarg_preload_length 0
		.amdhsa_user_sgpr_kernarg_preload_offset 0
		.amdhsa_user_sgpr_private_segment_size 0
		.amdhsa_wavefront_size32 1
		.amdhsa_uses_dynamic_stack 0
		.amdhsa_enable_private_segment 0
		.amdhsa_system_sgpr_workgroup_id_x 1
		.amdhsa_system_sgpr_workgroup_id_y 1
		.amdhsa_system_sgpr_workgroup_id_z 1
		.amdhsa_system_sgpr_workgroup_info 0
		.amdhsa_system_vgpr_workitem_id 1
		.amdhsa_next_free_vgpr 94
		.amdhsa_next_free_sgpr 44
		.amdhsa_named_barrier_count 0
		.amdhsa_reserve_vcc 1
		.amdhsa_float_round_mode_32 0
		.amdhsa_float_round_mode_16_64 0
		.amdhsa_float_denorm_mode_32 3
		.amdhsa_float_denorm_mode_16_64 3
		.amdhsa_fp16_overflow 0
		.amdhsa_memory_ordered 1
		.amdhsa_forward_progress 1
		.amdhsa_inst_pref_size 18
		.amdhsa_round_robin_scheduling 0
		.amdhsa_exception_fp_ieee_invalid_op 0
		.amdhsa_exception_fp_denorm_src 0
		.amdhsa_exception_fp_ieee_div_zero 0
		.amdhsa_exception_fp_ieee_overflow 0
		.amdhsa_exception_fp_ieee_underflow 0
		.amdhsa_exception_fp_ieee_inexact 0
		.amdhsa_exception_int_div_zero 0
	.end_amdhsa_kernel
	.section	.text._ZN12_GLOBAL__N_127rocblas_gemm_batched_kernelIdLi16ELi16ELi64ELi64ELi4ELi64ELi4ELi4ELi64ELc78ELc84EKdS1_dEEvlllT_PT11_llS4_llS2_PT12_llPT13_lli,"axG",@progbits,_ZN12_GLOBAL__N_127rocblas_gemm_batched_kernelIdLi16ELi16ELi64ELi64ELi4ELi64ELi4ELi4ELi64ELc78ELc84EKdS1_dEEvlllT_PT11_llS4_llS2_PT12_llPT13_lli,comdat
.Lfunc_end281:
	.size	_ZN12_GLOBAL__N_127rocblas_gemm_batched_kernelIdLi16ELi16ELi64ELi64ELi4ELi64ELi4ELi4ELi64ELc78ELc84EKdS1_dEEvlllT_PT11_llS4_llS2_PT12_llPT13_lli, .Lfunc_end281-_ZN12_GLOBAL__N_127rocblas_gemm_batched_kernelIdLi16ELi16ELi64ELi64ELi4ELi64ELi4ELi4ELi64ELc78ELc84EKdS1_dEEvlllT_PT11_llS4_llS2_PT12_llPT13_lli
                                        ; -- End function
	.set _ZN12_GLOBAL__N_127rocblas_gemm_batched_kernelIdLi16ELi16ELi64ELi64ELi4ELi64ELi4ELi4ELi64ELc78ELc84EKdS1_dEEvlllT_PT11_llS4_llS2_PT12_llPT13_lli.num_vgpr, 94
	.set _ZN12_GLOBAL__N_127rocblas_gemm_batched_kernelIdLi16ELi16ELi64ELi64ELi4ELi64ELi4ELi4ELi64ELc78ELc84EKdS1_dEEvlllT_PT11_llS4_llS2_PT12_llPT13_lli.num_agpr, 0
	.set _ZN12_GLOBAL__N_127rocblas_gemm_batched_kernelIdLi16ELi16ELi64ELi64ELi4ELi64ELi4ELi4ELi64ELc78ELc84EKdS1_dEEvlllT_PT11_llS4_llS2_PT12_llPT13_lli.numbered_sgpr, 44
	.set _ZN12_GLOBAL__N_127rocblas_gemm_batched_kernelIdLi16ELi16ELi64ELi64ELi4ELi64ELi4ELi4ELi64ELc78ELc84EKdS1_dEEvlllT_PT11_llS4_llS2_PT12_llPT13_lli.num_named_barrier, 0
	.set _ZN12_GLOBAL__N_127rocblas_gemm_batched_kernelIdLi16ELi16ELi64ELi64ELi4ELi64ELi4ELi4ELi64ELc78ELc84EKdS1_dEEvlllT_PT11_llS4_llS2_PT12_llPT13_lli.private_seg_size, 0
	.set _ZN12_GLOBAL__N_127rocblas_gemm_batched_kernelIdLi16ELi16ELi64ELi64ELi4ELi64ELi4ELi4ELi64ELc78ELc84EKdS1_dEEvlllT_PT11_llS4_llS2_PT12_llPT13_lli.uses_vcc, 1
	.set _ZN12_GLOBAL__N_127rocblas_gemm_batched_kernelIdLi16ELi16ELi64ELi64ELi4ELi64ELi4ELi4ELi64ELc78ELc84EKdS1_dEEvlllT_PT11_llS4_llS2_PT12_llPT13_lli.uses_flat_scratch, 0
	.set _ZN12_GLOBAL__N_127rocblas_gemm_batched_kernelIdLi16ELi16ELi64ELi64ELi4ELi64ELi4ELi4ELi64ELc78ELc84EKdS1_dEEvlllT_PT11_llS4_llS2_PT12_llPT13_lli.has_dyn_sized_stack, 0
	.set _ZN12_GLOBAL__N_127rocblas_gemm_batched_kernelIdLi16ELi16ELi64ELi64ELi4ELi64ELi4ELi4ELi64ELc78ELc84EKdS1_dEEvlllT_PT11_llS4_llS2_PT12_llPT13_lli.has_recursion, 0
	.set _ZN12_GLOBAL__N_127rocblas_gemm_batched_kernelIdLi16ELi16ELi64ELi64ELi4ELi64ELi4ELi4ELi64ELc78ELc84EKdS1_dEEvlllT_PT11_llS4_llS2_PT12_llPT13_lli.has_indirect_call, 0
	.section	.AMDGPU.csdata,"",@progbits
; Kernel info:
; codeLenInByte = 2268
; TotalNumSgprs: 46
; NumVgprs: 94
; ScratchSize: 0
; MemoryBound: 0
; FloatMode: 240
; IeeeMode: 1
; LDSByteSize: 4096 bytes/workgroup (compile time only)
; SGPRBlocks: 0
; VGPRBlocks: 5
; NumSGPRsForWavesPerEU: 46
; NumVGPRsForWavesPerEU: 94
; NamedBarCnt: 0
; Occupancy: 10
; WaveLimiterHint : 1
; COMPUTE_PGM_RSRC2:SCRATCH_EN: 0
; COMPUTE_PGM_RSRC2:USER_SGPR: 2
; COMPUTE_PGM_RSRC2:TRAP_HANDLER: 0
; COMPUTE_PGM_RSRC2:TGID_X_EN: 1
; COMPUTE_PGM_RSRC2:TGID_Y_EN: 1
; COMPUTE_PGM_RSRC2:TGID_Z_EN: 1
; COMPUTE_PGM_RSRC2:TIDIG_COMP_CNT: 1
	.section	.text._ZN12_GLOBAL__N_127rocblas_gemm_batched_kernelIdLi16ELi16ELi64ELi64ELi4ELi64ELi4ELi4ELi64ELc84ELc84EKdS1_dEEvlllT_PT11_llS4_llS2_PT12_llPT13_lli,"axG",@progbits,_ZN12_GLOBAL__N_127rocblas_gemm_batched_kernelIdLi16ELi16ELi64ELi64ELi4ELi64ELi4ELi4ELi64ELc84ELc84EKdS1_dEEvlllT_PT11_llS4_llS2_PT12_llPT13_lli,comdat
	.globl	_ZN12_GLOBAL__N_127rocblas_gemm_batched_kernelIdLi16ELi16ELi64ELi64ELi4ELi64ELi4ELi4ELi64ELc84ELc84EKdS1_dEEvlllT_PT11_llS4_llS2_PT12_llPT13_lli ; -- Begin function _ZN12_GLOBAL__N_127rocblas_gemm_batched_kernelIdLi16ELi16ELi64ELi64ELi4ELi64ELi4ELi4ELi64ELc84ELc84EKdS1_dEEvlllT_PT11_llS4_llS2_PT12_llPT13_lli
	.p2align	8
	.type	_ZN12_GLOBAL__N_127rocblas_gemm_batched_kernelIdLi16ELi16ELi64ELi64ELi4ELi64ELi4ELi4ELi64ELc84ELc84EKdS1_dEEvlllT_PT11_llS4_llS2_PT12_llPT13_lli,@function
_ZN12_GLOBAL__N_127rocblas_gemm_batched_kernelIdLi16ELi16ELi64ELi64ELi4ELi64ELi4ELi4ELi64ELc84ELc84EKdS1_dEEvlllT_PT11_llS4_llS2_PT12_llPT13_lli: ; @_ZN12_GLOBAL__N_127rocblas_gemm_batched_kernelIdLi16ELi16ELi64ELi64ELi4ELi64ELi4ELi4ELi64ELc84ELc84EKdS1_dEEvlllT_PT11_llS4_llS2_PT12_llPT13_lli
; %bb.0:
	s_load_b32 s28, s[0:1], 0x88
	s_bfe_u32 s2, ttmp6, 0x40014
	s_lshr_b32 s3, ttmp7, 16
	s_add_co_i32 s2, s2, 1
	s_bfe_u32 s4, ttmp6, 0x40008
	s_mul_i32 s2, s3, s2
	s_getreg_b32 s29, hwreg(HW_REG_IB_STS2, 6, 4)
	s_add_co_i32 s4, s4, s2
	s_cmp_eq_u32 s29, 0
	s_cselect_b32 s2, s3, s4
	s_mov_b32 s3, 0
	s_wait_kmcnt 0x0
	s_cmp_ge_i32 s2, s28
	s_cbranch_scc1 .LBB282_11
; %bb.1:
	v_bfe_u32 v4, v0, 10, 10
	v_and_b32_e32 v2, 0x3ff, v0
	s_bfe_u32 s30, ttmp6, 0x4000c
	s_bfe_u32 s33, ttmp6, 0x40010
	s_clause 0x1
	s_load_b512 s[4:19], s[0:1], 0x10
	s_load_b256 s[20:27], s[0:1], 0x50
	s_add_co_i32 s30, s30, 1
	s_and_b32 s34, ttmp7, 0xffff
	s_add_co_i32 s33, s33, 1
	s_and_b32 s31, ttmp6, 15
	s_mul_i32 s30, ttmp9, s30
	s_mul_i32 s33, s34, s33
	s_bfe_u32 s35, ttmp6, 0x40004
	v_lshl_add_u32 v16, v4, 4, v2
	s_add_co_i32 s31, s31, s30
	s_add_co_i32 s35, s35, s33
	s_cmp_eq_u32 s29, 0
	s_delay_alu instid0(VALU_DEP_1)
	v_dual_mov_b32 v5, 0 :: v_dual_bitop2_b32 v17, 63, v16 bitop3:0x40
	s_cselect_b32 s30, ttmp9, s31
	s_cselect_b32 s29, s34, s35
	s_ashr_i32 s31, s30, 31
	s_load_b256 s[36:43], s[0:1], 0x70
	s_lshl_b32 s34, s29, 6
	s_mov_b32 s35, s3
	s_lshl_b64 s[30:31], s[30:31], 6
	v_add_nc_u64_e32 v[6:7], s[34:35], v[4:5]
	v_dual_mov_b32 v9, s31 :: v_dual_bitop2_b32 v8, s30, v17 bitop3:0x54
	v_dual_mov_b32 v11, v5 :: v_dual_bitop2_b32 v18, 3, v0 bitop3:0x40
	v_dual_mov_b32 v3, v5 :: v_dual_lshrrev_b32 v10, 2, v16
	s_wait_kmcnt 0x0
	s_delay_alu instid0(VALU_DEP_3)
	v_mul_u64_e32 v[8:9], s[10:11], v[8:9]
	v_mul_u64_e32 v[12:13], s[24:25], v[6:7]
	v_cmp_eq_f64_e64 s1, s[20:21], 0
	v_mad_nc_u64_u32 v[14:15], s16, v18, v[10:11]
	v_lshrrev_b32_e32 v16, 6, v16
	v_lshl_add_u32 v47, v4, 5, 0x800
	v_cmp_gt_i64_e64 s0, s[4:5], 0
	v_dual_lshlrev_b32 v46, 3, v2 :: v_dual_lshlrev_b32 v17, 3, v17
	v_mul_u64_e32 v[0:1], s[38:39], v[6:7]
	v_dual_lshlrev_b32 v6, 3, v18 :: v_dual_lshlrev_b32 v4, 3, v16
	s_lshl_b64 s[24:25], s[24:25], 4
	s_delay_alu instid0(VALU_DEP_3) | instskip(SKIP_1) | instid1(VALU_DEP_3)
	v_lshl_or_b32 v48, v16, 9, v17
	v_mad_u32 v15, s17, v18, v15
	v_lshl_or_b32 v18, v10, 5, v6
	v_add_nc_u64_e32 v[10:11], s[30:31], v[2:3]
	s_lshl_b64 s[30:31], s[38:39], 4
	s_lshl_b64 s[10:11], s[18:19], 3
	;; [unrolled: 1-line block ×3, first 2 shown]
	v_add_nc_u32_e32 v49, 0x800, v18
	s_delay_alu instid0(VALU_DEP_4) | instskip(SKIP_3) | instid1(VALU_DEP_4)
	v_add_nc_u64_e32 v[6:7], s[34:35], v[14:15]
	v_lshl_add_u64 v[8:9], v[8:9], 3, v[4:5]
	v_lshl_add_u64 v[2:3], v[12:13], 3, s[22:23]
	v_cndmask_b32_e64 v12, 0, 1, s0
	v_lshl_add_u64 v[4:5], v[6:7], 3, s[14:15]
	s_lshl_b64 s[14:15], s[24:25], 3
	v_add_nc_u64_e32 v[6:7], s[8:9], v[8:9]
	v_lshlrev_b64_e32 v[8:9], 3, v[10:11]
	v_cmp_ne_u32_e64 s0, 1, v12
	s_lshl_b64 s[8:9], s[16:17], 5
	s_lshl_b64 s[16:17], s[30:31], 3
	s_branch .LBB282_3
.LBB282_2:                              ;   in Loop: Header=BB282_3 Depth=1
	s_add_co_i32 s2, s2, 0x10000
	s_delay_alu instid0(SALU_CYCLE_1)
	s_cmp_lt_i32 s2, s28
	s_cbranch_scc0 .LBB282_11
.LBB282_3:                              ; =>This Loop Header: Depth=1
                                        ;     Child Loop BB282_5 Depth 2
	s_and_b32 vcc_lo, exec_lo, s0
	s_cbranch_vccnz .LBB282_6
; %bb.4:                                ;   in Loop: Header=BB282_3 Depth=1
	v_mad_nc_u64_u32 v[42:43], s10, s2, v[4:5]
	s_wait_xcnt 0xc
	v_mad_nc_u64_u32 v[44:45], s12, s2, v[6:7]
	v_mov_b64_e32 v[10:11], 0
	s_wait_xcnt 0x0
	v_mov_b64_e32 v[12:13], 0
	v_mov_b64_e32 v[14:15], 0
	;; [unrolled: 1-line block ×8, first 2 shown]
	v_mad_u32 v43, s11, s2, v43
	v_mad_u32 v45, s13, s2, v45
	v_mov_b64_e32 v[28:29], 0
	v_mov_b64_e32 v[30:31], 0
	;; [unrolled: 1-line block ×7, first 2 shown]
	s_mov_b64 s[18:19], 0
.LBB282_5:                              ;   Parent Loop BB282_3 Depth=1
                                        ; =>  This Inner Loop Header: Depth=2
	global_load_b64 v[50:51], v[44:45], off
	global_load_b64 v[52:53], v[42:43], off
	s_add_nc_u64 s[18:19], s[18:19], 4
	s_wait_xcnt 0x0
	v_add_nc_u64_e32 v[42:43], s[8:9], v[42:43]
	v_cmp_lt_i64_e64 s22, s[18:19], s[4:5]
	v_add_nc_u64_e32 v[44:45], 32, v[44:45]
	s_wait_loadcnt 0x1
	ds_store_b64 v48, v[50:51]
	s_wait_loadcnt 0x0
	ds_store_b64 v49, v[52:53]
	s_wait_dscnt 0x0
	s_barrier_signal -1
	s_barrier_wait -1
	ds_load_b128 v[50:53], v47
	ds_load_2addr_b64 v[54:57], v46 offset1:16
	ds_load_b128 v[58:61], v47 offset:512
	ds_load_2addr_b64 v[62:65], v46 offset0:32 offset1:48
	ds_load_b128 v[66:69], v47 offset:1024
	ds_load_b128 v[70:73], v47 offset:1536
	ds_load_2addr_b64 v[74:77], v46 offset0:64 offset1:80
	ds_load_b128 v[78:81], v47 offset:16
	ds_load_b128 v[82:85], v47 offset:528
	;; [unrolled: 1-line block ×4, first 2 shown]
	s_and_b32 vcc_lo, exec_lo, s22
	s_wait_dscnt 0x9
	v_fmac_f64_e32 v[40:41], v[54:55], v[50:51]
	v_fmac_f64_e32 v[38:39], v[56:57], v[50:51]
	s_wait_dscnt 0x8
	v_fmac_f64_e32 v[32:33], v[54:55], v[58:59]
	v_fmac_f64_e32 v[30:31], v[56:57], v[58:59]
	;; [unrolled: 3-line block ×4, first 2 shown]
	v_fmac_f64_e32 v[28:29], v[62:63], v[58:59]
	v_fmac_f64_e32 v[26:27], v[64:65], v[58:59]
	s_wait_dscnt 0x5
	v_fmac_f64_e32 v[16:17], v[54:55], v[70:71]
	v_fmac_f64_e32 v[14:15], v[56:57], v[70:71]
	v_fmac_f64_e32 v[20:21], v[62:63], v[66:67]
	v_fmac_f64_e32 v[18:19], v[64:65], v[66:67]
	v_fmac_f64_e32 v[12:13], v[62:63], v[70:71]
	v_fmac_f64_e32 v[10:11], v[64:65], v[70:71]
	ds_load_2addr_b64 v[54:57], v46 offset0:96 offset1:112
	ds_load_2addr_b64 v[62:65], v46 offset0:128 offset1:144
	s_wait_dscnt 0x6
	v_fmac_f64_e32 v[40:41], v[74:75], v[52:53]
	v_fmac_f64_e32 v[38:39], v[76:77], v[52:53]
	;; [unrolled: 1-line block ×4, first 2 shown]
	s_wait_dscnt 0x1
	v_fmac_f64_e32 v[36:37], v[54:55], v[52:53]
	v_fmac_f64_e32 v[34:35], v[56:57], v[52:53]
	;; [unrolled: 1-line block ×12, first 2 shown]
	ds_load_2addr_b64 v[50:53], v46 offset0:160 offset1:176
	ds_load_2addr_b64 v[54:57], v46 offset0:192 offset1:208
	s_wait_dscnt 0x2
	v_fmac_f64_e32 v[40:41], v[62:63], v[78:79]
	v_fmac_f64_e32 v[38:39], v[64:65], v[78:79]
	;; [unrolled: 1-line block ×4, first 2 shown]
	s_wait_dscnt 0x1
	v_fmac_f64_e32 v[36:37], v[50:51], v[78:79]
	v_fmac_f64_e32 v[34:35], v[52:53], v[78:79]
	v_fmac_f64_e32 v[24:25], v[62:63], v[86:87]
	v_fmac_f64_e32 v[22:23], v[64:65], v[86:87]
	v_fmac_f64_e32 v[28:29], v[50:51], v[82:83]
	v_fmac_f64_e32 v[26:27], v[52:53], v[82:83]
	v_fmac_f64_e32 v[16:17], v[62:63], v[90:91]
	v_fmac_f64_e32 v[14:15], v[64:65], v[90:91]
	v_fmac_f64_e32 v[20:21], v[50:51], v[86:87]
	v_fmac_f64_e32 v[18:19], v[52:53], v[86:87]
	v_fmac_f64_e32 v[12:13], v[50:51], v[90:91]
	v_fmac_f64_e32 v[10:11], v[52:53], v[90:91]
	ds_load_2addr_b64 v[50:53], v46 offset0:224 offset1:240
	s_wait_dscnt 0x0
	s_barrier_signal -1
	s_barrier_wait -1
	v_fmac_f64_e32 v[40:41], v[54:55], v[80:81]
	v_fmac_f64_e32 v[38:39], v[56:57], v[80:81]
	;; [unrolled: 1-line block ×16, first 2 shown]
	s_cbranch_vccnz .LBB282_5
	s_branch .LBB282_7
.LBB282_6:                              ;   in Loop: Header=BB282_3 Depth=1
	v_mov_b64_e32 v[40:41], 0
	v_mov_b64_e32 v[38:39], 0
	;; [unrolled: 1-line block ×10, first 2 shown]
	s_wait_xcnt 0x4
	v_mov_b64_e32 v[20:21], 0
	s_wait_xcnt 0x1
	v_mov_b64_e32 v[18:19], 0
	s_wait_xcnt 0x0
	v_mov_b64_e32 v[16:17], 0
	v_mov_b64_e32 v[14:15], 0
	v_mov_b64_e32 v[12:13], 0
	;; [unrolled: 1-line block ×3, first 2 shown]
.LBB282_7:                              ;   in Loop: Header=BB282_3 Depth=1
	s_mul_u64 s[18:19], s[40:41], s[2:3]
	s_and_not1_b32 vcc_lo, exec_lo, s1
	s_lshl_b64 s[18:19], s[18:19], 3
	s_delay_alu instid0(SALU_CYCLE_1) | instskip(NEXT) | instid1(SALU_CYCLE_1)
	s_add_nc_u64 s[18:19], s[36:37], s[18:19]
	v_lshl_add_u64 v[42:43], v[0:1], 3, s[18:19]
	s_delay_alu instid0(VALU_DEP_1)
	v_add_nc_u64_e32 v[44:45], v[42:43], v[8:9]
	v_add_nc_u64_e32 v[42:43], s[16:17], v[42:43]
	s_cbranch_vccnz .LBB282_9
; %bb.8:                                ;   in Loop: Header=BB282_3 Depth=1
	v_mul_f64_e32 v[50:51], s[6:7], v[40:41]
	v_mul_f64_e32 v[74:75], s[6:7], v[16:17]
	;; [unrolled: 1-line block ×16, first 2 shown]
	v_add_nc_u64_e32 v[82:83], s[16:17], v[42:43]
	v_add_nc_u64_e32 v[86:87], v[42:43], v[8:9]
	s_delay_alu instid0(VALU_DEP_2)
	v_add_nc_u64_e32 v[84:85], s[16:17], v[82:83]
	v_add_nc_u64_e32 v[82:83], v[82:83], v[8:9]
	s_clause 0xb
	global_store_b64 v[44:45], v[50:51], off
	global_store_b64 v[44:45], v[52:53], off offset:128
	global_store_b64 v[44:45], v[54:55], off offset:256
	global_store_b64 v[44:45], v[56:57], off offset:384
	global_store_b64 v[86:87], v[58:59], off
	global_store_b64 v[86:87], v[60:61], off offset:128
	global_store_b64 v[86:87], v[62:63], off offset:256
	global_store_b64 v[86:87], v[64:65], off offset:384
	;; [unrolled: 4-line block ×3, first 2 shown]
	v_add_nc_u64_e32 v[84:85], v[84:85], v[8:9]
	s_clause 0x3
	global_store_b64 v[84:85], v[74:75], off
	global_store_b64 v[84:85], v[76:77], off offset:128
	global_store_b64 v[84:85], v[78:79], off offset:256
	;; [unrolled: 1-line block ×3, first 2 shown]
	s_cbranch_execnz .LBB282_2
	s_branch .LBB282_10
.LBB282_9:                              ;   in Loop: Header=BB282_3 Depth=1
.LBB282_10:                             ;   in Loop: Header=BB282_3 Depth=1
	s_mul_u64 s[18:19], s[26:27], s[2:3]
	s_wait_xcnt 0xf
	v_lshl_add_u64 v[50:51], s[18:19], 3, v[2:3]
	s_wait_xcnt 0xe
	s_delay_alu instid0(VALU_DEP_1) | instskip(SKIP_3) | instid1(VALU_DEP_1)
	v_add_nc_u64_e32 v[52:53], v[50:51], v[8:9]
	global_load_b64 v[54:55], v[52:53], off
	s_wait_loadcnt 0x0
	v_mul_f64_e32 v[54:55], s[20:21], v[54:55]
	v_fmac_f64_e32 v[54:55], s[6:7], v[40:41]
	global_store_b64 v[44:45], v[54:55], off
	global_load_b64 v[40:41], v[52:53], off offset:128
	s_wait_loadcnt 0x0
	v_mul_f64_e32 v[40:41], s[20:21], v[40:41]
	s_delay_alu instid0(VALU_DEP_1) | instskip(SKIP_4) | instid1(VALU_DEP_1)
	v_fmac_f64_e32 v[40:41], s[6:7], v[38:39]
	global_store_b64 v[44:45], v[40:41], off offset:128
	global_load_b64 v[38:39], v[52:53], off offset:256
	s_wait_loadcnt 0x0
	v_mul_f64_e32 v[38:39], s[20:21], v[38:39]
	v_fmac_f64_e32 v[38:39], s[6:7], v[36:37]
	global_store_b64 v[44:45], v[38:39], off offset:256
	global_load_b64 v[36:37], v[52:53], off offset:384
	s_wait_loadcnt 0x0
	v_mul_f64_e32 v[36:37], s[20:21], v[36:37]
	s_delay_alu instid0(VALU_DEP_1) | instskip(SKIP_2) | instid1(VALU_DEP_1)
	v_fmac_f64_e32 v[36:37], s[6:7], v[34:35]
	v_add_nc_u64_e32 v[34:35], s[14:15], v[50:51]
	s_wait_xcnt 0x1
	v_add_nc_u64_e32 v[38:39], v[34:35], v[8:9]
	global_store_b64 v[44:45], v[36:37], off offset:384
	global_load_b64 v[36:37], v[38:39], off
	s_wait_loadcnt 0x0
	v_mul_f64_e32 v[36:37], s[20:21], v[36:37]
	s_delay_alu instid0(VALU_DEP_1)
	v_fmac_f64_e32 v[36:37], s[6:7], v[32:33]
	v_add_nc_u64_e32 v[32:33], v[42:43], v[8:9]
	global_store_b64 v[32:33], v[36:37], off
	global_load_b64 v[36:37], v[38:39], off offset:128
	s_wait_loadcnt 0x0
	v_mul_f64_e32 v[36:37], s[20:21], v[36:37]
	s_delay_alu instid0(VALU_DEP_1) | instskip(SKIP_4) | instid1(VALU_DEP_1)
	v_fmac_f64_e32 v[36:37], s[6:7], v[30:31]
	global_store_b64 v[32:33], v[36:37], off offset:128
	global_load_b64 v[30:31], v[38:39], off offset:256
	s_wait_loadcnt 0x0
	v_mul_f64_e32 v[30:31], s[20:21], v[30:31]
	v_fmac_f64_e32 v[30:31], s[6:7], v[28:29]
	global_store_b64 v[32:33], v[30:31], off offset:256
	global_load_b64 v[28:29], v[38:39], off offset:384
	s_wait_loadcnt 0x0
	v_mul_f64_e32 v[28:29], s[20:21], v[28:29]
	s_delay_alu instid0(VALU_DEP_1) | instskip(SKIP_2) | instid1(VALU_DEP_1)
	v_fmac_f64_e32 v[28:29], s[6:7], v[26:27]
	v_add_nc_u64_e32 v[26:27], s[14:15], v[34:35]
	s_wait_xcnt 0x1
	v_add_nc_u64_e32 v[30:31], v[26:27], v[8:9]
	global_store_b64 v[32:33], v[28:29], off offset:384
	global_load_b64 v[28:29], v[30:31], off
	s_wait_loadcnt 0x0
	v_mul_f64_e32 v[28:29], s[20:21], v[28:29]
	s_delay_alu instid0(VALU_DEP_1) | instskip(SKIP_1) | instid1(VALU_DEP_1)
	v_fmac_f64_e32 v[28:29], s[6:7], v[24:25]
	v_add_nc_u64_e32 v[24:25], s[16:17], v[42:43]
	v_add_nc_u64_e32 v[32:33], v[24:25], v[8:9]
	global_store_b64 v[32:33], v[28:29], off
	global_load_b64 v[28:29], v[30:31], off offset:128
	s_wait_loadcnt 0x0
	v_mul_f64_e32 v[28:29], s[20:21], v[28:29]
	s_delay_alu instid0(VALU_DEP_1) | instskip(SKIP_4) | instid1(VALU_DEP_1)
	v_fmac_f64_e32 v[28:29], s[6:7], v[22:23]
	global_store_b64 v[32:33], v[28:29], off offset:128
	global_load_b64 v[22:23], v[30:31], off offset:256
	s_wait_loadcnt 0x0
	v_mul_f64_e32 v[22:23], s[20:21], v[22:23]
	v_fmac_f64_e32 v[22:23], s[6:7], v[20:21]
	global_store_b64 v[32:33], v[22:23], off offset:256
	global_load_b64 v[20:21], v[30:31], off offset:384
	s_wait_loadcnt 0x0
	v_mul_f64_e32 v[20:21], s[20:21], v[20:21]
	s_delay_alu instid0(VALU_DEP_1) | instskip(SKIP_1) | instid1(VALU_DEP_1)
	v_fmac_f64_e32 v[20:21], s[6:7], v[18:19]
	v_add_nc_u64_e32 v[18:19], s[14:15], v[26:27]
	v_add_nc_u64_e32 v[18:19], v[18:19], v[8:9]
	global_store_b64 v[32:33], v[20:21], off offset:384
	global_load_b64 v[20:21], v[18:19], off
	s_wait_loadcnt 0x0
	v_mul_f64_e32 v[20:21], s[20:21], v[20:21]
	s_delay_alu instid0(VALU_DEP_1) | instskip(SKIP_1) | instid1(VALU_DEP_1)
	v_fmac_f64_e32 v[20:21], s[6:7], v[16:17]
	v_add_nc_u64_e32 v[16:17], s[16:17], v[24:25]
	v_add_nc_u64_e32 v[16:17], v[16:17], v[8:9]
	global_store_b64 v[16:17], v[20:21], off
	global_load_b64 v[20:21], v[18:19], off offset:128
	s_wait_loadcnt 0x0
	v_mul_f64_e32 v[20:21], s[20:21], v[20:21]
	s_delay_alu instid0(VALU_DEP_1) | instskip(SKIP_4) | instid1(VALU_DEP_1)
	v_fmac_f64_e32 v[20:21], s[6:7], v[14:15]
	global_store_b64 v[16:17], v[20:21], off offset:128
	global_load_b64 v[14:15], v[18:19], off offset:256
	s_wait_loadcnt 0x0
	v_mul_f64_e32 v[14:15], s[20:21], v[14:15]
	v_fmac_f64_e32 v[14:15], s[6:7], v[12:13]
	global_store_b64 v[16:17], v[14:15], off offset:256
	global_load_b64 v[12:13], v[18:19], off offset:384
	s_wait_loadcnt 0x0
	v_mul_f64_e32 v[12:13], s[20:21], v[12:13]
	s_delay_alu instid0(VALU_DEP_1)
	v_fmac_f64_e32 v[12:13], s[6:7], v[10:11]
	global_store_b64 v[16:17], v[12:13], off offset:384
	s_branch .LBB282_2
.LBB282_11:
	s_sendmsg sendmsg(MSG_DEALLOC_VGPRS)
	s_endpgm
	.section	.rodata,"a",@progbits
	.p2align	6, 0x0
	.amdhsa_kernel _ZN12_GLOBAL__N_127rocblas_gemm_batched_kernelIdLi16ELi16ELi64ELi64ELi4ELi64ELi4ELi4ELi64ELc84ELc84EKdS1_dEEvlllT_PT11_llS4_llS2_PT12_llPT13_lli
		.amdhsa_group_segment_fixed_size 4096
		.amdhsa_private_segment_fixed_size 0
		.amdhsa_kernarg_size 140
		.amdhsa_user_sgpr_count 2
		.amdhsa_user_sgpr_dispatch_ptr 0
		.amdhsa_user_sgpr_queue_ptr 0
		.amdhsa_user_sgpr_kernarg_segment_ptr 1
		.amdhsa_user_sgpr_dispatch_id 0
		.amdhsa_user_sgpr_kernarg_preload_length 0
		.amdhsa_user_sgpr_kernarg_preload_offset 0
		.amdhsa_user_sgpr_private_segment_size 0
		.amdhsa_wavefront_size32 1
		.amdhsa_uses_dynamic_stack 0
		.amdhsa_enable_private_segment 0
		.amdhsa_system_sgpr_workgroup_id_x 1
		.amdhsa_system_sgpr_workgroup_id_y 1
		.amdhsa_system_sgpr_workgroup_id_z 1
		.amdhsa_system_sgpr_workgroup_info 0
		.amdhsa_system_vgpr_workitem_id 1
		.amdhsa_next_free_vgpr 94
		.amdhsa_next_free_sgpr 44
		.amdhsa_named_barrier_count 0
		.amdhsa_reserve_vcc 1
		.amdhsa_float_round_mode_32 0
		.amdhsa_float_round_mode_16_64 0
		.amdhsa_float_denorm_mode_32 3
		.amdhsa_float_denorm_mode_16_64 3
		.amdhsa_fp16_overflow 0
		.amdhsa_memory_ordered 1
		.amdhsa_forward_progress 1
		.amdhsa_inst_pref_size 18
		.amdhsa_round_robin_scheduling 0
		.amdhsa_exception_fp_ieee_invalid_op 0
		.amdhsa_exception_fp_denorm_src 0
		.amdhsa_exception_fp_ieee_div_zero 0
		.amdhsa_exception_fp_ieee_overflow 0
		.amdhsa_exception_fp_ieee_underflow 0
		.amdhsa_exception_fp_ieee_inexact 0
		.amdhsa_exception_int_div_zero 0
	.end_amdhsa_kernel
	.section	.text._ZN12_GLOBAL__N_127rocblas_gemm_batched_kernelIdLi16ELi16ELi64ELi64ELi4ELi64ELi4ELi4ELi64ELc84ELc84EKdS1_dEEvlllT_PT11_llS4_llS2_PT12_llPT13_lli,"axG",@progbits,_ZN12_GLOBAL__N_127rocblas_gemm_batched_kernelIdLi16ELi16ELi64ELi64ELi4ELi64ELi4ELi4ELi64ELc84ELc84EKdS1_dEEvlllT_PT11_llS4_llS2_PT12_llPT13_lli,comdat
.Lfunc_end282:
	.size	_ZN12_GLOBAL__N_127rocblas_gemm_batched_kernelIdLi16ELi16ELi64ELi64ELi4ELi64ELi4ELi4ELi64ELc84ELc84EKdS1_dEEvlllT_PT11_llS4_llS2_PT12_llPT13_lli, .Lfunc_end282-_ZN12_GLOBAL__N_127rocblas_gemm_batched_kernelIdLi16ELi16ELi64ELi64ELi4ELi64ELi4ELi4ELi64ELc84ELc84EKdS1_dEEvlllT_PT11_llS4_llS2_PT12_llPT13_lli
                                        ; -- End function
	.set _ZN12_GLOBAL__N_127rocblas_gemm_batched_kernelIdLi16ELi16ELi64ELi64ELi4ELi64ELi4ELi4ELi64ELc84ELc84EKdS1_dEEvlllT_PT11_llS4_llS2_PT12_llPT13_lli.num_vgpr, 94
	.set _ZN12_GLOBAL__N_127rocblas_gemm_batched_kernelIdLi16ELi16ELi64ELi64ELi4ELi64ELi4ELi4ELi64ELc84ELc84EKdS1_dEEvlllT_PT11_llS4_llS2_PT12_llPT13_lli.num_agpr, 0
	.set _ZN12_GLOBAL__N_127rocblas_gemm_batched_kernelIdLi16ELi16ELi64ELi64ELi4ELi64ELi4ELi4ELi64ELc84ELc84EKdS1_dEEvlllT_PT11_llS4_llS2_PT12_llPT13_lli.numbered_sgpr, 44
	.set _ZN12_GLOBAL__N_127rocblas_gemm_batched_kernelIdLi16ELi16ELi64ELi64ELi4ELi64ELi4ELi4ELi64ELc84ELc84EKdS1_dEEvlllT_PT11_llS4_llS2_PT12_llPT13_lli.num_named_barrier, 0
	.set _ZN12_GLOBAL__N_127rocblas_gemm_batched_kernelIdLi16ELi16ELi64ELi64ELi4ELi64ELi4ELi4ELi64ELc84ELc84EKdS1_dEEvlllT_PT11_llS4_llS2_PT12_llPT13_lli.private_seg_size, 0
	.set _ZN12_GLOBAL__N_127rocblas_gemm_batched_kernelIdLi16ELi16ELi64ELi64ELi4ELi64ELi4ELi4ELi64ELc84ELc84EKdS1_dEEvlllT_PT11_llS4_llS2_PT12_llPT13_lli.uses_vcc, 1
	.set _ZN12_GLOBAL__N_127rocblas_gemm_batched_kernelIdLi16ELi16ELi64ELi64ELi4ELi64ELi4ELi4ELi64ELc84ELc84EKdS1_dEEvlllT_PT11_llS4_llS2_PT12_llPT13_lli.uses_flat_scratch, 0
	.set _ZN12_GLOBAL__N_127rocblas_gemm_batched_kernelIdLi16ELi16ELi64ELi64ELi4ELi64ELi4ELi4ELi64ELc84ELc84EKdS1_dEEvlllT_PT11_llS4_llS2_PT12_llPT13_lli.has_dyn_sized_stack, 0
	.set _ZN12_GLOBAL__N_127rocblas_gemm_batched_kernelIdLi16ELi16ELi64ELi64ELi4ELi64ELi4ELi4ELi64ELc84ELc84EKdS1_dEEvlllT_PT11_llS4_llS2_PT12_llPT13_lli.has_recursion, 0
	.set _ZN12_GLOBAL__N_127rocblas_gemm_batched_kernelIdLi16ELi16ELi64ELi64ELi4ELi64ELi4ELi4ELi64ELc84ELc84EKdS1_dEEvlllT_PT11_llS4_llS2_PT12_llPT13_lli.has_indirect_call, 0
	.section	.AMDGPU.csdata,"",@progbits
; Kernel info:
; codeLenInByte = 2264
; TotalNumSgprs: 46
; NumVgprs: 94
; ScratchSize: 0
; MemoryBound: 0
; FloatMode: 240
; IeeeMode: 1
; LDSByteSize: 4096 bytes/workgroup (compile time only)
; SGPRBlocks: 0
; VGPRBlocks: 5
; NumSGPRsForWavesPerEU: 46
; NumVGPRsForWavesPerEU: 94
; NamedBarCnt: 0
; Occupancy: 10
; WaveLimiterHint : 1
; COMPUTE_PGM_RSRC2:SCRATCH_EN: 0
; COMPUTE_PGM_RSRC2:USER_SGPR: 2
; COMPUTE_PGM_RSRC2:TRAP_HANDLER: 0
; COMPUTE_PGM_RSRC2:TGID_X_EN: 1
; COMPUTE_PGM_RSRC2:TGID_Y_EN: 1
; COMPUTE_PGM_RSRC2:TGID_Z_EN: 1
; COMPUTE_PGM_RSRC2:TIDIG_COMP_CNT: 1
	.section	.text._ZN12_GLOBAL__N_127rocblas_gemm_batched_kernelIdLi16ELi16ELi64ELi64ELi4ELi64ELi4ELi4ELi64ELc67ELc67EKdS1_dEEvlllT_PT11_llS4_llS2_PT12_llPT13_lli,"axG",@progbits,_ZN12_GLOBAL__N_127rocblas_gemm_batched_kernelIdLi16ELi16ELi64ELi64ELi4ELi64ELi4ELi4ELi64ELc67ELc67EKdS1_dEEvlllT_PT11_llS4_llS2_PT12_llPT13_lli,comdat
	.globl	_ZN12_GLOBAL__N_127rocblas_gemm_batched_kernelIdLi16ELi16ELi64ELi64ELi4ELi64ELi4ELi4ELi64ELc67ELc67EKdS1_dEEvlllT_PT11_llS4_llS2_PT12_llPT13_lli ; -- Begin function _ZN12_GLOBAL__N_127rocblas_gemm_batched_kernelIdLi16ELi16ELi64ELi64ELi4ELi64ELi4ELi4ELi64ELc67ELc67EKdS1_dEEvlllT_PT11_llS4_llS2_PT12_llPT13_lli
	.p2align	8
	.type	_ZN12_GLOBAL__N_127rocblas_gemm_batched_kernelIdLi16ELi16ELi64ELi64ELi4ELi64ELi4ELi4ELi64ELc67ELc67EKdS1_dEEvlllT_PT11_llS4_llS2_PT12_llPT13_lli,@function
_ZN12_GLOBAL__N_127rocblas_gemm_batched_kernelIdLi16ELi16ELi64ELi64ELi4ELi64ELi4ELi4ELi64ELc67ELc67EKdS1_dEEvlllT_PT11_llS4_llS2_PT12_llPT13_lli: ; @_ZN12_GLOBAL__N_127rocblas_gemm_batched_kernelIdLi16ELi16ELi64ELi64ELi4ELi64ELi4ELi4ELi64ELc67ELc67EKdS1_dEEvlllT_PT11_llS4_llS2_PT12_llPT13_lli
; %bb.0:
	s_load_b32 s28, s[0:1], 0x88
	s_bfe_u32 s2, ttmp6, 0x40014
	s_lshr_b32 s3, ttmp7, 16
	s_add_co_i32 s2, s2, 1
	s_bfe_u32 s4, ttmp6, 0x40008
	s_mul_i32 s2, s3, s2
	s_getreg_b32 s29, hwreg(HW_REG_IB_STS2, 6, 4)
	s_add_co_i32 s4, s4, s2
	s_cmp_eq_u32 s29, 0
	s_cselect_b32 s2, s3, s4
	s_mov_b32 s3, 0
	s_wait_kmcnt 0x0
	s_cmp_ge_i32 s2, s28
	s_cbranch_scc1 .LBB283_11
; %bb.1:
	v_bfe_u32 v4, v0, 10, 10
	v_and_b32_e32 v2, 0x3ff, v0
	s_bfe_u32 s30, ttmp6, 0x4000c
	s_bfe_u32 s33, ttmp6, 0x40010
	s_clause 0x1
	s_load_b512 s[4:19], s[0:1], 0x10
	s_load_b256 s[20:27], s[0:1], 0x50
	s_add_co_i32 s30, s30, 1
	s_and_b32 s34, ttmp7, 0xffff
	s_add_co_i32 s33, s33, 1
	s_and_b32 s31, ttmp6, 15
	s_mul_i32 s30, ttmp9, s30
	s_mul_i32 s33, s34, s33
	s_bfe_u32 s35, ttmp6, 0x40004
	v_lshl_add_u32 v16, v4, 4, v2
	s_add_co_i32 s31, s31, s30
	s_add_co_i32 s35, s35, s33
	s_cmp_eq_u32 s29, 0
	s_delay_alu instid0(VALU_DEP_1)
	v_dual_mov_b32 v5, 0 :: v_dual_bitop2_b32 v17, 63, v16 bitop3:0x40
	s_cselect_b32 s30, ttmp9, s31
	s_cselect_b32 s29, s34, s35
	s_ashr_i32 s31, s30, 31
	s_load_b256 s[36:43], s[0:1], 0x70
	s_lshl_b32 s34, s29, 6
	s_mov_b32 s35, s3
	s_lshl_b64 s[30:31], s[30:31], 6
	v_add_nc_u64_e32 v[6:7], s[34:35], v[4:5]
	v_dual_mov_b32 v9, s31 :: v_dual_bitop2_b32 v8, s30, v17 bitop3:0x54
	v_dual_mov_b32 v11, v5 :: v_dual_bitop2_b32 v18, 3, v0 bitop3:0x40
	v_dual_mov_b32 v3, v5 :: v_dual_lshrrev_b32 v10, 2, v16
	s_wait_kmcnt 0x0
	s_delay_alu instid0(VALU_DEP_3)
	v_mul_u64_e32 v[8:9], s[10:11], v[8:9]
	v_mul_u64_e32 v[12:13], s[24:25], v[6:7]
	v_cmp_eq_f64_e64 s1, s[20:21], 0
	v_mad_nc_u64_u32 v[14:15], s16, v18, v[10:11]
	v_lshrrev_b32_e32 v16, 6, v16
	v_lshl_add_u32 v47, v4, 5, 0x800
	v_cmp_gt_i64_e64 s0, s[4:5], 0
	v_dual_lshlrev_b32 v46, 3, v2 :: v_dual_lshlrev_b32 v17, 3, v17
	v_mul_u64_e32 v[0:1], s[38:39], v[6:7]
	v_dual_lshlrev_b32 v6, 3, v18 :: v_dual_lshlrev_b32 v4, 3, v16
	s_lshl_b64 s[24:25], s[24:25], 4
	s_delay_alu instid0(VALU_DEP_3) | instskip(SKIP_1) | instid1(VALU_DEP_3)
	v_lshl_or_b32 v48, v16, 9, v17
	v_mad_u32 v15, s17, v18, v15
	v_lshl_or_b32 v18, v10, 5, v6
	v_add_nc_u64_e32 v[10:11], s[30:31], v[2:3]
	s_lshl_b64 s[30:31], s[38:39], 4
	s_lshl_b64 s[10:11], s[18:19], 3
	;; [unrolled: 1-line block ×3, first 2 shown]
	v_add_nc_u32_e32 v49, 0x800, v18
	s_delay_alu instid0(VALU_DEP_4) | instskip(SKIP_3) | instid1(VALU_DEP_4)
	v_add_nc_u64_e32 v[6:7], s[34:35], v[14:15]
	v_lshl_add_u64 v[8:9], v[8:9], 3, v[4:5]
	v_lshl_add_u64 v[2:3], v[12:13], 3, s[22:23]
	v_cndmask_b32_e64 v12, 0, 1, s0
	v_lshl_add_u64 v[4:5], v[6:7], 3, s[14:15]
	s_lshl_b64 s[14:15], s[24:25], 3
	v_add_nc_u64_e32 v[6:7], s[8:9], v[8:9]
	v_lshlrev_b64_e32 v[8:9], 3, v[10:11]
	v_cmp_ne_u32_e64 s0, 1, v12
	s_lshl_b64 s[8:9], s[16:17], 5
	s_lshl_b64 s[16:17], s[30:31], 3
	s_branch .LBB283_3
.LBB283_2:                              ;   in Loop: Header=BB283_3 Depth=1
	s_add_co_i32 s2, s2, 0x10000
	s_delay_alu instid0(SALU_CYCLE_1)
	s_cmp_lt_i32 s2, s28
	s_cbranch_scc0 .LBB283_11
.LBB283_3:                              ; =>This Loop Header: Depth=1
                                        ;     Child Loop BB283_5 Depth 2
	s_and_b32 vcc_lo, exec_lo, s0
	s_cbranch_vccnz .LBB283_6
; %bb.4:                                ;   in Loop: Header=BB283_3 Depth=1
	v_mad_nc_u64_u32 v[42:43], s10, s2, v[4:5]
	s_wait_xcnt 0xc
	v_mad_nc_u64_u32 v[44:45], s12, s2, v[6:7]
	v_mov_b64_e32 v[10:11], 0
	s_wait_xcnt 0x0
	v_mov_b64_e32 v[12:13], 0
	v_mov_b64_e32 v[14:15], 0
	;; [unrolled: 1-line block ×8, first 2 shown]
	v_mad_u32 v43, s11, s2, v43
	v_mad_u32 v45, s13, s2, v45
	v_mov_b64_e32 v[28:29], 0
	v_mov_b64_e32 v[30:31], 0
	;; [unrolled: 1-line block ×7, first 2 shown]
	s_mov_b64 s[18:19], 0
.LBB283_5:                              ;   Parent Loop BB283_3 Depth=1
                                        ; =>  This Inner Loop Header: Depth=2
	global_load_b64 v[50:51], v[44:45], off
	global_load_b64 v[52:53], v[42:43], off
	s_add_nc_u64 s[18:19], s[18:19], 4
	s_wait_xcnt 0x0
	v_add_nc_u64_e32 v[42:43], s[8:9], v[42:43]
	v_cmp_lt_i64_e64 s22, s[18:19], s[4:5]
	v_add_nc_u64_e32 v[44:45], 32, v[44:45]
	s_wait_loadcnt 0x1
	ds_store_b64 v48, v[50:51]
	s_wait_loadcnt 0x0
	ds_store_b64 v49, v[52:53]
	s_wait_dscnt 0x0
	s_barrier_signal -1
	s_barrier_wait -1
	ds_load_b128 v[50:53], v47
	ds_load_2addr_b64 v[54:57], v46 offset1:16
	ds_load_b128 v[58:61], v47 offset:512
	ds_load_2addr_b64 v[62:65], v46 offset0:32 offset1:48
	ds_load_b128 v[66:69], v47 offset:1024
	ds_load_b128 v[70:73], v47 offset:1536
	ds_load_2addr_b64 v[74:77], v46 offset0:64 offset1:80
	ds_load_b128 v[78:81], v47 offset:16
	ds_load_b128 v[82:85], v47 offset:528
	;; [unrolled: 1-line block ×4, first 2 shown]
	s_and_b32 vcc_lo, exec_lo, s22
	s_wait_dscnt 0x9
	v_fmac_f64_e32 v[40:41], v[54:55], v[50:51]
	v_fmac_f64_e32 v[38:39], v[56:57], v[50:51]
	s_wait_dscnt 0x8
	v_fmac_f64_e32 v[32:33], v[54:55], v[58:59]
	v_fmac_f64_e32 v[30:31], v[56:57], v[58:59]
	s_wait_dscnt 0x7
	v_fmac_f64_e32 v[36:37], v[62:63], v[50:51]
	v_fmac_f64_e32 v[34:35], v[64:65], v[50:51]
	s_wait_dscnt 0x6
	v_fmac_f64_e32 v[24:25], v[54:55], v[66:67]
	v_fmac_f64_e32 v[22:23], v[56:57], v[66:67]
	v_fmac_f64_e32 v[28:29], v[62:63], v[58:59]
	v_fmac_f64_e32 v[26:27], v[64:65], v[58:59]
	s_wait_dscnt 0x5
	v_fmac_f64_e32 v[16:17], v[54:55], v[70:71]
	v_fmac_f64_e32 v[14:15], v[56:57], v[70:71]
	;; [unrolled: 1-line block ×6, first 2 shown]
	ds_load_2addr_b64 v[54:57], v46 offset0:96 offset1:112
	ds_load_2addr_b64 v[62:65], v46 offset0:128 offset1:144
	s_wait_dscnt 0x6
	v_fmac_f64_e32 v[40:41], v[74:75], v[52:53]
	v_fmac_f64_e32 v[38:39], v[76:77], v[52:53]
	;; [unrolled: 1-line block ×4, first 2 shown]
	s_wait_dscnt 0x1
	v_fmac_f64_e32 v[36:37], v[54:55], v[52:53]
	v_fmac_f64_e32 v[34:35], v[56:57], v[52:53]
	;; [unrolled: 1-line block ×12, first 2 shown]
	ds_load_2addr_b64 v[50:53], v46 offset0:160 offset1:176
	ds_load_2addr_b64 v[54:57], v46 offset0:192 offset1:208
	s_wait_dscnt 0x2
	v_fmac_f64_e32 v[40:41], v[62:63], v[78:79]
	v_fmac_f64_e32 v[38:39], v[64:65], v[78:79]
	;; [unrolled: 1-line block ×4, first 2 shown]
	s_wait_dscnt 0x1
	v_fmac_f64_e32 v[36:37], v[50:51], v[78:79]
	v_fmac_f64_e32 v[34:35], v[52:53], v[78:79]
	;; [unrolled: 1-line block ×12, first 2 shown]
	ds_load_2addr_b64 v[50:53], v46 offset0:224 offset1:240
	s_wait_dscnt 0x0
	s_barrier_signal -1
	s_barrier_wait -1
	v_fmac_f64_e32 v[40:41], v[54:55], v[80:81]
	v_fmac_f64_e32 v[38:39], v[56:57], v[80:81]
	;; [unrolled: 1-line block ×16, first 2 shown]
	s_cbranch_vccnz .LBB283_5
	s_branch .LBB283_7
.LBB283_6:                              ;   in Loop: Header=BB283_3 Depth=1
	v_mov_b64_e32 v[40:41], 0
	v_mov_b64_e32 v[38:39], 0
	;; [unrolled: 1-line block ×10, first 2 shown]
	s_wait_xcnt 0x4
	v_mov_b64_e32 v[20:21], 0
	s_wait_xcnt 0x1
	v_mov_b64_e32 v[18:19], 0
	s_wait_xcnt 0x0
	v_mov_b64_e32 v[16:17], 0
	v_mov_b64_e32 v[14:15], 0
	v_mov_b64_e32 v[12:13], 0
	v_mov_b64_e32 v[10:11], 0
.LBB283_7:                              ;   in Loop: Header=BB283_3 Depth=1
	s_mul_u64 s[18:19], s[40:41], s[2:3]
	s_and_not1_b32 vcc_lo, exec_lo, s1
	s_lshl_b64 s[18:19], s[18:19], 3
	s_delay_alu instid0(SALU_CYCLE_1) | instskip(NEXT) | instid1(SALU_CYCLE_1)
	s_add_nc_u64 s[18:19], s[36:37], s[18:19]
	v_lshl_add_u64 v[42:43], v[0:1], 3, s[18:19]
	s_delay_alu instid0(VALU_DEP_1)
	v_add_nc_u64_e32 v[44:45], v[42:43], v[8:9]
	v_add_nc_u64_e32 v[42:43], s[16:17], v[42:43]
	s_cbranch_vccnz .LBB283_9
; %bb.8:                                ;   in Loop: Header=BB283_3 Depth=1
	v_mul_f64_e32 v[50:51], s[6:7], v[40:41]
	v_mul_f64_e32 v[74:75], s[6:7], v[16:17]
	;; [unrolled: 1-line block ×16, first 2 shown]
	v_add_nc_u64_e32 v[82:83], s[16:17], v[42:43]
	v_add_nc_u64_e32 v[86:87], v[42:43], v[8:9]
	s_delay_alu instid0(VALU_DEP_2)
	v_add_nc_u64_e32 v[84:85], s[16:17], v[82:83]
	v_add_nc_u64_e32 v[82:83], v[82:83], v[8:9]
	s_clause 0xb
	global_store_b64 v[44:45], v[50:51], off
	global_store_b64 v[44:45], v[52:53], off offset:128
	global_store_b64 v[44:45], v[54:55], off offset:256
	global_store_b64 v[44:45], v[56:57], off offset:384
	global_store_b64 v[86:87], v[58:59], off
	global_store_b64 v[86:87], v[60:61], off offset:128
	global_store_b64 v[86:87], v[62:63], off offset:256
	global_store_b64 v[86:87], v[64:65], off offset:384
	;; [unrolled: 4-line block ×3, first 2 shown]
	v_add_nc_u64_e32 v[84:85], v[84:85], v[8:9]
	s_clause 0x3
	global_store_b64 v[84:85], v[74:75], off
	global_store_b64 v[84:85], v[76:77], off offset:128
	global_store_b64 v[84:85], v[78:79], off offset:256
	;; [unrolled: 1-line block ×3, first 2 shown]
	s_cbranch_execnz .LBB283_2
	s_branch .LBB283_10
.LBB283_9:                              ;   in Loop: Header=BB283_3 Depth=1
.LBB283_10:                             ;   in Loop: Header=BB283_3 Depth=1
	s_mul_u64 s[18:19], s[26:27], s[2:3]
	s_wait_xcnt 0xf
	v_lshl_add_u64 v[50:51], s[18:19], 3, v[2:3]
	s_wait_xcnt 0xe
	s_delay_alu instid0(VALU_DEP_1) | instskip(SKIP_3) | instid1(VALU_DEP_1)
	v_add_nc_u64_e32 v[52:53], v[50:51], v[8:9]
	global_load_b64 v[54:55], v[52:53], off
	s_wait_loadcnt 0x0
	v_mul_f64_e32 v[54:55], s[20:21], v[54:55]
	v_fmac_f64_e32 v[54:55], s[6:7], v[40:41]
	global_store_b64 v[44:45], v[54:55], off
	global_load_b64 v[40:41], v[52:53], off offset:128
	s_wait_loadcnt 0x0
	v_mul_f64_e32 v[40:41], s[20:21], v[40:41]
	s_delay_alu instid0(VALU_DEP_1) | instskip(SKIP_4) | instid1(VALU_DEP_1)
	v_fmac_f64_e32 v[40:41], s[6:7], v[38:39]
	global_store_b64 v[44:45], v[40:41], off offset:128
	global_load_b64 v[38:39], v[52:53], off offset:256
	s_wait_loadcnt 0x0
	v_mul_f64_e32 v[38:39], s[20:21], v[38:39]
	v_fmac_f64_e32 v[38:39], s[6:7], v[36:37]
	global_store_b64 v[44:45], v[38:39], off offset:256
	global_load_b64 v[36:37], v[52:53], off offset:384
	s_wait_loadcnt 0x0
	v_mul_f64_e32 v[36:37], s[20:21], v[36:37]
	s_delay_alu instid0(VALU_DEP_1) | instskip(SKIP_2) | instid1(VALU_DEP_1)
	v_fmac_f64_e32 v[36:37], s[6:7], v[34:35]
	v_add_nc_u64_e32 v[34:35], s[14:15], v[50:51]
	s_wait_xcnt 0x1
	v_add_nc_u64_e32 v[38:39], v[34:35], v[8:9]
	global_store_b64 v[44:45], v[36:37], off offset:384
	global_load_b64 v[36:37], v[38:39], off
	s_wait_loadcnt 0x0
	v_mul_f64_e32 v[36:37], s[20:21], v[36:37]
	s_delay_alu instid0(VALU_DEP_1)
	v_fmac_f64_e32 v[36:37], s[6:7], v[32:33]
	v_add_nc_u64_e32 v[32:33], v[42:43], v[8:9]
	global_store_b64 v[32:33], v[36:37], off
	global_load_b64 v[36:37], v[38:39], off offset:128
	s_wait_loadcnt 0x0
	v_mul_f64_e32 v[36:37], s[20:21], v[36:37]
	s_delay_alu instid0(VALU_DEP_1) | instskip(SKIP_4) | instid1(VALU_DEP_1)
	v_fmac_f64_e32 v[36:37], s[6:7], v[30:31]
	global_store_b64 v[32:33], v[36:37], off offset:128
	global_load_b64 v[30:31], v[38:39], off offset:256
	s_wait_loadcnt 0x0
	v_mul_f64_e32 v[30:31], s[20:21], v[30:31]
	v_fmac_f64_e32 v[30:31], s[6:7], v[28:29]
	global_store_b64 v[32:33], v[30:31], off offset:256
	global_load_b64 v[28:29], v[38:39], off offset:384
	s_wait_loadcnt 0x0
	v_mul_f64_e32 v[28:29], s[20:21], v[28:29]
	s_delay_alu instid0(VALU_DEP_1) | instskip(SKIP_2) | instid1(VALU_DEP_1)
	v_fmac_f64_e32 v[28:29], s[6:7], v[26:27]
	v_add_nc_u64_e32 v[26:27], s[14:15], v[34:35]
	s_wait_xcnt 0x1
	v_add_nc_u64_e32 v[30:31], v[26:27], v[8:9]
	global_store_b64 v[32:33], v[28:29], off offset:384
	global_load_b64 v[28:29], v[30:31], off
	s_wait_loadcnt 0x0
	v_mul_f64_e32 v[28:29], s[20:21], v[28:29]
	s_delay_alu instid0(VALU_DEP_1) | instskip(SKIP_1) | instid1(VALU_DEP_1)
	v_fmac_f64_e32 v[28:29], s[6:7], v[24:25]
	v_add_nc_u64_e32 v[24:25], s[16:17], v[42:43]
	v_add_nc_u64_e32 v[32:33], v[24:25], v[8:9]
	global_store_b64 v[32:33], v[28:29], off
	global_load_b64 v[28:29], v[30:31], off offset:128
	s_wait_loadcnt 0x0
	v_mul_f64_e32 v[28:29], s[20:21], v[28:29]
	s_delay_alu instid0(VALU_DEP_1) | instskip(SKIP_4) | instid1(VALU_DEP_1)
	v_fmac_f64_e32 v[28:29], s[6:7], v[22:23]
	global_store_b64 v[32:33], v[28:29], off offset:128
	global_load_b64 v[22:23], v[30:31], off offset:256
	s_wait_loadcnt 0x0
	v_mul_f64_e32 v[22:23], s[20:21], v[22:23]
	v_fmac_f64_e32 v[22:23], s[6:7], v[20:21]
	global_store_b64 v[32:33], v[22:23], off offset:256
	global_load_b64 v[20:21], v[30:31], off offset:384
	s_wait_loadcnt 0x0
	v_mul_f64_e32 v[20:21], s[20:21], v[20:21]
	s_delay_alu instid0(VALU_DEP_1) | instskip(SKIP_1) | instid1(VALU_DEP_1)
	v_fmac_f64_e32 v[20:21], s[6:7], v[18:19]
	v_add_nc_u64_e32 v[18:19], s[14:15], v[26:27]
	v_add_nc_u64_e32 v[18:19], v[18:19], v[8:9]
	global_store_b64 v[32:33], v[20:21], off offset:384
	global_load_b64 v[20:21], v[18:19], off
	s_wait_loadcnt 0x0
	v_mul_f64_e32 v[20:21], s[20:21], v[20:21]
	s_delay_alu instid0(VALU_DEP_1) | instskip(SKIP_1) | instid1(VALU_DEP_1)
	v_fmac_f64_e32 v[20:21], s[6:7], v[16:17]
	v_add_nc_u64_e32 v[16:17], s[16:17], v[24:25]
	v_add_nc_u64_e32 v[16:17], v[16:17], v[8:9]
	global_store_b64 v[16:17], v[20:21], off
	global_load_b64 v[20:21], v[18:19], off offset:128
	s_wait_loadcnt 0x0
	v_mul_f64_e32 v[20:21], s[20:21], v[20:21]
	s_delay_alu instid0(VALU_DEP_1) | instskip(SKIP_4) | instid1(VALU_DEP_1)
	v_fmac_f64_e32 v[20:21], s[6:7], v[14:15]
	global_store_b64 v[16:17], v[20:21], off offset:128
	global_load_b64 v[14:15], v[18:19], off offset:256
	s_wait_loadcnt 0x0
	v_mul_f64_e32 v[14:15], s[20:21], v[14:15]
	v_fmac_f64_e32 v[14:15], s[6:7], v[12:13]
	global_store_b64 v[16:17], v[14:15], off offset:256
	global_load_b64 v[12:13], v[18:19], off offset:384
	s_wait_loadcnt 0x0
	v_mul_f64_e32 v[12:13], s[20:21], v[12:13]
	s_delay_alu instid0(VALU_DEP_1)
	v_fmac_f64_e32 v[12:13], s[6:7], v[10:11]
	global_store_b64 v[16:17], v[12:13], off offset:384
	s_branch .LBB283_2
.LBB283_11:
	s_sendmsg sendmsg(MSG_DEALLOC_VGPRS)
	s_endpgm
	.section	.rodata,"a",@progbits
	.p2align	6, 0x0
	.amdhsa_kernel _ZN12_GLOBAL__N_127rocblas_gemm_batched_kernelIdLi16ELi16ELi64ELi64ELi4ELi64ELi4ELi4ELi64ELc67ELc67EKdS1_dEEvlllT_PT11_llS4_llS2_PT12_llPT13_lli
		.amdhsa_group_segment_fixed_size 4096
		.amdhsa_private_segment_fixed_size 0
		.amdhsa_kernarg_size 140
		.amdhsa_user_sgpr_count 2
		.amdhsa_user_sgpr_dispatch_ptr 0
		.amdhsa_user_sgpr_queue_ptr 0
		.amdhsa_user_sgpr_kernarg_segment_ptr 1
		.amdhsa_user_sgpr_dispatch_id 0
		.amdhsa_user_sgpr_kernarg_preload_length 0
		.amdhsa_user_sgpr_kernarg_preload_offset 0
		.amdhsa_user_sgpr_private_segment_size 0
		.amdhsa_wavefront_size32 1
		.amdhsa_uses_dynamic_stack 0
		.amdhsa_enable_private_segment 0
		.amdhsa_system_sgpr_workgroup_id_x 1
		.amdhsa_system_sgpr_workgroup_id_y 1
		.amdhsa_system_sgpr_workgroup_id_z 1
		.amdhsa_system_sgpr_workgroup_info 0
		.amdhsa_system_vgpr_workitem_id 1
		.amdhsa_next_free_vgpr 94
		.amdhsa_next_free_sgpr 44
		.amdhsa_named_barrier_count 0
		.amdhsa_reserve_vcc 1
		.amdhsa_float_round_mode_32 0
		.amdhsa_float_round_mode_16_64 0
		.amdhsa_float_denorm_mode_32 3
		.amdhsa_float_denorm_mode_16_64 3
		.amdhsa_fp16_overflow 0
		.amdhsa_memory_ordered 1
		.amdhsa_forward_progress 1
		.amdhsa_inst_pref_size 18
		.amdhsa_round_robin_scheduling 0
		.amdhsa_exception_fp_ieee_invalid_op 0
		.amdhsa_exception_fp_denorm_src 0
		.amdhsa_exception_fp_ieee_div_zero 0
		.amdhsa_exception_fp_ieee_overflow 0
		.amdhsa_exception_fp_ieee_underflow 0
		.amdhsa_exception_fp_ieee_inexact 0
		.amdhsa_exception_int_div_zero 0
	.end_amdhsa_kernel
	.section	.text._ZN12_GLOBAL__N_127rocblas_gemm_batched_kernelIdLi16ELi16ELi64ELi64ELi4ELi64ELi4ELi4ELi64ELc67ELc67EKdS1_dEEvlllT_PT11_llS4_llS2_PT12_llPT13_lli,"axG",@progbits,_ZN12_GLOBAL__N_127rocblas_gemm_batched_kernelIdLi16ELi16ELi64ELi64ELi4ELi64ELi4ELi4ELi64ELc67ELc67EKdS1_dEEvlllT_PT11_llS4_llS2_PT12_llPT13_lli,comdat
.Lfunc_end283:
	.size	_ZN12_GLOBAL__N_127rocblas_gemm_batched_kernelIdLi16ELi16ELi64ELi64ELi4ELi64ELi4ELi4ELi64ELc67ELc67EKdS1_dEEvlllT_PT11_llS4_llS2_PT12_llPT13_lli, .Lfunc_end283-_ZN12_GLOBAL__N_127rocblas_gemm_batched_kernelIdLi16ELi16ELi64ELi64ELi4ELi64ELi4ELi4ELi64ELc67ELc67EKdS1_dEEvlllT_PT11_llS4_llS2_PT12_llPT13_lli
                                        ; -- End function
	.set _ZN12_GLOBAL__N_127rocblas_gemm_batched_kernelIdLi16ELi16ELi64ELi64ELi4ELi64ELi4ELi4ELi64ELc67ELc67EKdS1_dEEvlllT_PT11_llS4_llS2_PT12_llPT13_lli.num_vgpr, 94
	.set _ZN12_GLOBAL__N_127rocblas_gemm_batched_kernelIdLi16ELi16ELi64ELi64ELi4ELi64ELi4ELi4ELi64ELc67ELc67EKdS1_dEEvlllT_PT11_llS4_llS2_PT12_llPT13_lli.num_agpr, 0
	.set _ZN12_GLOBAL__N_127rocblas_gemm_batched_kernelIdLi16ELi16ELi64ELi64ELi4ELi64ELi4ELi4ELi64ELc67ELc67EKdS1_dEEvlllT_PT11_llS4_llS2_PT12_llPT13_lli.numbered_sgpr, 44
	.set _ZN12_GLOBAL__N_127rocblas_gemm_batched_kernelIdLi16ELi16ELi64ELi64ELi4ELi64ELi4ELi4ELi64ELc67ELc67EKdS1_dEEvlllT_PT11_llS4_llS2_PT12_llPT13_lli.num_named_barrier, 0
	.set _ZN12_GLOBAL__N_127rocblas_gemm_batched_kernelIdLi16ELi16ELi64ELi64ELi4ELi64ELi4ELi4ELi64ELc67ELc67EKdS1_dEEvlllT_PT11_llS4_llS2_PT12_llPT13_lli.private_seg_size, 0
	.set _ZN12_GLOBAL__N_127rocblas_gemm_batched_kernelIdLi16ELi16ELi64ELi64ELi4ELi64ELi4ELi4ELi64ELc67ELc67EKdS1_dEEvlllT_PT11_llS4_llS2_PT12_llPT13_lli.uses_vcc, 1
	.set _ZN12_GLOBAL__N_127rocblas_gemm_batched_kernelIdLi16ELi16ELi64ELi64ELi4ELi64ELi4ELi4ELi64ELc67ELc67EKdS1_dEEvlllT_PT11_llS4_llS2_PT12_llPT13_lli.uses_flat_scratch, 0
	.set _ZN12_GLOBAL__N_127rocblas_gemm_batched_kernelIdLi16ELi16ELi64ELi64ELi4ELi64ELi4ELi4ELi64ELc67ELc67EKdS1_dEEvlllT_PT11_llS4_llS2_PT12_llPT13_lli.has_dyn_sized_stack, 0
	.set _ZN12_GLOBAL__N_127rocblas_gemm_batched_kernelIdLi16ELi16ELi64ELi64ELi4ELi64ELi4ELi4ELi64ELc67ELc67EKdS1_dEEvlllT_PT11_llS4_llS2_PT12_llPT13_lli.has_recursion, 0
	.set _ZN12_GLOBAL__N_127rocblas_gemm_batched_kernelIdLi16ELi16ELi64ELi64ELi4ELi64ELi4ELi4ELi64ELc67ELc67EKdS1_dEEvlllT_PT11_llS4_llS2_PT12_llPT13_lli.has_indirect_call, 0
	.section	.AMDGPU.csdata,"",@progbits
; Kernel info:
; codeLenInByte = 2264
; TotalNumSgprs: 46
; NumVgprs: 94
; ScratchSize: 0
; MemoryBound: 0
; FloatMode: 240
; IeeeMode: 1
; LDSByteSize: 4096 bytes/workgroup (compile time only)
; SGPRBlocks: 0
; VGPRBlocks: 5
; NumSGPRsForWavesPerEU: 46
; NumVGPRsForWavesPerEU: 94
; NamedBarCnt: 0
; Occupancy: 10
; WaveLimiterHint : 1
; COMPUTE_PGM_RSRC2:SCRATCH_EN: 0
; COMPUTE_PGM_RSRC2:USER_SGPR: 2
; COMPUTE_PGM_RSRC2:TRAP_HANDLER: 0
; COMPUTE_PGM_RSRC2:TGID_X_EN: 1
; COMPUTE_PGM_RSRC2:TGID_Y_EN: 1
; COMPUTE_PGM_RSRC2:TGID_Z_EN: 1
; COMPUTE_PGM_RSRC2:TIDIG_COMP_CNT: 1
	.section	.text._ZN12_GLOBAL__N_127rocblas_gemm_batched_kernelIdLi16ELi16ELi64ELi64ELi4ELi64ELi4ELi4ELi64ELc67ELc78EKdS1_dEEvlllT_PT11_llS4_llS2_PT12_llPT13_lli,"axG",@progbits,_ZN12_GLOBAL__N_127rocblas_gemm_batched_kernelIdLi16ELi16ELi64ELi64ELi4ELi64ELi4ELi4ELi64ELc67ELc78EKdS1_dEEvlllT_PT11_llS4_llS2_PT12_llPT13_lli,comdat
	.globl	_ZN12_GLOBAL__N_127rocblas_gemm_batched_kernelIdLi16ELi16ELi64ELi64ELi4ELi64ELi4ELi4ELi64ELc67ELc78EKdS1_dEEvlllT_PT11_llS4_llS2_PT12_llPT13_lli ; -- Begin function _ZN12_GLOBAL__N_127rocblas_gemm_batched_kernelIdLi16ELi16ELi64ELi64ELi4ELi64ELi4ELi4ELi64ELc67ELc78EKdS1_dEEvlllT_PT11_llS4_llS2_PT12_llPT13_lli
	.p2align	8
	.type	_ZN12_GLOBAL__N_127rocblas_gemm_batched_kernelIdLi16ELi16ELi64ELi64ELi4ELi64ELi4ELi4ELi64ELc67ELc78EKdS1_dEEvlllT_PT11_llS4_llS2_PT12_llPT13_lli,@function
_ZN12_GLOBAL__N_127rocblas_gemm_batched_kernelIdLi16ELi16ELi64ELi64ELi4ELi64ELi4ELi4ELi64ELc67ELc78EKdS1_dEEvlllT_PT11_llS4_llS2_PT12_llPT13_lli: ; @_ZN12_GLOBAL__N_127rocblas_gemm_batched_kernelIdLi16ELi16ELi64ELi64ELi4ELi64ELi4ELi4ELi64ELc67ELc78EKdS1_dEEvlllT_PT11_llS4_llS2_PT12_llPT13_lli
; %bb.0:
	s_load_b32 s28, s[0:1], 0x88
	s_bfe_u32 s2, ttmp6, 0x40014
	s_lshr_b32 s3, ttmp7, 16
	s_add_co_i32 s2, s2, 1
	s_bfe_u32 s4, ttmp6, 0x40008
	s_mul_i32 s2, s3, s2
	s_getreg_b32 s29, hwreg(HW_REG_IB_STS2, 6, 4)
	s_add_co_i32 s4, s4, s2
	s_cmp_eq_u32 s29, 0
	s_cselect_b32 s2, s3, s4
	s_mov_b32 s3, 0
	s_wait_kmcnt 0x0
	s_cmp_ge_i32 s2, s28
	s_cbranch_scc1 .LBB284_11
; %bb.1:
	v_bfe_u32 v4, v0, 10, 10
	v_and_b32_e32 v6, 0x3ff, v0
	s_clause 0x2
	s_load_b512 s[4:19], s[0:1], 0x10
	s_load_b256 s[20:27], s[0:1], 0x70
	s_load_b256 s[36:43], s[0:1], 0x50
	s_wait_xcnt 0x0
	s_bfe_u32 s1, ttmp6, 0x4000c
	s_wait_kmcnt 0x0
	s_bfe_u32 s26, ttmp6, 0x40010
	s_add_co_i32 s1, s1, 1
	s_and_b32 s27, ttmp7, 0xffff
	s_add_co_i32 s26, s26, 1
	v_lshl_add_u32 v1, v4, 4, v6
	v_mov_b32_e32 v5, 0
	s_and_b32 s0, ttmp6, 15
	s_mul_i32 s1, ttmp9, s1
	s_mul_i32 s26, s27, s26
	s_bfe_u32 s30, ttmp6, 0x40004
	s_add_co_i32 s0, s0, s1
	s_add_co_i32 s30, s30, s26
	s_cmp_eq_u32 s29, 0
	v_dual_lshrrev_b32 v8, 2, v1 :: v_dual_bitop2_b32 v18, 63, v1 bitop3:0x40
	v_mov_b32_e32 v9, v5
	s_cselect_b32 s0, ttmp9, s0
	s_cselect_b32 s26, s27, s30
	s_ashr_i32 s1, s0, 31
	s_lshl_b32 s26, s26, 6
	s_mov_b32 s27, s3
	s_lshl_b64 s[30:31], s[0:1], 6
	v_add_nc_u64_e32 v[2:3], s[26:27], v[8:9]
	v_dual_mov_b32 v11, s31 :: v_dual_bitop2_b32 v10, s30, v18 bitop3:0x54
	v_add_nc_u64_e32 v[12:13], s[26:27], v[4:5]
	v_cmp_eq_f64_e64 s1, s[36:37], 0
	v_dual_mov_b32 v7, v5 :: v_dual_lshlrev_b32 v0, 3, v0
	s_delay_alu instid0(VALU_DEP_4)
	v_mul_u64_e32 v[10:11], s[10:11], v[10:11]
	v_mul_u64_e32 v[14:15], s[16:17], v[2:3]
	v_lshl_add_u32 v47, v4, 5, 0x800
	v_mul_u64_e32 v[16:17], s[40:41], v[12:13]
	v_mul_u64_e32 v[2:3], s[22:23], v[12:13]
	v_dual_lshrrev_b32 v12, 6, v1 :: v_dual_lshlrev_b32 v13, 3, v18
	v_dual_lshlrev_b32 v46, 3, v6 :: v_dual_bitop2_b32 v0, 24, v0 bitop3:0x40
	s_delay_alu instid0(VALU_DEP_2) | instskip(SKIP_1) | instid1(VALU_DEP_3)
	v_dual_mov_b32 v1, v5 :: v_dual_lshlrev_b32 v4, 3, v12
	v_cmp_gt_i64_e64 s0, s[4:5], 0
	v_lshl_or_b32 v18, v8, 5, v0
	v_add_nc_u64_e32 v[8:9], s[30:31], v[6:7]
	v_lshl_or_b32 v48, v12, 9, v13
	s_lshl_b64 s[16:17], s[22:23], 4
	s_lshl_b64 s[22:23], s[40:41], 4
	v_add_nc_u32_e32 v49, 0x800, v18
	s_lshl_b64 s[10:11], s[12:13], 3
	s_lshl_b64 s[12:13], s[22:23], 3
	v_lshlrev_b64_e32 v[8:9], 3, v[8:9]
	v_lshl_add_u64 v[4:5], v[10:11], 3, v[4:5]
	v_lshl_add_u64 v[6:7], v[14:15], 3, v[0:1]
	v_cndmask_b32_e64 v10, 0, 1, s0
	v_lshl_add_u64 v[0:1], v[16:17], 3, s[38:39]
	s_delay_alu instid0(VALU_DEP_4) | instskip(NEXT) | instid1(VALU_DEP_4)
	v_add_nc_u64_e32 v[4:5], s[8:9], v[4:5]
	v_add_nc_u64_e32 v[6:7], s[14:15], v[6:7]
	s_delay_alu instid0(VALU_DEP_4)
	v_cmp_ne_u32_e64 s0, 1, v10
	s_lshl_b64 s[8:9], s[18:19], 3
	s_lshl_b64 s[14:15], s[16:17], 3
	s_branch .LBB284_3
.LBB284_2:                              ;   in Loop: Header=BB284_3 Depth=1
	s_add_co_i32 s2, s2, 0x10000
	s_delay_alu instid0(SALU_CYCLE_1)
	s_cmp_lt_i32 s2, s28
	s_cbranch_scc0 .LBB284_11
.LBB284_3:                              ; =>This Loop Header: Depth=1
                                        ;     Child Loop BB284_5 Depth 2
	s_and_b32 vcc_lo, exec_lo, s0
	s_cbranch_vccnz .LBB284_6
; %bb.4:                                ;   in Loop: Header=BB284_3 Depth=1
	v_mad_nc_u64_u32 v[42:43], s8, s2, v[6:7]
	s_wait_xcnt 0xc
	v_mad_nc_u64_u32 v[44:45], s10, s2, v[4:5]
	v_mov_b64_e32 v[10:11], 0
	s_wait_xcnt 0x0
	v_mov_b64_e32 v[12:13], 0
	v_mov_b64_e32 v[14:15], 0
	;; [unrolled: 1-line block ×8, first 2 shown]
	v_mad_u32 v43, s9, s2, v43
	v_mad_u32 v45, s11, s2, v45
	v_mov_b64_e32 v[28:29], 0
	v_mov_b64_e32 v[30:31], 0
	;; [unrolled: 1-line block ×7, first 2 shown]
	s_mov_b64 s[16:17], 0
.LBB284_5:                              ;   Parent Loop BB284_3 Depth=1
                                        ; =>  This Inner Loop Header: Depth=2
	global_load_b64 v[50:51], v[44:45], off
	global_load_b64 v[52:53], v[42:43], off
	s_add_nc_u64 s[16:17], s[16:17], 4
	s_wait_xcnt 0x0
	v_add_nc_u64_e32 v[42:43], 32, v[42:43]
	v_cmp_lt_i64_e64 s18, s[16:17], s[4:5]
	v_add_nc_u64_e32 v[44:45], 32, v[44:45]
	s_wait_loadcnt 0x1
	ds_store_b64 v48, v[50:51]
	s_wait_loadcnt 0x0
	ds_store_b64 v49, v[52:53]
	s_wait_dscnt 0x0
	s_barrier_signal -1
	s_barrier_wait -1
	ds_load_b128 v[50:53], v47
	ds_load_2addr_b64 v[54:57], v46 offset1:16
	ds_load_b128 v[58:61], v47 offset:512
	ds_load_2addr_b64 v[62:65], v46 offset0:32 offset1:48
	ds_load_b128 v[66:69], v47 offset:1024
	ds_load_b128 v[70:73], v47 offset:1536
	ds_load_2addr_b64 v[74:77], v46 offset0:64 offset1:80
	ds_load_b128 v[78:81], v47 offset:16
	ds_load_b128 v[82:85], v47 offset:528
	;; [unrolled: 1-line block ×4, first 2 shown]
	s_and_b32 vcc_lo, exec_lo, s18
	s_wait_dscnt 0x9
	v_fmac_f64_e32 v[40:41], v[54:55], v[50:51]
	v_fmac_f64_e32 v[38:39], v[56:57], v[50:51]
	s_wait_dscnt 0x8
	v_fmac_f64_e32 v[32:33], v[54:55], v[58:59]
	v_fmac_f64_e32 v[30:31], v[56:57], v[58:59]
	s_wait_dscnt 0x7
	v_fmac_f64_e32 v[36:37], v[62:63], v[50:51]
	v_fmac_f64_e32 v[34:35], v[64:65], v[50:51]
	s_wait_dscnt 0x6
	v_fmac_f64_e32 v[24:25], v[54:55], v[66:67]
	v_fmac_f64_e32 v[22:23], v[56:57], v[66:67]
	v_fmac_f64_e32 v[28:29], v[62:63], v[58:59]
	v_fmac_f64_e32 v[26:27], v[64:65], v[58:59]
	s_wait_dscnt 0x5
	v_fmac_f64_e32 v[16:17], v[54:55], v[70:71]
	v_fmac_f64_e32 v[14:15], v[56:57], v[70:71]
	;; [unrolled: 1-line block ×6, first 2 shown]
	ds_load_2addr_b64 v[54:57], v46 offset0:96 offset1:112
	ds_load_2addr_b64 v[62:65], v46 offset0:128 offset1:144
	s_wait_dscnt 0x6
	v_fmac_f64_e32 v[40:41], v[74:75], v[52:53]
	v_fmac_f64_e32 v[38:39], v[76:77], v[52:53]
	;; [unrolled: 1-line block ×4, first 2 shown]
	s_wait_dscnt 0x1
	v_fmac_f64_e32 v[36:37], v[54:55], v[52:53]
	v_fmac_f64_e32 v[34:35], v[56:57], v[52:53]
	;; [unrolled: 1-line block ×12, first 2 shown]
	ds_load_2addr_b64 v[50:53], v46 offset0:160 offset1:176
	ds_load_2addr_b64 v[54:57], v46 offset0:192 offset1:208
	s_wait_dscnt 0x2
	v_fmac_f64_e32 v[40:41], v[62:63], v[78:79]
	v_fmac_f64_e32 v[38:39], v[64:65], v[78:79]
	v_fmac_f64_e32 v[32:33], v[62:63], v[82:83]
	v_fmac_f64_e32 v[30:31], v[64:65], v[82:83]
	s_wait_dscnt 0x1
	v_fmac_f64_e32 v[36:37], v[50:51], v[78:79]
	v_fmac_f64_e32 v[34:35], v[52:53], v[78:79]
	;; [unrolled: 1-line block ×12, first 2 shown]
	ds_load_2addr_b64 v[50:53], v46 offset0:224 offset1:240
	s_wait_dscnt 0x0
	s_barrier_signal -1
	s_barrier_wait -1
	v_fmac_f64_e32 v[40:41], v[54:55], v[80:81]
	v_fmac_f64_e32 v[38:39], v[56:57], v[80:81]
	;; [unrolled: 1-line block ×16, first 2 shown]
	s_cbranch_vccnz .LBB284_5
	s_branch .LBB284_7
.LBB284_6:                              ;   in Loop: Header=BB284_3 Depth=1
	v_mov_b64_e32 v[40:41], 0
	v_mov_b64_e32 v[38:39], 0
	;; [unrolled: 1-line block ×10, first 2 shown]
	s_wait_xcnt 0x4
	v_mov_b64_e32 v[20:21], 0
	s_wait_xcnt 0x1
	v_mov_b64_e32 v[18:19], 0
	s_wait_xcnt 0x0
	v_mov_b64_e32 v[16:17], 0
	v_mov_b64_e32 v[14:15], 0
	v_mov_b64_e32 v[12:13], 0
	;; [unrolled: 1-line block ×3, first 2 shown]
.LBB284_7:                              ;   in Loop: Header=BB284_3 Depth=1
	s_mul_u64 s[16:17], s[24:25], s[2:3]
	s_and_not1_b32 vcc_lo, exec_lo, s1
	s_lshl_b64 s[16:17], s[16:17], 3
	s_delay_alu instid0(SALU_CYCLE_1) | instskip(NEXT) | instid1(SALU_CYCLE_1)
	s_add_nc_u64 s[16:17], s[20:21], s[16:17]
	v_lshl_add_u64 v[42:43], v[2:3], 3, s[16:17]
	s_delay_alu instid0(VALU_DEP_1)
	v_add_nc_u64_e32 v[44:45], v[42:43], v[8:9]
	v_add_nc_u64_e32 v[42:43], s[14:15], v[42:43]
	s_cbranch_vccnz .LBB284_9
; %bb.8:                                ;   in Loop: Header=BB284_3 Depth=1
	v_mul_f64_e32 v[50:51], s[6:7], v[40:41]
	v_mul_f64_e32 v[74:75], s[6:7], v[16:17]
	;; [unrolled: 1-line block ×16, first 2 shown]
	v_add_nc_u64_e32 v[82:83], s[14:15], v[42:43]
	v_add_nc_u64_e32 v[86:87], v[42:43], v[8:9]
	s_delay_alu instid0(VALU_DEP_2)
	v_add_nc_u64_e32 v[84:85], s[14:15], v[82:83]
	v_add_nc_u64_e32 v[82:83], v[82:83], v[8:9]
	s_clause 0xb
	global_store_b64 v[44:45], v[50:51], off
	global_store_b64 v[44:45], v[52:53], off offset:128
	global_store_b64 v[44:45], v[54:55], off offset:256
	global_store_b64 v[44:45], v[56:57], off offset:384
	global_store_b64 v[86:87], v[58:59], off
	global_store_b64 v[86:87], v[60:61], off offset:128
	global_store_b64 v[86:87], v[62:63], off offset:256
	global_store_b64 v[86:87], v[64:65], off offset:384
	;; [unrolled: 4-line block ×3, first 2 shown]
	v_add_nc_u64_e32 v[84:85], v[84:85], v[8:9]
	s_clause 0x3
	global_store_b64 v[84:85], v[74:75], off
	global_store_b64 v[84:85], v[76:77], off offset:128
	global_store_b64 v[84:85], v[78:79], off offset:256
	;; [unrolled: 1-line block ×3, first 2 shown]
	s_cbranch_execnz .LBB284_2
	s_branch .LBB284_10
.LBB284_9:                              ;   in Loop: Header=BB284_3 Depth=1
.LBB284_10:                             ;   in Loop: Header=BB284_3 Depth=1
	s_mul_u64 s[16:17], s[42:43], s[2:3]
	s_wait_xcnt 0xf
	v_lshl_add_u64 v[50:51], s[16:17], 3, v[0:1]
	s_wait_xcnt 0xe
	s_delay_alu instid0(VALU_DEP_1) | instskip(SKIP_3) | instid1(VALU_DEP_1)
	v_add_nc_u64_e32 v[52:53], v[50:51], v[8:9]
	global_load_b64 v[54:55], v[52:53], off
	s_wait_loadcnt 0x0
	v_mul_f64_e32 v[54:55], s[36:37], v[54:55]
	v_fmac_f64_e32 v[54:55], s[6:7], v[40:41]
	global_store_b64 v[44:45], v[54:55], off
	global_load_b64 v[40:41], v[52:53], off offset:128
	s_wait_loadcnt 0x0
	v_mul_f64_e32 v[40:41], s[36:37], v[40:41]
	s_delay_alu instid0(VALU_DEP_1) | instskip(SKIP_4) | instid1(VALU_DEP_1)
	v_fmac_f64_e32 v[40:41], s[6:7], v[38:39]
	global_store_b64 v[44:45], v[40:41], off offset:128
	global_load_b64 v[38:39], v[52:53], off offset:256
	s_wait_loadcnt 0x0
	v_mul_f64_e32 v[38:39], s[36:37], v[38:39]
	v_fmac_f64_e32 v[38:39], s[6:7], v[36:37]
	global_store_b64 v[44:45], v[38:39], off offset:256
	global_load_b64 v[36:37], v[52:53], off offset:384
	s_wait_loadcnt 0x0
	v_mul_f64_e32 v[36:37], s[36:37], v[36:37]
	s_delay_alu instid0(VALU_DEP_1) | instskip(SKIP_2) | instid1(VALU_DEP_1)
	v_fmac_f64_e32 v[36:37], s[6:7], v[34:35]
	v_add_nc_u64_e32 v[34:35], s[12:13], v[50:51]
	s_wait_xcnt 0x1
	v_add_nc_u64_e32 v[38:39], v[34:35], v[8:9]
	global_store_b64 v[44:45], v[36:37], off offset:384
	global_load_b64 v[36:37], v[38:39], off
	s_wait_loadcnt 0x0
	v_mul_f64_e32 v[36:37], s[36:37], v[36:37]
	s_delay_alu instid0(VALU_DEP_1)
	v_fmac_f64_e32 v[36:37], s[6:7], v[32:33]
	v_add_nc_u64_e32 v[32:33], v[42:43], v[8:9]
	global_store_b64 v[32:33], v[36:37], off
	global_load_b64 v[36:37], v[38:39], off offset:128
	s_wait_loadcnt 0x0
	v_mul_f64_e32 v[36:37], s[36:37], v[36:37]
	s_delay_alu instid0(VALU_DEP_1) | instskip(SKIP_4) | instid1(VALU_DEP_1)
	v_fmac_f64_e32 v[36:37], s[6:7], v[30:31]
	global_store_b64 v[32:33], v[36:37], off offset:128
	global_load_b64 v[30:31], v[38:39], off offset:256
	s_wait_loadcnt 0x0
	v_mul_f64_e32 v[30:31], s[36:37], v[30:31]
	v_fmac_f64_e32 v[30:31], s[6:7], v[28:29]
	global_store_b64 v[32:33], v[30:31], off offset:256
	global_load_b64 v[28:29], v[38:39], off offset:384
	s_wait_loadcnt 0x0
	v_mul_f64_e32 v[28:29], s[36:37], v[28:29]
	s_delay_alu instid0(VALU_DEP_1) | instskip(SKIP_2) | instid1(VALU_DEP_1)
	v_fmac_f64_e32 v[28:29], s[6:7], v[26:27]
	v_add_nc_u64_e32 v[26:27], s[12:13], v[34:35]
	s_wait_xcnt 0x1
	v_add_nc_u64_e32 v[30:31], v[26:27], v[8:9]
	global_store_b64 v[32:33], v[28:29], off offset:384
	global_load_b64 v[28:29], v[30:31], off
	s_wait_loadcnt 0x0
	v_mul_f64_e32 v[28:29], s[36:37], v[28:29]
	s_delay_alu instid0(VALU_DEP_1) | instskip(SKIP_1) | instid1(VALU_DEP_1)
	v_fmac_f64_e32 v[28:29], s[6:7], v[24:25]
	v_add_nc_u64_e32 v[24:25], s[14:15], v[42:43]
	v_add_nc_u64_e32 v[32:33], v[24:25], v[8:9]
	global_store_b64 v[32:33], v[28:29], off
	global_load_b64 v[28:29], v[30:31], off offset:128
	s_wait_loadcnt 0x0
	v_mul_f64_e32 v[28:29], s[36:37], v[28:29]
	s_delay_alu instid0(VALU_DEP_1) | instskip(SKIP_4) | instid1(VALU_DEP_1)
	v_fmac_f64_e32 v[28:29], s[6:7], v[22:23]
	global_store_b64 v[32:33], v[28:29], off offset:128
	global_load_b64 v[22:23], v[30:31], off offset:256
	s_wait_loadcnt 0x0
	v_mul_f64_e32 v[22:23], s[36:37], v[22:23]
	v_fmac_f64_e32 v[22:23], s[6:7], v[20:21]
	global_store_b64 v[32:33], v[22:23], off offset:256
	global_load_b64 v[20:21], v[30:31], off offset:384
	s_wait_loadcnt 0x0
	v_mul_f64_e32 v[20:21], s[36:37], v[20:21]
	s_delay_alu instid0(VALU_DEP_1) | instskip(SKIP_1) | instid1(VALU_DEP_1)
	v_fmac_f64_e32 v[20:21], s[6:7], v[18:19]
	v_add_nc_u64_e32 v[18:19], s[12:13], v[26:27]
	v_add_nc_u64_e32 v[18:19], v[18:19], v[8:9]
	global_store_b64 v[32:33], v[20:21], off offset:384
	global_load_b64 v[20:21], v[18:19], off
	s_wait_loadcnt 0x0
	v_mul_f64_e32 v[20:21], s[36:37], v[20:21]
	s_delay_alu instid0(VALU_DEP_1) | instskip(SKIP_1) | instid1(VALU_DEP_1)
	v_fmac_f64_e32 v[20:21], s[6:7], v[16:17]
	v_add_nc_u64_e32 v[16:17], s[14:15], v[24:25]
	v_add_nc_u64_e32 v[16:17], v[16:17], v[8:9]
	global_store_b64 v[16:17], v[20:21], off
	global_load_b64 v[20:21], v[18:19], off offset:128
	s_wait_loadcnt 0x0
	v_mul_f64_e32 v[20:21], s[36:37], v[20:21]
	s_delay_alu instid0(VALU_DEP_1) | instskip(SKIP_4) | instid1(VALU_DEP_1)
	v_fmac_f64_e32 v[20:21], s[6:7], v[14:15]
	global_store_b64 v[16:17], v[20:21], off offset:128
	global_load_b64 v[14:15], v[18:19], off offset:256
	s_wait_loadcnt 0x0
	v_mul_f64_e32 v[14:15], s[36:37], v[14:15]
	v_fmac_f64_e32 v[14:15], s[6:7], v[12:13]
	global_store_b64 v[16:17], v[14:15], off offset:256
	global_load_b64 v[12:13], v[18:19], off offset:384
	s_wait_loadcnt 0x0
	v_mul_f64_e32 v[12:13], s[36:37], v[12:13]
	s_delay_alu instid0(VALU_DEP_1)
	v_fmac_f64_e32 v[12:13], s[6:7], v[10:11]
	global_store_b64 v[16:17], v[12:13], off offset:384
	s_branch .LBB284_2
.LBB284_11:
	s_sendmsg sendmsg(MSG_DEALLOC_VGPRS)
	s_endpgm
	.section	.rodata,"a",@progbits
	.p2align	6, 0x0
	.amdhsa_kernel _ZN12_GLOBAL__N_127rocblas_gemm_batched_kernelIdLi16ELi16ELi64ELi64ELi4ELi64ELi4ELi4ELi64ELc67ELc78EKdS1_dEEvlllT_PT11_llS4_llS2_PT12_llPT13_lli
		.amdhsa_group_segment_fixed_size 4096
		.amdhsa_private_segment_fixed_size 0
		.amdhsa_kernarg_size 140
		.amdhsa_user_sgpr_count 2
		.amdhsa_user_sgpr_dispatch_ptr 0
		.amdhsa_user_sgpr_queue_ptr 0
		.amdhsa_user_sgpr_kernarg_segment_ptr 1
		.amdhsa_user_sgpr_dispatch_id 0
		.amdhsa_user_sgpr_kernarg_preload_length 0
		.amdhsa_user_sgpr_kernarg_preload_offset 0
		.amdhsa_user_sgpr_private_segment_size 0
		.amdhsa_wavefront_size32 1
		.amdhsa_uses_dynamic_stack 0
		.amdhsa_enable_private_segment 0
		.amdhsa_system_sgpr_workgroup_id_x 1
		.amdhsa_system_sgpr_workgroup_id_y 1
		.amdhsa_system_sgpr_workgroup_id_z 1
		.amdhsa_system_sgpr_workgroup_info 0
		.amdhsa_system_vgpr_workitem_id 1
		.amdhsa_next_free_vgpr 94
		.amdhsa_next_free_sgpr 44
		.amdhsa_named_barrier_count 0
		.amdhsa_reserve_vcc 1
		.amdhsa_float_round_mode_32 0
		.amdhsa_float_round_mode_16_64 0
		.amdhsa_float_denorm_mode_32 3
		.amdhsa_float_denorm_mode_16_64 3
		.amdhsa_fp16_overflow 0
		.amdhsa_memory_ordered 1
		.amdhsa_forward_progress 1
		.amdhsa_inst_pref_size 18
		.amdhsa_round_robin_scheduling 0
		.amdhsa_exception_fp_ieee_invalid_op 0
		.amdhsa_exception_fp_denorm_src 0
		.amdhsa_exception_fp_ieee_div_zero 0
		.amdhsa_exception_fp_ieee_overflow 0
		.amdhsa_exception_fp_ieee_underflow 0
		.amdhsa_exception_fp_ieee_inexact 0
		.amdhsa_exception_int_div_zero 0
	.end_amdhsa_kernel
	.section	.text._ZN12_GLOBAL__N_127rocblas_gemm_batched_kernelIdLi16ELi16ELi64ELi64ELi4ELi64ELi4ELi4ELi64ELc67ELc78EKdS1_dEEvlllT_PT11_llS4_llS2_PT12_llPT13_lli,"axG",@progbits,_ZN12_GLOBAL__N_127rocblas_gemm_batched_kernelIdLi16ELi16ELi64ELi64ELi4ELi64ELi4ELi4ELi64ELc67ELc78EKdS1_dEEvlllT_PT11_llS4_llS2_PT12_llPT13_lli,comdat
.Lfunc_end284:
	.size	_ZN12_GLOBAL__N_127rocblas_gemm_batched_kernelIdLi16ELi16ELi64ELi64ELi4ELi64ELi4ELi4ELi64ELc67ELc78EKdS1_dEEvlllT_PT11_llS4_llS2_PT12_llPT13_lli, .Lfunc_end284-_ZN12_GLOBAL__N_127rocblas_gemm_batched_kernelIdLi16ELi16ELi64ELi64ELi4ELi64ELi4ELi4ELi64ELc67ELc78EKdS1_dEEvlllT_PT11_llS4_llS2_PT12_llPT13_lli
                                        ; -- End function
	.set _ZN12_GLOBAL__N_127rocblas_gemm_batched_kernelIdLi16ELi16ELi64ELi64ELi4ELi64ELi4ELi4ELi64ELc67ELc78EKdS1_dEEvlllT_PT11_llS4_llS2_PT12_llPT13_lli.num_vgpr, 94
	.set _ZN12_GLOBAL__N_127rocblas_gemm_batched_kernelIdLi16ELi16ELi64ELi64ELi4ELi64ELi4ELi4ELi64ELc67ELc78EKdS1_dEEvlllT_PT11_llS4_llS2_PT12_llPT13_lli.num_agpr, 0
	.set _ZN12_GLOBAL__N_127rocblas_gemm_batched_kernelIdLi16ELi16ELi64ELi64ELi4ELi64ELi4ELi4ELi64ELc67ELc78EKdS1_dEEvlllT_PT11_llS4_llS2_PT12_llPT13_lli.numbered_sgpr, 44
	.set _ZN12_GLOBAL__N_127rocblas_gemm_batched_kernelIdLi16ELi16ELi64ELi64ELi4ELi64ELi4ELi4ELi64ELc67ELc78EKdS1_dEEvlllT_PT11_llS4_llS2_PT12_llPT13_lli.num_named_barrier, 0
	.set _ZN12_GLOBAL__N_127rocblas_gemm_batched_kernelIdLi16ELi16ELi64ELi64ELi4ELi64ELi4ELi4ELi64ELc67ELc78EKdS1_dEEvlllT_PT11_llS4_llS2_PT12_llPT13_lli.private_seg_size, 0
	.set _ZN12_GLOBAL__N_127rocblas_gemm_batched_kernelIdLi16ELi16ELi64ELi64ELi4ELi64ELi4ELi4ELi64ELc67ELc78EKdS1_dEEvlllT_PT11_llS4_llS2_PT12_llPT13_lli.uses_vcc, 1
	.set _ZN12_GLOBAL__N_127rocblas_gemm_batched_kernelIdLi16ELi16ELi64ELi64ELi4ELi64ELi4ELi4ELi64ELc67ELc78EKdS1_dEEvlllT_PT11_llS4_llS2_PT12_llPT13_lli.uses_flat_scratch, 0
	.set _ZN12_GLOBAL__N_127rocblas_gemm_batched_kernelIdLi16ELi16ELi64ELi64ELi4ELi64ELi4ELi4ELi64ELc67ELc78EKdS1_dEEvlllT_PT11_llS4_llS2_PT12_llPT13_lli.has_dyn_sized_stack, 0
	.set _ZN12_GLOBAL__N_127rocblas_gemm_batched_kernelIdLi16ELi16ELi64ELi64ELi4ELi64ELi4ELi4ELi64ELc67ELc78EKdS1_dEEvlllT_PT11_llS4_llS2_PT12_llPT13_lli.has_recursion, 0
	.set _ZN12_GLOBAL__N_127rocblas_gemm_batched_kernelIdLi16ELi16ELi64ELi64ELi4ELi64ELi4ELi4ELi64ELc67ELc78EKdS1_dEEvlllT_PT11_llS4_llS2_PT12_llPT13_lli.has_indirect_call, 0
	.section	.AMDGPU.csdata,"",@progbits
; Kernel info:
; codeLenInByte = 2256
; TotalNumSgprs: 46
; NumVgprs: 94
; ScratchSize: 0
; MemoryBound: 0
; FloatMode: 240
; IeeeMode: 1
; LDSByteSize: 4096 bytes/workgroup (compile time only)
; SGPRBlocks: 0
; VGPRBlocks: 5
; NumSGPRsForWavesPerEU: 46
; NumVGPRsForWavesPerEU: 94
; NamedBarCnt: 0
; Occupancy: 10
; WaveLimiterHint : 1
; COMPUTE_PGM_RSRC2:SCRATCH_EN: 0
; COMPUTE_PGM_RSRC2:USER_SGPR: 2
; COMPUTE_PGM_RSRC2:TRAP_HANDLER: 0
; COMPUTE_PGM_RSRC2:TGID_X_EN: 1
; COMPUTE_PGM_RSRC2:TGID_Y_EN: 1
; COMPUTE_PGM_RSRC2:TGID_Z_EN: 1
; COMPUTE_PGM_RSRC2:TIDIG_COMP_CNT: 1
	.section	.text._ZN12_GLOBAL__N_127rocblas_gemm_batched_kernelIdLi16ELi16ELi64ELi64ELi4ELi64ELi4ELi4ELi64ELc67ELc84EKdS1_dEEvlllT_PT11_llS4_llS2_PT12_llPT13_lli,"axG",@progbits,_ZN12_GLOBAL__N_127rocblas_gemm_batched_kernelIdLi16ELi16ELi64ELi64ELi4ELi64ELi4ELi4ELi64ELc67ELc84EKdS1_dEEvlllT_PT11_llS4_llS2_PT12_llPT13_lli,comdat
	.globl	_ZN12_GLOBAL__N_127rocblas_gemm_batched_kernelIdLi16ELi16ELi64ELi64ELi4ELi64ELi4ELi4ELi64ELc67ELc84EKdS1_dEEvlllT_PT11_llS4_llS2_PT12_llPT13_lli ; -- Begin function _ZN12_GLOBAL__N_127rocblas_gemm_batched_kernelIdLi16ELi16ELi64ELi64ELi4ELi64ELi4ELi4ELi64ELc67ELc84EKdS1_dEEvlllT_PT11_llS4_llS2_PT12_llPT13_lli
	.p2align	8
	.type	_ZN12_GLOBAL__N_127rocblas_gemm_batched_kernelIdLi16ELi16ELi64ELi64ELi4ELi64ELi4ELi4ELi64ELc67ELc84EKdS1_dEEvlllT_PT11_llS4_llS2_PT12_llPT13_lli,@function
_ZN12_GLOBAL__N_127rocblas_gemm_batched_kernelIdLi16ELi16ELi64ELi64ELi4ELi64ELi4ELi4ELi64ELc67ELc84EKdS1_dEEvlllT_PT11_llS4_llS2_PT12_llPT13_lli: ; @_ZN12_GLOBAL__N_127rocblas_gemm_batched_kernelIdLi16ELi16ELi64ELi64ELi4ELi64ELi4ELi4ELi64ELc67ELc84EKdS1_dEEvlllT_PT11_llS4_llS2_PT12_llPT13_lli
; %bb.0:
	s_load_b32 s28, s[0:1], 0x88
	s_bfe_u32 s2, ttmp6, 0x40014
	s_lshr_b32 s3, ttmp7, 16
	s_add_co_i32 s2, s2, 1
	s_bfe_u32 s4, ttmp6, 0x40008
	s_mul_i32 s2, s3, s2
	s_getreg_b32 s29, hwreg(HW_REG_IB_STS2, 6, 4)
	s_add_co_i32 s4, s4, s2
	s_cmp_eq_u32 s29, 0
	s_cselect_b32 s2, s3, s4
	s_mov_b32 s3, 0
	s_wait_kmcnt 0x0
	s_cmp_ge_i32 s2, s28
	s_cbranch_scc1 .LBB285_11
; %bb.1:
	v_bfe_u32 v4, v0, 10, 10
	v_and_b32_e32 v2, 0x3ff, v0
	s_bfe_u32 s30, ttmp6, 0x4000c
	s_bfe_u32 s33, ttmp6, 0x40010
	s_clause 0x1
	s_load_b512 s[4:19], s[0:1], 0x10
	s_load_b256 s[20:27], s[0:1], 0x50
	s_add_co_i32 s30, s30, 1
	s_and_b32 s34, ttmp7, 0xffff
	s_add_co_i32 s33, s33, 1
	s_and_b32 s31, ttmp6, 15
	s_mul_i32 s30, ttmp9, s30
	s_mul_i32 s33, s34, s33
	s_bfe_u32 s35, ttmp6, 0x40004
	v_lshl_add_u32 v16, v4, 4, v2
	s_add_co_i32 s31, s31, s30
	s_add_co_i32 s35, s35, s33
	s_cmp_eq_u32 s29, 0
	s_delay_alu instid0(VALU_DEP_1)
	v_dual_mov_b32 v5, 0 :: v_dual_bitop2_b32 v17, 63, v16 bitop3:0x40
	s_cselect_b32 s30, ttmp9, s31
	s_cselect_b32 s29, s34, s35
	s_ashr_i32 s31, s30, 31
	s_load_b256 s[36:43], s[0:1], 0x70
	s_lshl_b32 s34, s29, 6
	s_mov_b32 s35, s3
	s_lshl_b64 s[30:31], s[30:31], 6
	v_add_nc_u64_e32 v[6:7], s[34:35], v[4:5]
	v_dual_mov_b32 v9, s31 :: v_dual_bitop2_b32 v8, s30, v17 bitop3:0x54
	v_dual_mov_b32 v11, v5 :: v_dual_bitop2_b32 v18, 3, v0 bitop3:0x40
	v_dual_mov_b32 v3, v5 :: v_dual_lshrrev_b32 v10, 2, v16
	s_wait_kmcnt 0x0
	s_delay_alu instid0(VALU_DEP_3)
	v_mul_u64_e32 v[8:9], s[10:11], v[8:9]
	v_mul_u64_e32 v[12:13], s[24:25], v[6:7]
	v_cmp_eq_f64_e64 s1, s[20:21], 0
	v_mad_nc_u64_u32 v[14:15], s16, v18, v[10:11]
	v_lshrrev_b32_e32 v16, 6, v16
	v_lshl_add_u32 v47, v4, 5, 0x800
	v_cmp_gt_i64_e64 s0, s[4:5], 0
	v_dual_lshlrev_b32 v46, 3, v2 :: v_dual_lshlrev_b32 v17, 3, v17
	v_mul_u64_e32 v[0:1], s[38:39], v[6:7]
	v_dual_lshlrev_b32 v6, 3, v18 :: v_dual_lshlrev_b32 v4, 3, v16
	s_lshl_b64 s[24:25], s[24:25], 4
	s_delay_alu instid0(VALU_DEP_3) | instskip(SKIP_1) | instid1(VALU_DEP_3)
	v_lshl_or_b32 v48, v16, 9, v17
	v_mad_u32 v15, s17, v18, v15
	v_lshl_or_b32 v18, v10, 5, v6
	v_add_nc_u64_e32 v[10:11], s[30:31], v[2:3]
	s_lshl_b64 s[30:31], s[38:39], 4
	s_lshl_b64 s[10:11], s[18:19], 3
	;; [unrolled: 1-line block ×3, first 2 shown]
	v_add_nc_u32_e32 v49, 0x800, v18
	s_delay_alu instid0(VALU_DEP_4) | instskip(SKIP_3) | instid1(VALU_DEP_4)
	v_add_nc_u64_e32 v[6:7], s[34:35], v[14:15]
	v_lshl_add_u64 v[8:9], v[8:9], 3, v[4:5]
	v_lshl_add_u64 v[2:3], v[12:13], 3, s[22:23]
	v_cndmask_b32_e64 v12, 0, 1, s0
	v_lshl_add_u64 v[4:5], v[6:7], 3, s[14:15]
	s_lshl_b64 s[14:15], s[24:25], 3
	v_add_nc_u64_e32 v[6:7], s[8:9], v[8:9]
	v_lshlrev_b64_e32 v[8:9], 3, v[10:11]
	v_cmp_ne_u32_e64 s0, 1, v12
	s_lshl_b64 s[8:9], s[16:17], 5
	s_lshl_b64 s[16:17], s[30:31], 3
	s_branch .LBB285_3
.LBB285_2:                              ;   in Loop: Header=BB285_3 Depth=1
	s_add_co_i32 s2, s2, 0x10000
	s_delay_alu instid0(SALU_CYCLE_1)
	s_cmp_lt_i32 s2, s28
	s_cbranch_scc0 .LBB285_11
.LBB285_3:                              ; =>This Loop Header: Depth=1
                                        ;     Child Loop BB285_5 Depth 2
	s_and_b32 vcc_lo, exec_lo, s0
	s_cbranch_vccnz .LBB285_6
; %bb.4:                                ;   in Loop: Header=BB285_3 Depth=1
	v_mad_nc_u64_u32 v[42:43], s10, s2, v[4:5]
	s_wait_xcnt 0xc
	v_mad_nc_u64_u32 v[44:45], s12, s2, v[6:7]
	v_mov_b64_e32 v[10:11], 0
	s_wait_xcnt 0x0
	v_mov_b64_e32 v[12:13], 0
	v_mov_b64_e32 v[14:15], 0
	;; [unrolled: 1-line block ×8, first 2 shown]
	v_mad_u32 v43, s11, s2, v43
	v_mad_u32 v45, s13, s2, v45
	v_mov_b64_e32 v[28:29], 0
	v_mov_b64_e32 v[30:31], 0
	;; [unrolled: 1-line block ×7, first 2 shown]
	s_mov_b64 s[18:19], 0
.LBB285_5:                              ;   Parent Loop BB285_3 Depth=1
                                        ; =>  This Inner Loop Header: Depth=2
	global_load_b64 v[50:51], v[44:45], off
	global_load_b64 v[52:53], v[42:43], off
	s_add_nc_u64 s[18:19], s[18:19], 4
	s_wait_xcnt 0x0
	v_add_nc_u64_e32 v[42:43], s[8:9], v[42:43]
	v_cmp_lt_i64_e64 s22, s[18:19], s[4:5]
	v_add_nc_u64_e32 v[44:45], 32, v[44:45]
	s_wait_loadcnt 0x1
	ds_store_b64 v48, v[50:51]
	s_wait_loadcnt 0x0
	ds_store_b64 v49, v[52:53]
	s_wait_dscnt 0x0
	s_barrier_signal -1
	s_barrier_wait -1
	ds_load_b128 v[50:53], v47
	ds_load_2addr_b64 v[54:57], v46 offset1:16
	ds_load_b128 v[58:61], v47 offset:512
	ds_load_2addr_b64 v[62:65], v46 offset0:32 offset1:48
	ds_load_b128 v[66:69], v47 offset:1024
	ds_load_b128 v[70:73], v47 offset:1536
	ds_load_2addr_b64 v[74:77], v46 offset0:64 offset1:80
	ds_load_b128 v[78:81], v47 offset:16
	ds_load_b128 v[82:85], v47 offset:528
	;; [unrolled: 1-line block ×4, first 2 shown]
	s_and_b32 vcc_lo, exec_lo, s22
	s_wait_dscnt 0x9
	v_fmac_f64_e32 v[40:41], v[54:55], v[50:51]
	v_fmac_f64_e32 v[38:39], v[56:57], v[50:51]
	s_wait_dscnt 0x8
	v_fmac_f64_e32 v[32:33], v[54:55], v[58:59]
	v_fmac_f64_e32 v[30:31], v[56:57], v[58:59]
	;; [unrolled: 3-line block ×4, first 2 shown]
	v_fmac_f64_e32 v[28:29], v[62:63], v[58:59]
	v_fmac_f64_e32 v[26:27], v[64:65], v[58:59]
	s_wait_dscnt 0x5
	v_fmac_f64_e32 v[16:17], v[54:55], v[70:71]
	v_fmac_f64_e32 v[14:15], v[56:57], v[70:71]
	;; [unrolled: 1-line block ×6, first 2 shown]
	ds_load_2addr_b64 v[54:57], v46 offset0:96 offset1:112
	ds_load_2addr_b64 v[62:65], v46 offset0:128 offset1:144
	s_wait_dscnt 0x6
	v_fmac_f64_e32 v[40:41], v[74:75], v[52:53]
	v_fmac_f64_e32 v[38:39], v[76:77], v[52:53]
	;; [unrolled: 1-line block ×4, first 2 shown]
	s_wait_dscnt 0x1
	v_fmac_f64_e32 v[36:37], v[54:55], v[52:53]
	v_fmac_f64_e32 v[34:35], v[56:57], v[52:53]
	;; [unrolled: 1-line block ×12, first 2 shown]
	ds_load_2addr_b64 v[50:53], v46 offset0:160 offset1:176
	ds_load_2addr_b64 v[54:57], v46 offset0:192 offset1:208
	s_wait_dscnt 0x2
	v_fmac_f64_e32 v[40:41], v[62:63], v[78:79]
	v_fmac_f64_e32 v[38:39], v[64:65], v[78:79]
	;; [unrolled: 1-line block ×4, first 2 shown]
	s_wait_dscnt 0x1
	v_fmac_f64_e32 v[36:37], v[50:51], v[78:79]
	v_fmac_f64_e32 v[34:35], v[52:53], v[78:79]
	;; [unrolled: 1-line block ×12, first 2 shown]
	ds_load_2addr_b64 v[50:53], v46 offset0:224 offset1:240
	s_wait_dscnt 0x0
	s_barrier_signal -1
	s_barrier_wait -1
	v_fmac_f64_e32 v[40:41], v[54:55], v[80:81]
	v_fmac_f64_e32 v[38:39], v[56:57], v[80:81]
	;; [unrolled: 1-line block ×16, first 2 shown]
	s_cbranch_vccnz .LBB285_5
	s_branch .LBB285_7
.LBB285_6:                              ;   in Loop: Header=BB285_3 Depth=1
	v_mov_b64_e32 v[40:41], 0
	v_mov_b64_e32 v[38:39], 0
	;; [unrolled: 1-line block ×10, first 2 shown]
	s_wait_xcnt 0x4
	v_mov_b64_e32 v[20:21], 0
	s_wait_xcnt 0x1
	v_mov_b64_e32 v[18:19], 0
	;; [unrolled: 2-line block ×3, first 2 shown]
	v_mov_b64_e32 v[14:15], 0
	v_mov_b64_e32 v[12:13], 0
	;; [unrolled: 1-line block ×3, first 2 shown]
.LBB285_7:                              ;   in Loop: Header=BB285_3 Depth=1
	s_mul_u64 s[18:19], s[40:41], s[2:3]
	s_and_not1_b32 vcc_lo, exec_lo, s1
	s_lshl_b64 s[18:19], s[18:19], 3
	s_delay_alu instid0(SALU_CYCLE_1) | instskip(NEXT) | instid1(SALU_CYCLE_1)
	s_add_nc_u64 s[18:19], s[36:37], s[18:19]
	v_lshl_add_u64 v[42:43], v[0:1], 3, s[18:19]
	s_delay_alu instid0(VALU_DEP_1)
	v_add_nc_u64_e32 v[44:45], v[42:43], v[8:9]
	v_add_nc_u64_e32 v[42:43], s[16:17], v[42:43]
	s_cbranch_vccnz .LBB285_9
; %bb.8:                                ;   in Loop: Header=BB285_3 Depth=1
	v_mul_f64_e32 v[50:51], s[6:7], v[40:41]
	v_mul_f64_e32 v[74:75], s[6:7], v[16:17]
	;; [unrolled: 1-line block ×16, first 2 shown]
	v_add_nc_u64_e32 v[82:83], s[16:17], v[42:43]
	v_add_nc_u64_e32 v[86:87], v[42:43], v[8:9]
	s_delay_alu instid0(VALU_DEP_2)
	v_add_nc_u64_e32 v[84:85], s[16:17], v[82:83]
	v_add_nc_u64_e32 v[82:83], v[82:83], v[8:9]
	s_clause 0xb
	global_store_b64 v[44:45], v[50:51], off
	global_store_b64 v[44:45], v[52:53], off offset:128
	global_store_b64 v[44:45], v[54:55], off offset:256
	global_store_b64 v[44:45], v[56:57], off offset:384
	global_store_b64 v[86:87], v[58:59], off
	global_store_b64 v[86:87], v[60:61], off offset:128
	global_store_b64 v[86:87], v[62:63], off offset:256
	global_store_b64 v[86:87], v[64:65], off offset:384
	;; [unrolled: 4-line block ×3, first 2 shown]
	v_add_nc_u64_e32 v[84:85], v[84:85], v[8:9]
	s_clause 0x3
	global_store_b64 v[84:85], v[74:75], off
	global_store_b64 v[84:85], v[76:77], off offset:128
	global_store_b64 v[84:85], v[78:79], off offset:256
	;; [unrolled: 1-line block ×3, first 2 shown]
	s_cbranch_execnz .LBB285_2
	s_branch .LBB285_10
.LBB285_9:                              ;   in Loop: Header=BB285_3 Depth=1
.LBB285_10:                             ;   in Loop: Header=BB285_3 Depth=1
	s_mul_u64 s[18:19], s[26:27], s[2:3]
	s_wait_xcnt 0xf
	v_lshl_add_u64 v[50:51], s[18:19], 3, v[2:3]
	s_wait_xcnt 0xe
	s_delay_alu instid0(VALU_DEP_1) | instskip(SKIP_3) | instid1(VALU_DEP_1)
	v_add_nc_u64_e32 v[52:53], v[50:51], v[8:9]
	global_load_b64 v[54:55], v[52:53], off
	s_wait_loadcnt 0x0
	v_mul_f64_e32 v[54:55], s[20:21], v[54:55]
	v_fmac_f64_e32 v[54:55], s[6:7], v[40:41]
	global_store_b64 v[44:45], v[54:55], off
	global_load_b64 v[40:41], v[52:53], off offset:128
	s_wait_loadcnt 0x0
	v_mul_f64_e32 v[40:41], s[20:21], v[40:41]
	s_delay_alu instid0(VALU_DEP_1) | instskip(SKIP_4) | instid1(VALU_DEP_1)
	v_fmac_f64_e32 v[40:41], s[6:7], v[38:39]
	global_store_b64 v[44:45], v[40:41], off offset:128
	global_load_b64 v[38:39], v[52:53], off offset:256
	s_wait_loadcnt 0x0
	v_mul_f64_e32 v[38:39], s[20:21], v[38:39]
	v_fmac_f64_e32 v[38:39], s[6:7], v[36:37]
	global_store_b64 v[44:45], v[38:39], off offset:256
	global_load_b64 v[36:37], v[52:53], off offset:384
	s_wait_loadcnt 0x0
	v_mul_f64_e32 v[36:37], s[20:21], v[36:37]
	s_delay_alu instid0(VALU_DEP_1) | instskip(SKIP_2) | instid1(VALU_DEP_1)
	v_fmac_f64_e32 v[36:37], s[6:7], v[34:35]
	v_add_nc_u64_e32 v[34:35], s[14:15], v[50:51]
	s_wait_xcnt 0x1
	v_add_nc_u64_e32 v[38:39], v[34:35], v[8:9]
	global_store_b64 v[44:45], v[36:37], off offset:384
	global_load_b64 v[36:37], v[38:39], off
	s_wait_loadcnt 0x0
	v_mul_f64_e32 v[36:37], s[20:21], v[36:37]
	s_delay_alu instid0(VALU_DEP_1)
	v_fmac_f64_e32 v[36:37], s[6:7], v[32:33]
	v_add_nc_u64_e32 v[32:33], v[42:43], v[8:9]
	global_store_b64 v[32:33], v[36:37], off
	global_load_b64 v[36:37], v[38:39], off offset:128
	s_wait_loadcnt 0x0
	v_mul_f64_e32 v[36:37], s[20:21], v[36:37]
	s_delay_alu instid0(VALU_DEP_1) | instskip(SKIP_4) | instid1(VALU_DEP_1)
	v_fmac_f64_e32 v[36:37], s[6:7], v[30:31]
	global_store_b64 v[32:33], v[36:37], off offset:128
	global_load_b64 v[30:31], v[38:39], off offset:256
	s_wait_loadcnt 0x0
	v_mul_f64_e32 v[30:31], s[20:21], v[30:31]
	v_fmac_f64_e32 v[30:31], s[6:7], v[28:29]
	global_store_b64 v[32:33], v[30:31], off offset:256
	global_load_b64 v[28:29], v[38:39], off offset:384
	s_wait_loadcnt 0x0
	v_mul_f64_e32 v[28:29], s[20:21], v[28:29]
	s_delay_alu instid0(VALU_DEP_1) | instskip(SKIP_2) | instid1(VALU_DEP_1)
	v_fmac_f64_e32 v[28:29], s[6:7], v[26:27]
	v_add_nc_u64_e32 v[26:27], s[14:15], v[34:35]
	s_wait_xcnt 0x1
	v_add_nc_u64_e32 v[30:31], v[26:27], v[8:9]
	global_store_b64 v[32:33], v[28:29], off offset:384
	global_load_b64 v[28:29], v[30:31], off
	s_wait_loadcnt 0x0
	v_mul_f64_e32 v[28:29], s[20:21], v[28:29]
	s_delay_alu instid0(VALU_DEP_1) | instskip(SKIP_1) | instid1(VALU_DEP_1)
	v_fmac_f64_e32 v[28:29], s[6:7], v[24:25]
	v_add_nc_u64_e32 v[24:25], s[16:17], v[42:43]
	v_add_nc_u64_e32 v[32:33], v[24:25], v[8:9]
	global_store_b64 v[32:33], v[28:29], off
	global_load_b64 v[28:29], v[30:31], off offset:128
	s_wait_loadcnt 0x0
	v_mul_f64_e32 v[28:29], s[20:21], v[28:29]
	s_delay_alu instid0(VALU_DEP_1) | instskip(SKIP_4) | instid1(VALU_DEP_1)
	v_fmac_f64_e32 v[28:29], s[6:7], v[22:23]
	global_store_b64 v[32:33], v[28:29], off offset:128
	global_load_b64 v[22:23], v[30:31], off offset:256
	s_wait_loadcnt 0x0
	v_mul_f64_e32 v[22:23], s[20:21], v[22:23]
	v_fmac_f64_e32 v[22:23], s[6:7], v[20:21]
	global_store_b64 v[32:33], v[22:23], off offset:256
	global_load_b64 v[20:21], v[30:31], off offset:384
	s_wait_loadcnt 0x0
	v_mul_f64_e32 v[20:21], s[20:21], v[20:21]
	s_delay_alu instid0(VALU_DEP_1) | instskip(SKIP_1) | instid1(VALU_DEP_1)
	v_fmac_f64_e32 v[20:21], s[6:7], v[18:19]
	v_add_nc_u64_e32 v[18:19], s[14:15], v[26:27]
	v_add_nc_u64_e32 v[18:19], v[18:19], v[8:9]
	global_store_b64 v[32:33], v[20:21], off offset:384
	global_load_b64 v[20:21], v[18:19], off
	s_wait_loadcnt 0x0
	v_mul_f64_e32 v[20:21], s[20:21], v[20:21]
	s_delay_alu instid0(VALU_DEP_1) | instskip(SKIP_1) | instid1(VALU_DEP_1)
	v_fmac_f64_e32 v[20:21], s[6:7], v[16:17]
	v_add_nc_u64_e32 v[16:17], s[16:17], v[24:25]
	v_add_nc_u64_e32 v[16:17], v[16:17], v[8:9]
	global_store_b64 v[16:17], v[20:21], off
	global_load_b64 v[20:21], v[18:19], off offset:128
	s_wait_loadcnt 0x0
	v_mul_f64_e32 v[20:21], s[20:21], v[20:21]
	s_delay_alu instid0(VALU_DEP_1) | instskip(SKIP_4) | instid1(VALU_DEP_1)
	v_fmac_f64_e32 v[20:21], s[6:7], v[14:15]
	global_store_b64 v[16:17], v[20:21], off offset:128
	global_load_b64 v[14:15], v[18:19], off offset:256
	s_wait_loadcnt 0x0
	v_mul_f64_e32 v[14:15], s[20:21], v[14:15]
	v_fmac_f64_e32 v[14:15], s[6:7], v[12:13]
	global_store_b64 v[16:17], v[14:15], off offset:256
	global_load_b64 v[12:13], v[18:19], off offset:384
	s_wait_loadcnt 0x0
	v_mul_f64_e32 v[12:13], s[20:21], v[12:13]
	s_delay_alu instid0(VALU_DEP_1)
	v_fmac_f64_e32 v[12:13], s[6:7], v[10:11]
	global_store_b64 v[16:17], v[12:13], off offset:384
	s_branch .LBB285_2
.LBB285_11:
	s_sendmsg sendmsg(MSG_DEALLOC_VGPRS)
	s_endpgm
	.section	.rodata,"a",@progbits
	.p2align	6, 0x0
	.amdhsa_kernel _ZN12_GLOBAL__N_127rocblas_gemm_batched_kernelIdLi16ELi16ELi64ELi64ELi4ELi64ELi4ELi4ELi64ELc67ELc84EKdS1_dEEvlllT_PT11_llS4_llS2_PT12_llPT13_lli
		.amdhsa_group_segment_fixed_size 4096
		.amdhsa_private_segment_fixed_size 0
		.amdhsa_kernarg_size 140
		.amdhsa_user_sgpr_count 2
		.amdhsa_user_sgpr_dispatch_ptr 0
		.amdhsa_user_sgpr_queue_ptr 0
		.amdhsa_user_sgpr_kernarg_segment_ptr 1
		.amdhsa_user_sgpr_dispatch_id 0
		.amdhsa_user_sgpr_kernarg_preload_length 0
		.amdhsa_user_sgpr_kernarg_preload_offset 0
		.amdhsa_user_sgpr_private_segment_size 0
		.amdhsa_wavefront_size32 1
		.amdhsa_uses_dynamic_stack 0
		.amdhsa_enable_private_segment 0
		.amdhsa_system_sgpr_workgroup_id_x 1
		.amdhsa_system_sgpr_workgroup_id_y 1
		.amdhsa_system_sgpr_workgroup_id_z 1
		.amdhsa_system_sgpr_workgroup_info 0
		.amdhsa_system_vgpr_workitem_id 1
		.amdhsa_next_free_vgpr 94
		.amdhsa_next_free_sgpr 44
		.amdhsa_named_barrier_count 0
		.amdhsa_reserve_vcc 1
		.amdhsa_float_round_mode_32 0
		.amdhsa_float_round_mode_16_64 0
		.amdhsa_float_denorm_mode_32 3
		.amdhsa_float_denorm_mode_16_64 3
		.amdhsa_fp16_overflow 0
		.amdhsa_memory_ordered 1
		.amdhsa_forward_progress 1
		.amdhsa_inst_pref_size 18
		.amdhsa_round_robin_scheduling 0
		.amdhsa_exception_fp_ieee_invalid_op 0
		.amdhsa_exception_fp_denorm_src 0
		.amdhsa_exception_fp_ieee_div_zero 0
		.amdhsa_exception_fp_ieee_overflow 0
		.amdhsa_exception_fp_ieee_underflow 0
		.amdhsa_exception_fp_ieee_inexact 0
		.amdhsa_exception_int_div_zero 0
	.end_amdhsa_kernel
	.section	.text._ZN12_GLOBAL__N_127rocblas_gemm_batched_kernelIdLi16ELi16ELi64ELi64ELi4ELi64ELi4ELi4ELi64ELc67ELc84EKdS1_dEEvlllT_PT11_llS4_llS2_PT12_llPT13_lli,"axG",@progbits,_ZN12_GLOBAL__N_127rocblas_gemm_batched_kernelIdLi16ELi16ELi64ELi64ELi4ELi64ELi4ELi4ELi64ELc67ELc84EKdS1_dEEvlllT_PT11_llS4_llS2_PT12_llPT13_lli,comdat
.Lfunc_end285:
	.size	_ZN12_GLOBAL__N_127rocblas_gemm_batched_kernelIdLi16ELi16ELi64ELi64ELi4ELi64ELi4ELi4ELi64ELc67ELc84EKdS1_dEEvlllT_PT11_llS4_llS2_PT12_llPT13_lli, .Lfunc_end285-_ZN12_GLOBAL__N_127rocblas_gemm_batched_kernelIdLi16ELi16ELi64ELi64ELi4ELi64ELi4ELi4ELi64ELc67ELc84EKdS1_dEEvlllT_PT11_llS4_llS2_PT12_llPT13_lli
                                        ; -- End function
	.set _ZN12_GLOBAL__N_127rocblas_gemm_batched_kernelIdLi16ELi16ELi64ELi64ELi4ELi64ELi4ELi4ELi64ELc67ELc84EKdS1_dEEvlllT_PT11_llS4_llS2_PT12_llPT13_lli.num_vgpr, 94
	.set _ZN12_GLOBAL__N_127rocblas_gemm_batched_kernelIdLi16ELi16ELi64ELi64ELi4ELi64ELi4ELi4ELi64ELc67ELc84EKdS1_dEEvlllT_PT11_llS4_llS2_PT12_llPT13_lli.num_agpr, 0
	.set _ZN12_GLOBAL__N_127rocblas_gemm_batched_kernelIdLi16ELi16ELi64ELi64ELi4ELi64ELi4ELi4ELi64ELc67ELc84EKdS1_dEEvlllT_PT11_llS4_llS2_PT12_llPT13_lli.numbered_sgpr, 44
	.set _ZN12_GLOBAL__N_127rocblas_gemm_batched_kernelIdLi16ELi16ELi64ELi64ELi4ELi64ELi4ELi4ELi64ELc67ELc84EKdS1_dEEvlllT_PT11_llS4_llS2_PT12_llPT13_lli.num_named_barrier, 0
	.set _ZN12_GLOBAL__N_127rocblas_gemm_batched_kernelIdLi16ELi16ELi64ELi64ELi4ELi64ELi4ELi4ELi64ELc67ELc84EKdS1_dEEvlllT_PT11_llS4_llS2_PT12_llPT13_lli.private_seg_size, 0
	.set _ZN12_GLOBAL__N_127rocblas_gemm_batched_kernelIdLi16ELi16ELi64ELi64ELi4ELi64ELi4ELi4ELi64ELc67ELc84EKdS1_dEEvlllT_PT11_llS4_llS2_PT12_llPT13_lli.uses_vcc, 1
	.set _ZN12_GLOBAL__N_127rocblas_gemm_batched_kernelIdLi16ELi16ELi64ELi64ELi4ELi64ELi4ELi4ELi64ELc67ELc84EKdS1_dEEvlllT_PT11_llS4_llS2_PT12_llPT13_lli.uses_flat_scratch, 0
	.set _ZN12_GLOBAL__N_127rocblas_gemm_batched_kernelIdLi16ELi16ELi64ELi64ELi4ELi64ELi4ELi4ELi64ELc67ELc84EKdS1_dEEvlllT_PT11_llS4_llS2_PT12_llPT13_lli.has_dyn_sized_stack, 0
	.set _ZN12_GLOBAL__N_127rocblas_gemm_batched_kernelIdLi16ELi16ELi64ELi64ELi4ELi64ELi4ELi4ELi64ELc67ELc84EKdS1_dEEvlllT_PT11_llS4_llS2_PT12_llPT13_lli.has_recursion, 0
	.set _ZN12_GLOBAL__N_127rocblas_gemm_batched_kernelIdLi16ELi16ELi64ELi64ELi4ELi64ELi4ELi4ELi64ELc67ELc84EKdS1_dEEvlllT_PT11_llS4_llS2_PT12_llPT13_lli.has_indirect_call, 0
	.section	.AMDGPU.csdata,"",@progbits
; Kernel info:
; codeLenInByte = 2264
; TotalNumSgprs: 46
; NumVgprs: 94
; ScratchSize: 0
; MemoryBound: 0
; FloatMode: 240
; IeeeMode: 1
; LDSByteSize: 4096 bytes/workgroup (compile time only)
; SGPRBlocks: 0
; VGPRBlocks: 5
; NumSGPRsForWavesPerEU: 46
; NumVGPRsForWavesPerEU: 94
; NamedBarCnt: 0
; Occupancy: 10
; WaveLimiterHint : 1
; COMPUTE_PGM_RSRC2:SCRATCH_EN: 0
; COMPUTE_PGM_RSRC2:USER_SGPR: 2
; COMPUTE_PGM_RSRC2:TRAP_HANDLER: 0
; COMPUTE_PGM_RSRC2:TGID_X_EN: 1
; COMPUTE_PGM_RSRC2:TGID_Y_EN: 1
; COMPUTE_PGM_RSRC2:TGID_Z_EN: 1
; COMPUTE_PGM_RSRC2:TIDIG_COMP_CNT: 1
	.section	.text._ZN12_GLOBAL__N_127rocblas_gemm_batched_kernelIdLi16ELi16ELi64ELi64ELi4ELi64ELi4ELi4ELi64ELc78ELc67EKdS1_dEEvlllT_PT11_llS4_llS2_PT12_llPT13_lli,"axG",@progbits,_ZN12_GLOBAL__N_127rocblas_gemm_batched_kernelIdLi16ELi16ELi64ELi64ELi4ELi64ELi4ELi4ELi64ELc78ELc67EKdS1_dEEvlllT_PT11_llS4_llS2_PT12_llPT13_lli,comdat
	.globl	_ZN12_GLOBAL__N_127rocblas_gemm_batched_kernelIdLi16ELi16ELi64ELi64ELi4ELi64ELi4ELi4ELi64ELc78ELc67EKdS1_dEEvlllT_PT11_llS4_llS2_PT12_llPT13_lli ; -- Begin function _ZN12_GLOBAL__N_127rocblas_gemm_batched_kernelIdLi16ELi16ELi64ELi64ELi4ELi64ELi4ELi4ELi64ELc78ELc67EKdS1_dEEvlllT_PT11_llS4_llS2_PT12_llPT13_lli
	.p2align	8
	.type	_ZN12_GLOBAL__N_127rocblas_gemm_batched_kernelIdLi16ELi16ELi64ELi64ELi4ELi64ELi4ELi4ELi64ELc78ELc67EKdS1_dEEvlllT_PT11_llS4_llS2_PT12_llPT13_lli,@function
_ZN12_GLOBAL__N_127rocblas_gemm_batched_kernelIdLi16ELi16ELi64ELi64ELi4ELi64ELi4ELi4ELi64ELc78ELc67EKdS1_dEEvlllT_PT11_llS4_llS2_PT12_llPT13_lli: ; @_ZN12_GLOBAL__N_127rocblas_gemm_batched_kernelIdLi16ELi16ELi64ELi64ELi4ELi64ELi4ELi4ELi64ELc78ELc67EKdS1_dEEvlllT_PT11_llS4_llS2_PT12_llPT13_lli
; %bb.0:
	s_load_b32 s28, s[0:1], 0x88
	s_bfe_u32 s2, ttmp6, 0x40014
	s_lshr_b32 s3, ttmp7, 16
	s_add_co_i32 s2, s2, 1
	s_bfe_u32 s4, ttmp6, 0x40008
	s_mul_i32 s2, s3, s2
	s_getreg_b32 s29, hwreg(HW_REG_IB_STS2, 6, 4)
	s_add_co_i32 s4, s4, s2
	s_cmp_eq_u32 s29, 0
	s_cselect_b32 s2, s3, s4
	s_mov_b32 s3, 0
	s_wait_kmcnt 0x0
	s_cmp_ge_i32 s2, s28
	s_cbranch_scc1 .LBB286_11
; %bb.1:
	s_clause 0x1
	s_load_b512 s[4:19], s[0:1], 0x10
	s_load_b256 s[20:27], s[0:1], 0x50
	s_bfe_u32 s30, ttmp6, 0x4000c
	s_bfe_u32 s33, ttmp6, 0x40010
	s_add_co_i32 s30, s30, 1
	s_and_b32 s34, ttmp7, 0xffff
	s_add_co_i32 s33, s33, 1
	s_and_b32 s31, ttmp6, 15
	s_mul_i32 s30, ttmp9, s30
	s_mul_i32 s33, s34, s33
	s_bfe_u32 s35, ttmp6, 0x40004
	s_add_co_i32 s31, s31, s30
	s_add_co_i32 s35, s35, s33
	s_cmp_eq_u32 s29, 0
	v_bfe_u32 v2, v0, 10, 10
	v_dual_mov_b32 v3, 0 :: v_dual_bitop2_b32 v17, 3, v0 bitop3:0x40
	s_cselect_b32 s29, s34, s35
	s_load_b256 s[36:43], s[0:1], 0x70
	s_cselect_b32 s30, ttmp9, s31
	s_lshl_b32 s34, s29, 6
	s_mov_b32 s35, s3
	v_and_b32_e32 v4, 0x3ff, v0
	v_add_nc_u64_e32 v[6:7], s[34:35], v[2:3]
	v_mov_b32_e32 v9, v3
	s_ashr_i32 s31, s30, 31
	v_mov_b32_e32 v5, v3
	v_lshl_add_u32 v16, v2, 4, v4
	s_lshl_b64 s[30:31], s[30:31], 6
	s_wait_kmcnt 0x0
	v_cmp_eq_f64_e64 s1, s[20:21], 0
	v_mul_u64_e32 v[10:11], s[24:25], v[6:7]
	v_cmp_gt_i64_e64 s0, s[4:5], 0
	v_dual_lshrrev_b32 v8, 2, v16 :: v_dual_lshrrev_b32 v18, 6, v16
	v_lshlrev_b32_e32 v46, 3, v4
	v_lshl_add_u32 v47, v2, 5, 0x800
	s_lshl_b64 s[24:25], s[24:25], 4
	s_delay_alu instid0(VALU_DEP_3) | instskip(SKIP_3) | instid1(VALU_DEP_1)
	v_mad_nc_u64_u32 v[12:13], s16, v17, v[8:9]
	v_mad_nc_u64_u32 v[14:15], s10, v18, s[30:31]
	v_mul_u64_e32 v[0:1], s[38:39], v[6:7]
	v_dual_lshlrev_b32 v9, 3, v17 :: v_dual_bitop2_b32 v6, 63, v16 bitop3:0x40
	v_dual_mov_b32 v7, v3 :: v_dual_lshlrev_b32 v3, 3, v6
	s_delay_alu instid0(VALU_DEP_2)
	v_lshl_or_b32 v16, v8, 5, v9
	v_add_nc_u64_e32 v[8:9], s[30:31], v[4:5]
	v_mad_u32 v13, s17, v17, v13
	v_mad_u32 v15, s11, v18, v15
	v_lshl_or_b32 v48, v18, 9, v3
	v_add_nc_u32_e32 v49, 0x800, v16
	s_lshl_b64 s[30:31], s[38:39], 4
	s_lshl_b64 s[16:17], s[16:17], 5
	v_lshlrev_b64_e32 v[8:9], 3, v[8:9]
	s_lshl_b64 s[10:11], s[10:11], 5
	v_add_nc_u64_e32 v[4:5], s[34:35], v[12:13]
	v_add_nc_u64_e32 v[6:7], v[14:15], v[6:7]
	v_lshl_add_u64 v[2:3], v[10:11], 3, s[22:23]
	v_cndmask_b32_e64 v10, 0, 1, s0
	s_delay_alu instid0(VALU_DEP_4) | instskip(NEXT) | instid1(VALU_DEP_4)
	v_lshl_add_u64 v[4:5], v[4:5], 3, s[14:15]
	v_lshl_add_u64 v[6:7], v[6:7], 3, s[8:9]
	s_delay_alu instid0(VALU_DEP_3)
	v_cmp_ne_u32_e64 s0, 1, v10
	s_lshl_b64 s[14:15], s[18:19], 3
	s_lshl_b64 s[8:9], s[12:13], 3
	;; [unrolled: 1-line block ×4, first 2 shown]
	s_branch .LBB286_3
.LBB286_2:                              ;   in Loop: Header=BB286_3 Depth=1
	s_add_co_i32 s2, s2, 0x10000
	s_delay_alu instid0(SALU_CYCLE_1)
	s_cmp_lt_i32 s2, s28
	s_cbranch_scc0 .LBB286_11
.LBB286_3:                              ; =>This Loop Header: Depth=1
                                        ;     Child Loop BB286_5 Depth 2
	s_and_b32 vcc_lo, exec_lo, s0
	s_cbranch_vccnz .LBB286_6
; %bb.4:                                ;   in Loop: Header=BB286_3 Depth=1
	v_mad_nc_u64_u32 v[42:43], s14, s2, v[4:5]
	s_wait_xcnt 0xc
	v_mad_nc_u64_u32 v[44:45], s8, s2, v[6:7]
	v_mov_b64_e32 v[10:11], 0
	s_wait_xcnt 0x0
	v_mov_b64_e32 v[12:13], 0
	v_mov_b64_e32 v[14:15], 0
	;; [unrolled: 1-line block ×8, first 2 shown]
	v_mad_u32 v43, s15, s2, v43
	v_mad_u32 v45, s9, s2, v45
	v_mov_b64_e32 v[28:29], 0
	v_mov_b64_e32 v[30:31], 0
	;; [unrolled: 1-line block ×7, first 2 shown]
	s_mov_b64 s[22:23], 0
.LBB286_5:                              ;   Parent Loop BB286_3 Depth=1
                                        ; =>  This Inner Loop Header: Depth=2
	global_load_b64 v[50:51], v[44:45], off
	global_load_b64 v[52:53], v[42:43], off
	s_add_nc_u64 s[22:23], s[22:23], 4
	s_wait_xcnt 0x0
	v_add_nc_u64_e32 v[42:43], s[16:17], v[42:43]
	v_cmp_lt_i64_e64 s24, s[22:23], s[4:5]
	v_add_nc_u64_e32 v[44:45], s[10:11], v[44:45]
	s_wait_loadcnt 0x1
	ds_store_b64 v48, v[50:51]
	s_wait_loadcnt 0x0
	ds_store_b64 v49, v[52:53]
	s_wait_dscnt 0x0
	s_barrier_signal -1
	s_barrier_wait -1
	ds_load_b128 v[50:53], v47
	ds_load_2addr_b64 v[54:57], v46 offset1:16
	ds_load_b128 v[58:61], v47 offset:512
	ds_load_2addr_b64 v[62:65], v46 offset0:32 offset1:48
	ds_load_b128 v[66:69], v47 offset:1024
	ds_load_b128 v[70:73], v47 offset:1536
	ds_load_2addr_b64 v[74:77], v46 offset0:64 offset1:80
	ds_load_b128 v[78:81], v47 offset:16
	ds_load_b128 v[82:85], v47 offset:528
	;; [unrolled: 1-line block ×4, first 2 shown]
	s_and_b32 vcc_lo, exec_lo, s24
	s_wait_dscnt 0x9
	v_fmac_f64_e32 v[40:41], v[54:55], v[50:51]
	v_fmac_f64_e32 v[38:39], v[56:57], v[50:51]
	s_wait_dscnt 0x8
	v_fmac_f64_e32 v[32:33], v[54:55], v[58:59]
	v_fmac_f64_e32 v[30:31], v[56:57], v[58:59]
	;; [unrolled: 3-line block ×4, first 2 shown]
	v_fmac_f64_e32 v[28:29], v[62:63], v[58:59]
	v_fmac_f64_e32 v[26:27], v[64:65], v[58:59]
	s_wait_dscnt 0x5
	v_fmac_f64_e32 v[16:17], v[54:55], v[70:71]
	v_fmac_f64_e32 v[14:15], v[56:57], v[70:71]
	;; [unrolled: 1-line block ×6, first 2 shown]
	ds_load_2addr_b64 v[54:57], v46 offset0:96 offset1:112
	ds_load_2addr_b64 v[62:65], v46 offset0:128 offset1:144
	s_wait_dscnt 0x6
	v_fmac_f64_e32 v[40:41], v[74:75], v[52:53]
	v_fmac_f64_e32 v[38:39], v[76:77], v[52:53]
	;; [unrolled: 1-line block ×4, first 2 shown]
	s_wait_dscnt 0x1
	v_fmac_f64_e32 v[36:37], v[54:55], v[52:53]
	v_fmac_f64_e32 v[34:35], v[56:57], v[52:53]
	;; [unrolled: 1-line block ×12, first 2 shown]
	ds_load_2addr_b64 v[50:53], v46 offset0:160 offset1:176
	ds_load_2addr_b64 v[54:57], v46 offset0:192 offset1:208
	s_wait_dscnt 0x2
	v_fmac_f64_e32 v[40:41], v[62:63], v[78:79]
	v_fmac_f64_e32 v[38:39], v[64:65], v[78:79]
	;; [unrolled: 1-line block ×4, first 2 shown]
	s_wait_dscnt 0x1
	v_fmac_f64_e32 v[36:37], v[50:51], v[78:79]
	v_fmac_f64_e32 v[34:35], v[52:53], v[78:79]
	;; [unrolled: 1-line block ×12, first 2 shown]
	ds_load_2addr_b64 v[50:53], v46 offset0:224 offset1:240
	s_wait_dscnt 0x0
	s_barrier_signal -1
	s_barrier_wait -1
	v_fmac_f64_e32 v[40:41], v[54:55], v[80:81]
	v_fmac_f64_e32 v[38:39], v[56:57], v[80:81]
	;; [unrolled: 1-line block ×16, first 2 shown]
	s_cbranch_vccnz .LBB286_5
	s_branch .LBB286_7
.LBB286_6:                              ;   in Loop: Header=BB286_3 Depth=1
	v_mov_b64_e32 v[40:41], 0
	v_mov_b64_e32 v[38:39], 0
	;; [unrolled: 1-line block ×10, first 2 shown]
	s_wait_xcnt 0x4
	v_mov_b64_e32 v[20:21], 0
	s_wait_xcnt 0x1
	v_mov_b64_e32 v[18:19], 0
	;; [unrolled: 2-line block ×3, first 2 shown]
	v_mov_b64_e32 v[14:15], 0
	v_mov_b64_e32 v[12:13], 0
	;; [unrolled: 1-line block ×3, first 2 shown]
.LBB286_7:                              ;   in Loop: Header=BB286_3 Depth=1
	s_mul_u64 s[22:23], s[40:41], s[2:3]
	s_and_not1_b32 vcc_lo, exec_lo, s1
	s_lshl_b64 s[22:23], s[22:23], 3
	s_delay_alu instid0(SALU_CYCLE_1) | instskip(NEXT) | instid1(SALU_CYCLE_1)
	s_add_nc_u64 s[22:23], s[36:37], s[22:23]
	v_lshl_add_u64 v[42:43], v[0:1], 3, s[22:23]
	s_delay_alu instid0(VALU_DEP_1)
	v_add_nc_u64_e32 v[44:45], v[42:43], v[8:9]
	v_add_nc_u64_e32 v[42:43], s[18:19], v[42:43]
	s_cbranch_vccnz .LBB286_9
; %bb.8:                                ;   in Loop: Header=BB286_3 Depth=1
	v_mul_f64_e32 v[50:51], s[6:7], v[40:41]
	v_mul_f64_e32 v[74:75], s[6:7], v[16:17]
	;; [unrolled: 1-line block ×16, first 2 shown]
	v_add_nc_u64_e32 v[82:83], s[18:19], v[42:43]
	v_add_nc_u64_e32 v[86:87], v[42:43], v[8:9]
	s_delay_alu instid0(VALU_DEP_2)
	v_add_nc_u64_e32 v[84:85], s[18:19], v[82:83]
	v_add_nc_u64_e32 v[82:83], v[82:83], v[8:9]
	s_clause 0xb
	global_store_b64 v[44:45], v[50:51], off
	global_store_b64 v[44:45], v[52:53], off offset:128
	global_store_b64 v[44:45], v[54:55], off offset:256
	global_store_b64 v[44:45], v[56:57], off offset:384
	global_store_b64 v[86:87], v[58:59], off
	global_store_b64 v[86:87], v[60:61], off offset:128
	global_store_b64 v[86:87], v[62:63], off offset:256
	global_store_b64 v[86:87], v[64:65], off offset:384
	;; [unrolled: 4-line block ×3, first 2 shown]
	v_add_nc_u64_e32 v[84:85], v[84:85], v[8:9]
	s_clause 0x3
	global_store_b64 v[84:85], v[74:75], off
	global_store_b64 v[84:85], v[76:77], off offset:128
	global_store_b64 v[84:85], v[78:79], off offset:256
	;; [unrolled: 1-line block ×3, first 2 shown]
	s_cbranch_execnz .LBB286_2
	s_branch .LBB286_10
.LBB286_9:                              ;   in Loop: Header=BB286_3 Depth=1
.LBB286_10:                             ;   in Loop: Header=BB286_3 Depth=1
	s_mul_u64 s[22:23], s[26:27], s[2:3]
	s_wait_xcnt 0xf
	v_lshl_add_u64 v[50:51], s[22:23], 3, v[2:3]
	s_wait_xcnt 0xe
	s_delay_alu instid0(VALU_DEP_1) | instskip(SKIP_3) | instid1(VALU_DEP_1)
	v_add_nc_u64_e32 v[52:53], v[50:51], v[8:9]
	global_load_b64 v[54:55], v[52:53], off
	s_wait_loadcnt 0x0
	v_mul_f64_e32 v[54:55], s[20:21], v[54:55]
	v_fmac_f64_e32 v[54:55], s[6:7], v[40:41]
	global_store_b64 v[44:45], v[54:55], off
	global_load_b64 v[40:41], v[52:53], off offset:128
	s_wait_loadcnt 0x0
	v_mul_f64_e32 v[40:41], s[20:21], v[40:41]
	s_delay_alu instid0(VALU_DEP_1) | instskip(SKIP_4) | instid1(VALU_DEP_1)
	v_fmac_f64_e32 v[40:41], s[6:7], v[38:39]
	global_store_b64 v[44:45], v[40:41], off offset:128
	global_load_b64 v[38:39], v[52:53], off offset:256
	s_wait_loadcnt 0x0
	v_mul_f64_e32 v[38:39], s[20:21], v[38:39]
	v_fmac_f64_e32 v[38:39], s[6:7], v[36:37]
	global_store_b64 v[44:45], v[38:39], off offset:256
	global_load_b64 v[36:37], v[52:53], off offset:384
	s_wait_loadcnt 0x0
	v_mul_f64_e32 v[36:37], s[20:21], v[36:37]
	s_delay_alu instid0(VALU_DEP_1) | instskip(SKIP_2) | instid1(VALU_DEP_1)
	v_fmac_f64_e32 v[36:37], s[6:7], v[34:35]
	v_add_nc_u64_e32 v[34:35], s[12:13], v[50:51]
	s_wait_xcnt 0x1
	v_add_nc_u64_e32 v[38:39], v[34:35], v[8:9]
	global_store_b64 v[44:45], v[36:37], off offset:384
	global_load_b64 v[36:37], v[38:39], off
	s_wait_loadcnt 0x0
	v_mul_f64_e32 v[36:37], s[20:21], v[36:37]
	s_delay_alu instid0(VALU_DEP_1)
	v_fmac_f64_e32 v[36:37], s[6:7], v[32:33]
	v_add_nc_u64_e32 v[32:33], v[42:43], v[8:9]
	global_store_b64 v[32:33], v[36:37], off
	global_load_b64 v[36:37], v[38:39], off offset:128
	s_wait_loadcnt 0x0
	v_mul_f64_e32 v[36:37], s[20:21], v[36:37]
	s_delay_alu instid0(VALU_DEP_1) | instskip(SKIP_4) | instid1(VALU_DEP_1)
	v_fmac_f64_e32 v[36:37], s[6:7], v[30:31]
	global_store_b64 v[32:33], v[36:37], off offset:128
	global_load_b64 v[30:31], v[38:39], off offset:256
	s_wait_loadcnt 0x0
	v_mul_f64_e32 v[30:31], s[20:21], v[30:31]
	v_fmac_f64_e32 v[30:31], s[6:7], v[28:29]
	global_store_b64 v[32:33], v[30:31], off offset:256
	global_load_b64 v[28:29], v[38:39], off offset:384
	s_wait_loadcnt 0x0
	v_mul_f64_e32 v[28:29], s[20:21], v[28:29]
	s_delay_alu instid0(VALU_DEP_1) | instskip(SKIP_2) | instid1(VALU_DEP_1)
	v_fmac_f64_e32 v[28:29], s[6:7], v[26:27]
	v_add_nc_u64_e32 v[26:27], s[12:13], v[34:35]
	s_wait_xcnt 0x1
	v_add_nc_u64_e32 v[30:31], v[26:27], v[8:9]
	global_store_b64 v[32:33], v[28:29], off offset:384
	global_load_b64 v[28:29], v[30:31], off
	s_wait_loadcnt 0x0
	v_mul_f64_e32 v[28:29], s[20:21], v[28:29]
	s_delay_alu instid0(VALU_DEP_1) | instskip(SKIP_1) | instid1(VALU_DEP_1)
	v_fmac_f64_e32 v[28:29], s[6:7], v[24:25]
	v_add_nc_u64_e32 v[24:25], s[18:19], v[42:43]
	v_add_nc_u64_e32 v[32:33], v[24:25], v[8:9]
	global_store_b64 v[32:33], v[28:29], off
	global_load_b64 v[28:29], v[30:31], off offset:128
	s_wait_loadcnt 0x0
	v_mul_f64_e32 v[28:29], s[20:21], v[28:29]
	s_delay_alu instid0(VALU_DEP_1) | instskip(SKIP_4) | instid1(VALU_DEP_1)
	v_fmac_f64_e32 v[28:29], s[6:7], v[22:23]
	global_store_b64 v[32:33], v[28:29], off offset:128
	global_load_b64 v[22:23], v[30:31], off offset:256
	s_wait_loadcnt 0x0
	v_mul_f64_e32 v[22:23], s[20:21], v[22:23]
	v_fmac_f64_e32 v[22:23], s[6:7], v[20:21]
	global_store_b64 v[32:33], v[22:23], off offset:256
	global_load_b64 v[20:21], v[30:31], off offset:384
	s_wait_loadcnt 0x0
	v_mul_f64_e32 v[20:21], s[20:21], v[20:21]
	s_delay_alu instid0(VALU_DEP_1) | instskip(SKIP_1) | instid1(VALU_DEP_1)
	v_fmac_f64_e32 v[20:21], s[6:7], v[18:19]
	v_add_nc_u64_e32 v[18:19], s[12:13], v[26:27]
	v_add_nc_u64_e32 v[18:19], v[18:19], v[8:9]
	global_store_b64 v[32:33], v[20:21], off offset:384
	global_load_b64 v[20:21], v[18:19], off
	s_wait_loadcnt 0x0
	v_mul_f64_e32 v[20:21], s[20:21], v[20:21]
	s_delay_alu instid0(VALU_DEP_1) | instskip(SKIP_1) | instid1(VALU_DEP_1)
	v_fmac_f64_e32 v[20:21], s[6:7], v[16:17]
	v_add_nc_u64_e32 v[16:17], s[18:19], v[24:25]
	v_add_nc_u64_e32 v[16:17], v[16:17], v[8:9]
	global_store_b64 v[16:17], v[20:21], off
	global_load_b64 v[20:21], v[18:19], off offset:128
	s_wait_loadcnt 0x0
	v_mul_f64_e32 v[20:21], s[20:21], v[20:21]
	s_delay_alu instid0(VALU_DEP_1) | instskip(SKIP_4) | instid1(VALU_DEP_1)
	v_fmac_f64_e32 v[20:21], s[6:7], v[14:15]
	global_store_b64 v[16:17], v[20:21], off offset:128
	global_load_b64 v[14:15], v[18:19], off offset:256
	s_wait_loadcnt 0x0
	v_mul_f64_e32 v[14:15], s[20:21], v[14:15]
	v_fmac_f64_e32 v[14:15], s[6:7], v[12:13]
	global_store_b64 v[16:17], v[14:15], off offset:256
	global_load_b64 v[12:13], v[18:19], off offset:384
	s_wait_loadcnt 0x0
	v_mul_f64_e32 v[12:13], s[20:21], v[12:13]
	s_delay_alu instid0(VALU_DEP_1)
	v_fmac_f64_e32 v[12:13], s[6:7], v[10:11]
	global_store_b64 v[16:17], v[12:13], off offset:384
	s_branch .LBB286_2
.LBB286_11:
	s_sendmsg sendmsg(MSG_DEALLOC_VGPRS)
	s_endpgm
	.section	.rodata,"a",@progbits
	.p2align	6, 0x0
	.amdhsa_kernel _ZN12_GLOBAL__N_127rocblas_gemm_batched_kernelIdLi16ELi16ELi64ELi64ELi4ELi64ELi4ELi4ELi64ELc78ELc67EKdS1_dEEvlllT_PT11_llS4_llS2_PT12_llPT13_lli
		.amdhsa_group_segment_fixed_size 4096
		.amdhsa_private_segment_fixed_size 0
		.amdhsa_kernarg_size 140
		.amdhsa_user_sgpr_count 2
		.amdhsa_user_sgpr_dispatch_ptr 0
		.amdhsa_user_sgpr_queue_ptr 0
		.amdhsa_user_sgpr_kernarg_segment_ptr 1
		.amdhsa_user_sgpr_dispatch_id 0
		.amdhsa_user_sgpr_kernarg_preload_length 0
		.amdhsa_user_sgpr_kernarg_preload_offset 0
		.amdhsa_user_sgpr_private_segment_size 0
		.amdhsa_wavefront_size32 1
		.amdhsa_uses_dynamic_stack 0
		.amdhsa_enable_private_segment 0
		.amdhsa_system_sgpr_workgroup_id_x 1
		.amdhsa_system_sgpr_workgroup_id_y 1
		.amdhsa_system_sgpr_workgroup_id_z 1
		.amdhsa_system_sgpr_workgroup_info 0
		.amdhsa_system_vgpr_workitem_id 1
		.amdhsa_next_free_vgpr 94
		.amdhsa_next_free_sgpr 44
		.amdhsa_named_barrier_count 0
		.amdhsa_reserve_vcc 1
		.amdhsa_float_round_mode_32 0
		.amdhsa_float_round_mode_16_64 0
		.amdhsa_float_denorm_mode_32 3
		.amdhsa_float_denorm_mode_16_64 3
		.amdhsa_fp16_overflow 0
		.amdhsa_memory_ordered 1
		.amdhsa_forward_progress 1
		.amdhsa_inst_pref_size 18
		.amdhsa_round_robin_scheduling 0
		.amdhsa_exception_fp_ieee_invalid_op 0
		.amdhsa_exception_fp_denorm_src 0
		.amdhsa_exception_fp_ieee_div_zero 0
		.amdhsa_exception_fp_ieee_overflow 0
		.amdhsa_exception_fp_ieee_underflow 0
		.amdhsa_exception_fp_ieee_inexact 0
		.amdhsa_exception_int_div_zero 0
	.end_amdhsa_kernel
	.section	.text._ZN12_GLOBAL__N_127rocblas_gemm_batched_kernelIdLi16ELi16ELi64ELi64ELi4ELi64ELi4ELi4ELi64ELc78ELc67EKdS1_dEEvlllT_PT11_llS4_llS2_PT12_llPT13_lli,"axG",@progbits,_ZN12_GLOBAL__N_127rocblas_gemm_batched_kernelIdLi16ELi16ELi64ELi64ELi4ELi64ELi4ELi4ELi64ELc78ELc67EKdS1_dEEvlllT_PT11_llS4_llS2_PT12_llPT13_lli,comdat
.Lfunc_end286:
	.size	_ZN12_GLOBAL__N_127rocblas_gemm_batched_kernelIdLi16ELi16ELi64ELi64ELi4ELi64ELi4ELi4ELi64ELc78ELc67EKdS1_dEEvlllT_PT11_llS4_llS2_PT12_llPT13_lli, .Lfunc_end286-_ZN12_GLOBAL__N_127rocblas_gemm_batched_kernelIdLi16ELi16ELi64ELi64ELi4ELi64ELi4ELi4ELi64ELc78ELc67EKdS1_dEEvlllT_PT11_llS4_llS2_PT12_llPT13_lli
                                        ; -- End function
	.set _ZN12_GLOBAL__N_127rocblas_gemm_batched_kernelIdLi16ELi16ELi64ELi64ELi4ELi64ELi4ELi4ELi64ELc78ELc67EKdS1_dEEvlllT_PT11_llS4_llS2_PT12_llPT13_lli.num_vgpr, 94
	.set _ZN12_GLOBAL__N_127rocblas_gemm_batched_kernelIdLi16ELi16ELi64ELi64ELi4ELi64ELi4ELi4ELi64ELc78ELc67EKdS1_dEEvlllT_PT11_llS4_llS2_PT12_llPT13_lli.num_agpr, 0
	.set _ZN12_GLOBAL__N_127rocblas_gemm_batched_kernelIdLi16ELi16ELi64ELi64ELi4ELi64ELi4ELi4ELi64ELc78ELc67EKdS1_dEEvlllT_PT11_llS4_llS2_PT12_llPT13_lli.numbered_sgpr, 44
	.set _ZN12_GLOBAL__N_127rocblas_gemm_batched_kernelIdLi16ELi16ELi64ELi64ELi4ELi64ELi4ELi4ELi64ELc78ELc67EKdS1_dEEvlllT_PT11_llS4_llS2_PT12_llPT13_lli.num_named_barrier, 0
	.set _ZN12_GLOBAL__N_127rocblas_gemm_batched_kernelIdLi16ELi16ELi64ELi64ELi4ELi64ELi4ELi4ELi64ELc78ELc67EKdS1_dEEvlllT_PT11_llS4_llS2_PT12_llPT13_lli.private_seg_size, 0
	.set _ZN12_GLOBAL__N_127rocblas_gemm_batched_kernelIdLi16ELi16ELi64ELi64ELi4ELi64ELi4ELi4ELi64ELc78ELc67EKdS1_dEEvlllT_PT11_llS4_llS2_PT12_llPT13_lli.uses_vcc, 1
	.set _ZN12_GLOBAL__N_127rocblas_gemm_batched_kernelIdLi16ELi16ELi64ELi64ELi4ELi64ELi4ELi4ELi64ELc78ELc67EKdS1_dEEvlllT_PT11_llS4_llS2_PT12_llPT13_lli.uses_flat_scratch, 0
	.set _ZN12_GLOBAL__N_127rocblas_gemm_batched_kernelIdLi16ELi16ELi64ELi64ELi4ELi64ELi4ELi4ELi64ELc78ELc67EKdS1_dEEvlllT_PT11_llS4_llS2_PT12_llPT13_lli.has_dyn_sized_stack, 0
	.set _ZN12_GLOBAL__N_127rocblas_gemm_batched_kernelIdLi16ELi16ELi64ELi64ELi4ELi64ELi4ELi4ELi64ELc78ELc67EKdS1_dEEvlllT_PT11_llS4_llS2_PT12_llPT13_lli.has_recursion, 0
	.set _ZN12_GLOBAL__N_127rocblas_gemm_batched_kernelIdLi16ELi16ELi64ELi64ELi4ELi64ELi4ELi4ELi64ELc78ELc67EKdS1_dEEvlllT_PT11_llS4_llS2_PT12_llPT13_lli.has_indirect_call, 0
	.section	.AMDGPU.csdata,"",@progbits
; Kernel info:
; codeLenInByte = 2268
; TotalNumSgprs: 46
; NumVgprs: 94
; ScratchSize: 0
; MemoryBound: 0
; FloatMode: 240
; IeeeMode: 1
; LDSByteSize: 4096 bytes/workgroup (compile time only)
; SGPRBlocks: 0
; VGPRBlocks: 5
; NumSGPRsForWavesPerEU: 46
; NumVGPRsForWavesPerEU: 94
; NamedBarCnt: 0
; Occupancy: 10
; WaveLimiterHint : 1
; COMPUTE_PGM_RSRC2:SCRATCH_EN: 0
; COMPUTE_PGM_RSRC2:USER_SGPR: 2
; COMPUTE_PGM_RSRC2:TRAP_HANDLER: 0
; COMPUTE_PGM_RSRC2:TGID_X_EN: 1
; COMPUTE_PGM_RSRC2:TGID_Y_EN: 1
; COMPUTE_PGM_RSRC2:TGID_Z_EN: 1
; COMPUTE_PGM_RSRC2:TIDIG_COMP_CNT: 1
	.section	.text._ZN12_GLOBAL__N_127rocblas_gemm_batched_kernelIdLi16ELi16ELi64ELi64ELi4ELi64ELi4ELi4ELi64ELc84ELc67EKdS1_dEEvlllT_PT11_llS4_llS2_PT12_llPT13_lli,"axG",@progbits,_ZN12_GLOBAL__N_127rocblas_gemm_batched_kernelIdLi16ELi16ELi64ELi64ELi4ELi64ELi4ELi4ELi64ELc84ELc67EKdS1_dEEvlllT_PT11_llS4_llS2_PT12_llPT13_lli,comdat
	.globl	_ZN12_GLOBAL__N_127rocblas_gemm_batched_kernelIdLi16ELi16ELi64ELi64ELi4ELi64ELi4ELi4ELi64ELc84ELc67EKdS1_dEEvlllT_PT11_llS4_llS2_PT12_llPT13_lli ; -- Begin function _ZN12_GLOBAL__N_127rocblas_gemm_batched_kernelIdLi16ELi16ELi64ELi64ELi4ELi64ELi4ELi4ELi64ELc84ELc67EKdS1_dEEvlllT_PT11_llS4_llS2_PT12_llPT13_lli
	.p2align	8
	.type	_ZN12_GLOBAL__N_127rocblas_gemm_batched_kernelIdLi16ELi16ELi64ELi64ELi4ELi64ELi4ELi4ELi64ELc84ELc67EKdS1_dEEvlllT_PT11_llS4_llS2_PT12_llPT13_lli,@function
_ZN12_GLOBAL__N_127rocblas_gemm_batched_kernelIdLi16ELi16ELi64ELi64ELi4ELi64ELi4ELi4ELi64ELc84ELc67EKdS1_dEEvlllT_PT11_llS4_llS2_PT12_llPT13_lli: ; @_ZN12_GLOBAL__N_127rocblas_gemm_batched_kernelIdLi16ELi16ELi64ELi64ELi4ELi64ELi4ELi4ELi64ELc84ELc67EKdS1_dEEvlllT_PT11_llS4_llS2_PT12_llPT13_lli
; %bb.0:
	s_load_b32 s28, s[0:1], 0x88
	s_bfe_u32 s2, ttmp6, 0x40014
	s_lshr_b32 s3, ttmp7, 16
	s_add_co_i32 s2, s2, 1
	s_bfe_u32 s4, ttmp6, 0x40008
	s_mul_i32 s2, s3, s2
	s_getreg_b32 s29, hwreg(HW_REG_IB_STS2, 6, 4)
	s_add_co_i32 s4, s4, s2
	s_cmp_eq_u32 s29, 0
	s_cselect_b32 s2, s3, s4
	s_mov_b32 s3, 0
	s_wait_kmcnt 0x0
	s_cmp_ge_i32 s2, s28
	s_cbranch_scc1 .LBB287_11
; %bb.1:
	v_bfe_u32 v4, v0, 10, 10
	v_and_b32_e32 v2, 0x3ff, v0
	s_bfe_u32 s30, ttmp6, 0x4000c
	s_bfe_u32 s33, ttmp6, 0x40010
	s_clause 0x1
	s_load_b512 s[4:19], s[0:1], 0x10
	s_load_b256 s[20:27], s[0:1], 0x50
	s_add_co_i32 s30, s30, 1
	s_and_b32 s34, ttmp7, 0xffff
	s_add_co_i32 s33, s33, 1
	s_and_b32 s31, ttmp6, 15
	s_mul_i32 s30, ttmp9, s30
	s_mul_i32 s33, s34, s33
	s_bfe_u32 s35, ttmp6, 0x40004
	v_lshl_add_u32 v16, v4, 4, v2
	s_add_co_i32 s31, s31, s30
	s_add_co_i32 s35, s35, s33
	s_cmp_eq_u32 s29, 0
	s_delay_alu instid0(VALU_DEP_1)
	v_dual_mov_b32 v5, 0 :: v_dual_bitop2_b32 v17, 63, v16 bitop3:0x40
	s_cselect_b32 s30, ttmp9, s31
	s_cselect_b32 s29, s34, s35
	s_ashr_i32 s31, s30, 31
	s_load_b256 s[36:43], s[0:1], 0x70
	s_lshl_b32 s34, s29, 6
	s_mov_b32 s35, s3
	s_lshl_b64 s[30:31], s[30:31], 6
	v_add_nc_u64_e32 v[6:7], s[34:35], v[4:5]
	v_dual_mov_b32 v9, s31 :: v_dual_bitop2_b32 v8, s30, v17 bitop3:0x54
	v_dual_mov_b32 v11, v5 :: v_dual_bitop2_b32 v18, 3, v0 bitop3:0x40
	v_dual_mov_b32 v3, v5 :: v_dual_lshrrev_b32 v10, 2, v16
	s_wait_kmcnt 0x0
	s_delay_alu instid0(VALU_DEP_3)
	v_mul_u64_e32 v[8:9], s[10:11], v[8:9]
	v_mul_u64_e32 v[12:13], s[24:25], v[6:7]
	v_cmp_eq_f64_e64 s1, s[20:21], 0
	v_mad_nc_u64_u32 v[14:15], s16, v18, v[10:11]
	v_lshrrev_b32_e32 v16, 6, v16
	v_lshl_add_u32 v47, v4, 5, 0x800
	v_cmp_gt_i64_e64 s0, s[4:5], 0
	v_dual_lshlrev_b32 v46, 3, v2 :: v_dual_lshlrev_b32 v17, 3, v17
	v_mul_u64_e32 v[0:1], s[38:39], v[6:7]
	v_dual_lshlrev_b32 v6, 3, v18 :: v_dual_lshlrev_b32 v4, 3, v16
	s_lshl_b64 s[24:25], s[24:25], 4
	s_delay_alu instid0(VALU_DEP_3) | instskip(SKIP_1) | instid1(VALU_DEP_3)
	v_lshl_or_b32 v48, v16, 9, v17
	v_mad_u32 v15, s17, v18, v15
	v_lshl_or_b32 v18, v10, 5, v6
	v_add_nc_u64_e32 v[10:11], s[30:31], v[2:3]
	s_lshl_b64 s[30:31], s[38:39], 4
	s_lshl_b64 s[10:11], s[18:19], 3
	;; [unrolled: 1-line block ×3, first 2 shown]
	v_add_nc_u32_e32 v49, 0x800, v18
	s_delay_alu instid0(VALU_DEP_4) | instskip(SKIP_3) | instid1(VALU_DEP_4)
	v_add_nc_u64_e32 v[6:7], s[34:35], v[14:15]
	v_lshl_add_u64 v[8:9], v[8:9], 3, v[4:5]
	v_lshl_add_u64 v[2:3], v[12:13], 3, s[22:23]
	v_cndmask_b32_e64 v12, 0, 1, s0
	v_lshl_add_u64 v[4:5], v[6:7], 3, s[14:15]
	s_lshl_b64 s[14:15], s[24:25], 3
	v_add_nc_u64_e32 v[6:7], s[8:9], v[8:9]
	v_lshlrev_b64_e32 v[8:9], 3, v[10:11]
	v_cmp_ne_u32_e64 s0, 1, v12
	s_lshl_b64 s[8:9], s[16:17], 5
	s_lshl_b64 s[16:17], s[30:31], 3
	s_branch .LBB287_3
.LBB287_2:                              ;   in Loop: Header=BB287_3 Depth=1
	s_add_co_i32 s2, s2, 0x10000
	s_delay_alu instid0(SALU_CYCLE_1)
	s_cmp_lt_i32 s2, s28
	s_cbranch_scc0 .LBB287_11
.LBB287_3:                              ; =>This Loop Header: Depth=1
                                        ;     Child Loop BB287_5 Depth 2
	s_and_b32 vcc_lo, exec_lo, s0
	s_cbranch_vccnz .LBB287_6
; %bb.4:                                ;   in Loop: Header=BB287_3 Depth=1
	v_mad_nc_u64_u32 v[42:43], s10, s2, v[4:5]
	s_wait_xcnt 0xc
	v_mad_nc_u64_u32 v[44:45], s12, s2, v[6:7]
	v_mov_b64_e32 v[10:11], 0
	s_wait_xcnt 0x0
	v_mov_b64_e32 v[12:13], 0
	v_mov_b64_e32 v[14:15], 0
	;; [unrolled: 1-line block ×8, first 2 shown]
	v_mad_u32 v43, s11, s2, v43
	v_mad_u32 v45, s13, s2, v45
	v_mov_b64_e32 v[28:29], 0
	v_mov_b64_e32 v[30:31], 0
	;; [unrolled: 1-line block ×7, first 2 shown]
	s_mov_b64 s[18:19], 0
.LBB287_5:                              ;   Parent Loop BB287_3 Depth=1
                                        ; =>  This Inner Loop Header: Depth=2
	global_load_b64 v[50:51], v[44:45], off
	global_load_b64 v[52:53], v[42:43], off
	s_add_nc_u64 s[18:19], s[18:19], 4
	s_wait_xcnt 0x0
	v_add_nc_u64_e32 v[42:43], s[8:9], v[42:43]
	v_cmp_lt_i64_e64 s22, s[18:19], s[4:5]
	v_add_nc_u64_e32 v[44:45], 32, v[44:45]
	s_wait_loadcnt 0x1
	ds_store_b64 v48, v[50:51]
	s_wait_loadcnt 0x0
	ds_store_b64 v49, v[52:53]
	s_wait_dscnt 0x0
	s_barrier_signal -1
	s_barrier_wait -1
	ds_load_b128 v[50:53], v47
	ds_load_2addr_b64 v[54:57], v46 offset1:16
	ds_load_b128 v[58:61], v47 offset:512
	ds_load_2addr_b64 v[62:65], v46 offset0:32 offset1:48
	ds_load_b128 v[66:69], v47 offset:1024
	ds_load_b128 v[70:73], v47 offset:1536
	ds_load_2addr_b64 v[74:77], v46 offset0:64 offset1:80
	ds_load_b128 v[78:81], v47 offset:16
	ds_load_b128 v[82:85], v47 offset:528
	;; [unrolled: 1-line block ×4, first 2 shown]
	s_and_b32 vcc_lo, exec_lo, s22
	s_wait_dscnt 0x9
	v_fmac_f64_e32 v[40:41], v[54:55], v[50:51]
	v_fmac_f64_e32 v[38:39], v[56:57], v[50:51]
	s_wait_dscnt 0x8
	v_fmac_f64_e32 v[32:33], v[54:55], v[58:59]
	v_fmac_f64_e32 v[30:31], v[56:57], v[58:59]
	;; [unrolled: 3-line block ×4, first 2 shown]
	v_fmac_f64_e32 v[28:29], v[62:63], v[58:59]
	v_fmac_f64_e32 v[26:27], v[64:65], v[58:59]
	s_wait_dscnt 0x5
	v_fmac_f64_e32 v[16:17], v[54:55], v[70:71]
	v_fmac_f64_e32 v[14:15], v[56:57], v[70:71]
	;; [unrolled: 1-line block ×6, first 2 shown]
	ds_load_2addr_b64 v[54:57], v46 offset0:96 offset1:112
	ds_load_2addr_b64 v[62:65], v46 offset0:128 offset1:144
	s_wait_dscnt 0x6
	v_fmac_f64_e32 v[40:41], v[74:75], v[52:53]
	v_fmac_f64_e32 v[38:39], v[76:77], v[52:53]
	;; [unrolled: 1-line block ×4, first 2 shown]
	s_wait_dscnt 0x1
	v_fmac_f64_e32 v[36:37], v[54:55], v[52:53]
	v_fmac_f64_e32 v[34:35], v[56:57], v[52:53]
	;; [unrolled: 1-line block ×12, first 2 shown]
	ds_load_2addr_b64 v[50:53], v46 offset0:160 offset1:176
	ds_load_2addr_b64 v[54:57], v46 offset0:192 offset1:208
	s_wait_dscnt 0x2
	v_fmac_f64_e32 v[40:41], v[62:63], v[78:79]
	v_fmac_f64_e32 v[38:39], v[64:65], v[78:79]
	v_fmac_f64_e32 v[32:33], v[62:63], v[82:83]
	v_fmac_f64_e32 v[30:31], v[64:65], v[82:83]
	s_wait_dscnt 0x1
	v_fmac_f64_e32 v[36:37], v[50:51], v[78:79]
	v_fmac_f64_e32 v[34:35], v[52:53], v[78:79]
	v_fmac_f64_e32 v[24:25], v[62:63], v[86:87]
	v_fmac_f64_e32 v[22:23], v[64:65], v[86:87]
	v_fmac_f64_e32 v[28:29], v[50:51], v[82:83]
	v_fmac_f64_e32 v[26:27], v[52:53], v[82:83]
	v_fmac_f64_e32 v[16:17], v[62:63], v[90:91]
	v_fmac_f64_e32 v[14:15], v[64:65], v[90:91]
	v_fmac_f64_e32 v[20:21], v[50:51], v[86:87]
	v_fmac_f64_e32 v[18:19], v[52:53], v[86:87]
	v_fmac_f64_e32 v[12:13], v[50:51], v[90:91]
	v_fmac_f64_e32 v[10:11], v[52:53], v[90:91]
	ds_load_2addr_b64 v[50:53], v46 offset0:224 offset1:240
	s_wait_dscnt 0x0
	s_barrier_signal -1
	s_barrier_wait -1
	v_fmac_f64_e32 v[40:41], v[54:55], v[80:81]
	v_fmac_f64_e32 v[38:39], v[56:57], v[80:81]
	v_fmac_f64_e32 v[32:33], v[54:55], v[84:85]
	v_fmac_f64_e32 v[30:31], v[56:57], v[84:85]
	v_fmac_f64_e32 v[36:37], v[50:51], v[80:81]
	v_fmac_f64_e32 v[34:35], v[52:53], v[80:81]
	v_fmac_f64_e32 v[24:25], v[54:55], v[88:89]
	v_fmac_f64_e32 v[22:23], v[56:57], v[88:89]
	v_fmac_f64_e32 v[28:29], v[50:51], v[84:85]
	v_fmac_f64_e32 v[26:27], v[52:53], v[84:85]
	v_fmac_f64_e32 v[16:17], v[54:55], v[92:93]
	v_fmac_f64_e32 v[14:15], v[56:57], v[92:93]
	v_fmac_f64_e32 v[20:21], v[50:51], v[88:89]
	v_fmac_f64_e32 v[18:19], v[52:53], v[88:89]
	v_fmac_f64_e32 v[12:13], v[50:51], v[92:93]
	v_fmac_f64_e32 v[10:11], v[52:53], v[92:93]
	s_cbranch_vccnz .LBB287_5
	s_branch .LBB287_7
.LBB287_6:                              ;   in Loop: Header=BB287_3 Depth=1
	v_mov_b64_e32 v[40:41], 0
	v_mov_b64_e32 v[38:39], 0
	;; [unrolled: 1-line block ×10, first 2 shown]
	s_wait_xcnt 0x4
	v_mov_b64_e32 v[20:21], 0
	s_wait_xcnt 0x1
	v_mov_b64_e32 v[18:19], 0
	;; [unrolled: 2-line block ×3, first 2 shown]
	v_mov_b64_e32 v[14:15], 0
	v_mov_b64_e32 v[12:13], 0
	;; [unrolled: 1-line block ×3, first 2 shown]
.LBB287_7:                              ;   in Loop: Header=BB287_3 Depth=1
	s_mul_u64 s[18:19], s[40:41], s[2:3]
	s_and_not1_b32 vcc_lo, exec_lo, s1
	s_lshl_b64 s[18:19], s[18:19], 3
	s_delay_alu instid0(SALU_CYCLE_1) | instskip(NEXT) | instid1(SALU_CYCLE_1)
	s_add_nc_u64 s[18:19], s[36:37], s[18:19]
	v_lshl_add_u64 v[42:43], v[0:1], 3, s[18:19]
	s_delay_alu instid0(VALU_DEP_1)
	v_add_nc_u64_e32 v[44:45], v[42:43], v[8:9]
	v_add_nc_u64_e32 v[42:43], s[16:17], v[42:43]
	s_cbranch_vccnz .LBB287_9
; %bb.8:                                ;   in Loop: Header=BB287_3 Depth=1
	v_mul_f64_e32 v[50:51], s[6:7], v[40:41]
	v_mul_f64_e32 v[74:75], s[6:7], v[16:17]
	;; [unrolled: 1-line block ×16, first 2 shown]
	v_add_nc_u64_e32 v[82:83], s[16:17], v[42:43]
	v_add_nc_u64_e32 v[86:87], v[42:43], v[8:9]
	s_delay_alu instid0(VALU_DEP_2)
	v_add_nc_u64_e32 v[84:85], s[16:17], v[82:83]
	v_add_nc_u64_e32 v[82:83], v[82:83], v[8:9]
	s_clause 0xb
	global_store_b64 v[44:45], v[50:51], off
	global_store_b64 v[44:45], v[52:53], off offset:128
	global_store_b64 v[44:45], v[54:55], off offset:256
	global_store_b64 v[44:45], v[56:57], off offset:384
	global_store_b64 v[86:87], v[58:59], off
	global_store_b64 v[86:87], v[60:61], off offset:128
	global_store_b64 v[86:87], v[62:63], off offset:256
	global_store_b64 v[86:87], v[64:65], off offset:384
	;; [unrolled: 4-line block ×3, first 2 shown]
	v_add_nc_u64_e32 v[84:85], v[84:85], v[8:9]
	s_clause 0x3
	global_store_b64 v[84:85], v[74:75], off
	global_store_b64 v[84:85], v[76:77], off offset:128
	global_store_b64 v[84:85], v[78:79], off offset:256
	;; [unrolled: 1-line block ×3, first 2 shown]
	s_cbranch_execnz .LBB287_2
	s_branch .LBB287_10
.LBB287_9:                              ;   in Loop: Header=BB287_3 Depth=1
.LBB287_10:                             ;   in Loop: Header=BB287_3 Depth=1
	s_mul_u64 s[18:19], s[26:27], s[2:3]
	s_wait_xcnt 0xf
	v_lshl_add_u64 v[50:51], s[18:19], 3, v[2:3]
	s_wait_xcnt 0xe
	s_delay_alu instid0(VALU_DEP_1) | instskip(SKIP_3) | instid1(VALU_DEP_1)
	v_add_nc_u64_e32 v[52:53], v[50:51], v[8:9]
	global_load_b64 v[54:55], v[52:53], off
	s_wait_loadcnt 0x0
	v_mul_f64_e32 v[54:55], s[20:21], v[54:55]
	v_fmac_f64_e32 v[54:55], s[6:7], v[40:41]
	global_store_b64 v[44:45], v[54:55], off
	global_load_b64 v[40:41], v[52:53], off offset:128
	s_wait_loadcnt 0x0
	v_mul_f64_e32 v[40:41], s[20:21], v[40:41]
	s_delay_alu instid0(VALU_DEP_1) | instskip(SKIP_4) | instid1(VALU_DEP_1)
	v_fmac_f64_e32 v[40:41], s[6:7], v[38:39]
	global_store_b64 v[44:45], v[40:41], off offset:128
	global_load_b64 v[38:39], v[52:53], off offset:256
	s_wait_loadcnt 0x0
	v_mul_f64_e32 v[38:39], s[20:21], v[38:39]
	v_fmac_f64_e32 v[38:39], s[6:7], v[36:37]
	global_store_b64 v[44:45], v[38:39], off offset:256
	global_load_b64 v[36:37], v[52:53], off offset:384
	s_wait_loadcnt 0x0
	v_mul_f64_e32 v[36:37], s[20:21], v[36:37]
	s_delay_alu instid0(VALU_DEP_1) | instskip(SKIP_2) | instid1(VALU_DEP_1)
	v_fmac_f64_e32 v[36:37], s[6:7], v[34:35]
	v_add_nc_u64_e32 v[34:35], s[14:15], v[50:51]
	s_wait_xcnt 0x1
	v_add_nc_u64_e32 v[38:39], v[34:35], v[8:9]
	global_store_b64 v[44:45], v[36:37], off offset:384
	global_load_b64 v[36:37], v[38:39], off
	s_wait_loadcnt 0x0
	v_mul_f64_e32 v[36:37], s[20:21], v[36:37]
	s_delay_alu instid0(VALU_DEP_1)
	v_fmac_f64_e32 v[36:37], s[6:7], v[32:33]
	v_add_nc_u64_e32 v[32:33], v[42:43], v[8:9]
	global_store_b64 v[32:33], v[36:37], off
	global_load_b64 v[36:37], v[38:39], off offset:128
	s_wait_loadcnt 0x0
	v_mul_f64_e32 v[36:37], s[20:21], v[36:37]
	s_delay_alu instid0(VALU_DEP_1) | instskip(SKIP_4) | instid1(VALU_DEP_1)
	v_fmac_f64_e32 v[36:37], s[6:7], v[30:31]
	global_store_b64 v[32:33], v[36:37], off offset:128
	global_load_b64 v[30:31], v[38:39], off offset:256
	s_wait_loadcnt 0x0
	v_mul_f64_e32 v[30:31], s[20:21], v[30:31]
	v_fmac_f64_e32 v[30:31], s[6:7], v[28:29]
	global_store_b64 v[32:33], v[30:31], off offset:256
	global_load_b64 v[28:29], v[38:39], off offset:384
	s_wait_loadcnt 0x0
	v_mul_f64_e32 v[28:29], s[20:21], v[28:29]
	s_delay_alu instid0(VALU_DEP_1) | instskip(SKIP_2) | instid1(VALU_DEP_1)
	v_fmac_f64_e32 v[28:29], s[6:7], v[26:27]
	v_add_nc_u64_e32 v[26:27], s[14:15], v[34:35]
	s_wait_xcnt 0x1
	v_add_nc_u64_e32 v[30:31], v[26:27], v[8:9]
	global_store_b64 v[32:33], v[28:29], off offset:384
	global_load_b64 v[28:29], v[30:31], off
	s_wait_loadcnt 0x0
	v_mul_f64_e32 v[28:29], s[20:21], v[28:29]
	s_delay_alu instid0(VALU_DEP_1) | instskip(SKIP_1) | instid1(VALU_DEP_1)
	v_fmac_f64_e32 v[28:29], s[6:7], v[24:25]
	v_add_nc_u64_e32 v[24:25], s[16:17], v[42:43]
	v_add_nc_u64_e32 v[32:33], v[24:25], v[8:9]
	global_store_b64 v[32:33], v[28:29], off
	global_load_b64 v[28:29], v[30:31], off offset:128
	s_wait_loadcnt 0x0
	v_mul_f64_e32 v[28:29], s[20:21], v[28:29]
	s_delay_alu instid0(VALU_DEP_1) | instskip(SKIP_4) | instid1(VALU_DEP_1)
	v_fmac_f64_e32 v[28:29], s[6:7], v[22:23]
	global_store_b64 v[32:33], v[28:29], off offset:128
	global_load_b64 v[22:23], v[30:31], off offset:256
	s_wait_loadcnt 0x0
	v_mul_f64_e32 v[22:23], s[20:21], v[22:23]
	v_fmac_f64_e32 v[22:23], s[6:7], v[20:21]
	global_store_b64 v[32:33], v[22:23], off offset:256
	global_load_b64 v[20:21], v[30:31], off offset:384
	s_wait_loadcnt 0x0
	v_mul_f64_e32 v[20:21], s[20:21], v[20:21]
	s_delay_alu instid0(VALU_DEP_1) | instskip(SKIP_1) | instid1(VALU_DEP_1)
	v_fmac_f64_e32 v[20:21], s[6:7], v[18:19]
	v_add_nc_u64_e32 v[18:19], s[14:15], v[26:27]
	v_add_nc_u64_e32 v[18:19], v[18:19], v[8:9]
	global_store_b64 v[32:33], v[20:21], off offset:384
	global_load_b64 v[20:21], v[18:19], off
	s_wait_loadcnt 0x0
	v_mul_f64_e32 v[20:21], s[20:21], v[20:21]
	s_delay_alu instid0(VALU_DEP_1) | instskip(SKIP_1) | instid1(VALU_DEP_1)
	v_fmac_f64_e32 v[20:21], s[6:7], v[16:17]
	v_add_nc_u64_e32 v[16:17], s[16:17], v[24:25]
	v_add_nc_u64_e32 v[16:17], v[16:17], v[8:9]
	global_store_b64 v[16:17], v[20:21], off
	global_load_b64 v[20:21], v[18:19], off offset:128
	s_wait_loadcnt 0x0
	v_mul_f64_e32 v[20:21], s[20:21], v[20:21]
	s_delay_alu instid0(VALU_DEP_1) | instskip(SKIP_4) | instid1(VALU_DEP_1)
	v_fmac_f64_e32 v[20:21], s[6:7], v[14:15]
	global_store_b64 v[16:17], v[20:21], off offset:128
	global_load_b64 v[14:15], v[18:19], off offset:256
	s_wait_loadcnt 0x0
	v_mul_f64_e32 v[14:15], s[20:21], v[14:15]
	v_fmac_f64_e32 v[14:15], s[6:7], v[12:13]
	global_store_b64 v[16:17], v[14:15], off offset:256
	global_load_b64 v[12:13], v[18:19], off offset:384
	s_wait_loadcnt 0x0
	v_mul_f64_e32 v[12:13], s[20:21], v[12:13]
	s_delay_alu instid0(VALU_DEP_1)
	v_fmac_f64_e32 v[12:13], s[6:7], v[10:11]
	global_store_b64 v[16:17], v[12:13], off offset:384
	s_branch .LBB287_2
.LBB287_11:
	s_sendmsg sendmsg(MSG_DEALLOC_VGPRS)
	s_endpgm
	.section	.rodata,"a",@progbits
	.p2align	6, 0x0
	.amdhsa_kernel _ZN12_GLOBAL__N_127rocblas_gemm_batched_kernelIdLi16ELi16ELi64ELi64ELi4ELi64ELi4ELi4ELi64ELc84ELc67EKdS1_dEEvlllT_PT11_llS4_llS2_PT12_llPT13_lli
		.amdhsa_group_segment_fixed_size 4096
		.amdhsa_private_segment_fixed_size 0
		.amdhsa_kernarg_size 140
		.amdhsa_user_sgpr_count 2
		.amdhsa_user_sgpr_dispatch_ptr 0
		.amdhsa_user_sgpr_queue_ptr 0
		.amdhsa_user_sgpr_kernarg_segment_ptr 1
		.amdhsa_user_sgpr_dispatch_id 0
		.amdhsa_user_sgpr_kernarg_preload_length 0
		.amdhsa_user_sgpr_kernarg_preload_offset 0
		.amdhsa_user_sgpr_private_segment_size 0
		.amdhsa_wavefront_size32 1
		.amdhsa_uses_dynamic_stack 0
		.amdhsa_enable_private_segment 0
		.amdhsa_system_sgpr_workgroup_id_x 1
		.amdhsa_system_sgpr_workgroup_id_y 1
		.amdhsa_system_sgpr_workgroup_id_z 1
		.amdhsa_system_sgpr_workgroup_info 0
		.amdhsa_system_vgpr_workitem_id 1
		.amdhsa_next_free_vgpr 94
		.amdhsa_next_free_sgpr 44
		.amdhsa_named_barrier_count 0
		.amdhsa_reserve_vcc 1
		.amdhsa_float_round_mode_32 0
		.amdhsa_float_round_mode_16_64 0
		.amdhsa_float_denorm_mode_32 3
		.amdhsa_float_denorm_mode_16_64 3
		.amdhsa_fp16_overflow 0
		.amdhsa_memory_ordered 1
		.amdhsa_forward_progress 1
		.amdhsa_inst_pref_size 18
		.amdhsa_round_robin_scheduling 0
		.amdhsa_exception_fp_ieee_invalid_op 0
		.amdhsa_exception_fp_denorm_src 0
		.amdhsa_exception_fp_ieee_div_zero 0
		.amdhsa_exception_fp_ieee_overflow 0
		.amdhsa_exception_fp_ieee_underflow 0
		.amdhsa_exception_fp_ieee_inexact 0
		.amdhsa_exception_int_div_zero 0
	.end_amdhsa_kernel
	.section	.text._ZN12_GLOBAL__N_127rocblas_gemm_batched_kernelIdLi16ELi16ELi64ELi64ELi4ELi64ELi4ELi4ELi64ELc84ELc67EKdS1_dEEvlllT_PT11_llS4_llS2_PT12_llPT13_lli,"axG",@progbits,_ZN12_GLOBAL__N_127rocblas_gemm_batched_kernelIdLi16ELi16ELi64ELi64ELi4ELi64ELi4ELi4ELi64ELc84ELc67EKdS1_dEEvlllT_PT11_llS4_llS2_PT12_llPT13_lli,comdat
.Lfunc_end287:
	.size	_ZN12_GLOBAL__N_127rocblas_gemm_batched_kernelIdLi16ELi16ELi64ELi64ELi4ELi64ELi4ELi4ELi64ELc84ELc67EKdS1_dEEvlllT_PT11_llS4_llS2_PT12_llPT13_lli, .Lfunc_end287-_ZN12_GLOBAL__N_127rocblas_gemm_batched_kernelIdLi16ELi16ELi64ELi64ELi4ELi64ELi4ELi4ELi64ELc84ELc67EKdS1_dEEvlllT_PT11_llS4_llS2_PT12_llPT13_lli
                                        ; -- End function
	.set _ZN12_GLOBAL__N_127rocblas_gemm_batched_kernelIdLi16ELi16ELi64ELi64ELi4ELi64ELi4ELi4ELi64ELc84ELc67EKdS1_dEEvlllT_PT11_llS4_llS2_PT12_llPT13_lli.num_vgpr, 94
	.set _ZN12_GLOBAL__N_127rocblas_gemm_batched_kernelIdLi16ELi16ELi64ELi64ELi4ELi64ELi4ELi4ELi64ELc84ELc67EKdS1_dEEvlllT_PT11_llS4_llS2_PT12_llPT13_lli.num_agpr, 0
	.set _ZN12_GLOBAL__N_127rocblas_gemm_batched_kernelIdLi16ELi16ELi64ELi64ELi4ELi64ELi4ELi4ELi64ELc84ELc67EKdS1_dEEvlllT_PT11_llS4_llS2_PT12_llPT13_lli.numbered_sgpr, 44
	.set _ZN12_GLOBAL__N_127rocblas_gemm_batched_kernelIdLi16ELi16ELi64ELi64ELi4ELi64ELi4ELi4ELi64ELc84ELc67EKdS1_dEEvlllT_PT11_llS4_llS2_PT12_llPT13_lli.num_named_barrier, 0
	.set _ZN12_GLOBAL__N_127rocblas_gemm_batched_kernelIdLi16ELi16ELi64ELi64ELi4ELi64ELi4ELi4ELi64ELc84ELc67EKdS1_dEEvlllT_PT11_llS4_llS2_PT12_llPT13_lli.private_seg_size, 0
	.set _ZN12_GLOBAL__N_127rocblas_gemm_batched_kernelIdLi16ELi16ELi64ELi64ELi4ELi64ELi4ELi4ELi64ELc84ELc67EKdS1_dEEvlllT_PT11_llS4_llS2_PT12_llPT13_lli.uses_vcc, 1
	.set _ZN12_GLOBAL__N_127rocblas_gemm_batched_kernelIdLi16ELi16ELi64ELi64ELi4ELi64ELi4ELi4ELi64ELc84ELc67EKdS1_dEEvlllT_PT11_llS4_llS2_PT12_llPT13_lli.uses_flat_scratch, 0
	.set _ZN12_GLOBAL__N_127rocblas_gemm_batched_kernelIdLi16ELi16ELi64ELi64ELi4ELi64ELi4ELi4ELi64ELc84ELc67EKdS1_dEEvlllT_PT11_llS4_llS2_PT12_llPT13_lli.has_dyn_sized_stack, 0
	.set _ZN12_GLOBAL__N_127rocblas_gemm_batched_kernelIdLi16ELi16ELi64ELi64ELi4ELi64ELi4ELi4ELi64ELc84ELc67EKdS1_dEEvlllT_PT11_llS4_llS2_PT12_llPT13_lli.has_recursion, 0
	.set _ZN12_GLOBAL__N_127rocblas_gemm_batched_kernelIdLi16ELi16ELi64ELi64ELi4ELi64ELi4ELi4ELi64ELc84ELc67EKdS1_dEEvlllT_PT11_llS4_llS2_PT12_llPT13_lli.has_indirect_call, 0
	.section	.AMDGPU.csdata,"",@progbits
; Kernel info:
; codeLenInByte = 2264
; TotalNumSgprs: 46
; NumVgprs: 94
; ScratchSize: 0
; MemoryBound: 0
; FloatMode: 240
; IeeeMode: 1
; LDSByteSize: 4096 bytes/workgroup (compile time only)
; SGPRBlocks: 0
; VGPRBlocks: 5
; NumSGPRsForWavesPerEU: 46
; NumVGPRsForWavesPerEU: 94
; NamedBarCnt: 0
; Occupancy: 10
; WaveLimiterHint : 1
; COMPUTE_PGM_RSRC2:SCRATCH_EN: 0
; COMPUTE_PGM_RSRC2:USER_SGPR: 2
; COMPUTE_PGM_RSRC2:TRAP_HANDLER: 0
; COMPUTE_PGM_RSRC2:TGID_X_EN: 1
; COMPUTE_PGM_RSRC2:TGID_Y_EN: 1
; COMPUTE_PGM_RSRC2:TGID_Z_EN: 1
; COMPUTE_PGM_RSRC2:TIDIG_COMP_CNT: 1
	.section	.text._ZN12_GLOBAL__N_127rocblas_gemm_batched_kernelIdLi16ELi16ELi32ELi32ELi8ELi32ELi8ELi8ELi32ELc78ELc78EKdS1_dEEvlllT_PT11_llS4_llS2_PT12_llPT13_lli,"axG",@progbits,_ZN12_GLOBAL__N_127rocblas_gemm_batched_kernelIdLi16ELi16ELi32ELi32ELi8ELi32ELi8ELi8ELi32ELc78ELc78EKdS1_dEEvlllT_PT11_llS4_llS2_PT12_llPT13_lli,comdat
	.globl	_ZN12_GLOBAL__N_127rocblas_gemm_batched_kernelIdLi16ELi16ELi32ELi32ELi8ELi32ELi8ELi8ELi32ELc78ELc78EKdS1_dEEvlllT_PT11_llS4_llS2_PT12_llPT13_lli ; -- Begin function _ZN12_GLOBAL__N_127rocblas_gemm_batched_kernelIdLi16ELi16ELi32ELi32ELi8ELi32ELi8ELi8ELi32ELc78ELc78EKdS1_dEEvlllT_PT11_llS4_llS2_PT12_llPT13_lli
	.p2align	8
	.type	_ZN12_GLOBAL__N_127rocblas_gemm_batched_kernelIdLi16ELi16ELi32ELi32ELi8ELi32ELi8ELi8ELi32ELc78ELc78EKdS1_dEEvlllT_PT11_llS4_llS2_PT12_llPT13_lli,@function
_ZN12_GLOBAL__N_127rocblas_gemm_batched_kernelIdLi16ELi16ELi32ELi32ELi8ELi32ELi8ELi8ELi32ELc78ELc78EKdS1_dEEvlllT_PT11_llS4_llS2_PT12_llPT13_lli: ; @_ZN12_GLOBAL__N_127rocblas_gemm_batched_kernelIdLi16ELi16ELi32ELi32ELi8ELi32ELi8ELi8ELi32ELc78ELc78EKdS1_dEEvlllT_PT11_llS4_llS2_PT12_llPT13_lli
; %bb.0:
	s_load_b32 s28, s[0:1], 0x88
	s_bfe_u32 s2, ttmp6, 0x40014
	s_lshr_b32 s3, ttmp7, 16
	s_add_co_i32 s2, s2, 1
	s_bfe_u32 s4, ttmp6, 0x40008
	s_mul_i32 s2, s3, s2
	s_getreg_b32 s29, hwreg(HW_REG_IB_STS2, 6, 4)
	s_add_co_i32 s4, s4, s2
	s_cmp_eq_u32 s29, 0
	s_cselect_b32 s2, s3, s4
	s_mov_b32 s3, 0
	s_wait_kmcnt 0x0
	s_cmp_ge_i32 s2, s28
	s_cbranch_scc1 .LBB288_11
; %bb.1:
	v_bfe_u32 v4, v0, 10, 10
	v_and_b32_e32 v6, 0x3ff, v0
	s_bfe_u32 s31, ttmp6, 0x4000c
	s_bfe_u32 s33, ttmp6, 0x40010
	s_clause 0x1
	s_load_b512 s[4:19], s[0:1], 0x10
	s_load_b256 s[20:27], s[0:1], 0x50
	s_add_co_i32 s31, s31, 1
	s_and_b32 s34, ttmp7, 0xffff
	s_add_co_i32 s33, s33, 1
	v_lshl_add_u32 v1, v4, 4, v6
	v_mov_b32_e32 v5, 0
	s_and_b32 s30, ttmp6, 15
	s_mul_i32 s31, ttmp9, s31
	s_mul_i32 s33, s34, s33
	s_bfe_u32 s35, ttmp6, 0x40004
	s_add_co_i32 s30, s30, s31
	s_add_co_i32 s35, s35, s33
	s_cmp_eq_u32 s29, 0
	v_dual_mov_b32 v9, v5 :: v_dual_lshrrev_b32 v8, 3, v1
	s_cselect_b32 s29, s34, s35
	s_cselect_b32 s30, ttmp9, s30
	s_lshl_b32 s34, s29, 5
	s_mov_b32 s35, s3
	s_load_b256 s[36:43], s[0:1], 0x70
	v_add_nc_u64_e32 v[2:3], s[34:35], v[8:9]
	v_add_nc_u64_e32 v[10:11], s[34:35], v[4:5]
	v_dual_lshrrev_b32 v9, 5, v1 :: v_dual_mov_b32 v7, v5
	s_ashr_i32 s31, s30, 31
	s_wait_kmcnt 0x0
	v_cmp_eq_f64_e64 s1, s[20:21], 0
	v_lshlrev_b32_e32 v22, 3, v6
	v_mul_u64_e32 v[12:13], s[16:17], v[2:3]
	v_mul_u64_e32 v[14:15], s[24:25], v[10:11]
	s_lshl_b64 s[16:17], s[30:31], 5
	v_cmp_gt_i64_e64 s0, s[4:5], 0
	v_mad_nc_u64_u32 v[16:17], s10, v9, s[16:17]
	v_add_nc_u64_e32 v[6:7], s[16:17], v[6:7]
	v_lshl_add_u32 v23, v4, 6, 0x800
	s_lshl_b64 s[24:25], s[24:25], 4
	s_lshl_b64 s[12:13], s[12:13], 3
	v_mul_u64_e32 v[2:3], s[38:39], v[10:11]
	v_dual_lshlrev_b32 v10, 3, v0 :: v_dual_bitop2_b32 v0, 31, v1 bitop3:0x40
	v_mov_b32_e32 v1, v5
	v_mad_u32 v17, s11, v9, v17
	s_delay_alu instid0(VALU_DEP_3) | instskip(NEXT) | instid1(VALU_DEP_4)
	v_dual_mov_b32 v11, v5 :: v_dual_bitop2_b32 v10, 56, v10 bitop3:0x40
	v_lshlrev_b32_e32 v18, 3, v0
	v_lshlrev_b64_e32 v[6:7], 3, v[6:7]
	s_lshl_b64 s[16:17], s[38:39], 4
	s_lshl_b64 s[10:11], s[10:11], 6
	v_lshl_or_b32 v8, v8, 6, v10
	v_lshl_or_b32 v24, v9, 8, v18
	s_delay_alu instid0(VALU_DEP_2) | instskip(SKIP_4) | instid1(VALU_DEP_4)
	v_add_nc_u32_e32 v25, 0x800, v8
	v_add_nc_u64_e32 v[8:9], v[16:17], v[0:1]
	v_lshl_add_u64 v[4:5], v[12:13], 3, v[10:11]
	v_cndmask_b32_e64 v10, 0, 1, s0
	v_lshl_add_u64 v[0:1], v[14:15], 3, s[22:23]
	v_lshl_add_u64 v[8:9], v[8:9], 3, s[8:9]
	s_delay_alu instid0(VALU_DEP_4) | instskip(NEXT) | instid1(VALU_DEP_4)
	v_add_nc_u64_e32 v[4:5], s[14:15], v[4:5]
	v_cmp_ne_u32_e64 s0, 1, v10
	s_lshl_b64 s[8:9], s[18:19], 3
	s_branch .LBB288_3
.LBB288_2:                              ;   in Loop: Header=BB288_3 Depth=1
	s_add_co_i32 s2, s2, 0x10000
	s_delay_alu instid0(SALU_CYCLE_1)
	s_cmp_lt_i32 s2, s28
	s_cbranch_scc0 .LBB288_11
.LBB288_3:                              ; =>This Loop Header: Depth=1
                                        ;     Child Loop BB288_5 Depth 2
	s_and_b32 vcc_lo, exec_lo, s0
	s_cbranch_vccnz .LBB288_6
; %bb.4:                                ;   in Loop: Header=BB288_3 Depth=1
	v_mad_nc_u64_u32 v[18:19], s8, s2, v[4:5]
	s_wait_xcnt 0x2
	v_mad_nc_u64_u32 v[20:21], s12, s2, v[8:9]
	v_mov_b64_e32 v[10:11], 0
	s_wait_xcnt 0x0
	v_mov_b64_e32 v[12:13], 0
	v_mov_b64_e32 v[14:15], 0
	;; [unrolled: 1-line block ×3, first 2 shown]
	s_mov_b64 s[14:15], 0
	v_mad_u32 v19, s9, s2, v19
	v_mad_u32 v21, s13, s2, v21
.LBB288_5:                              ;   Parent Loop BB288_3 Depth=1
                                        ; =>  This Inner Loop Header: Depth=2
	global_load_b64 v[26:27], v[20:21], off
	global_load_b64 v[28:29], v[18:19], off
	s_add_nc_u64 s[14:15], s[14:15], 8
	s_wait_xcnt 0x0
	v_add_nc_u64_e32 v[18:19], 64, v[18:19]
	v_cmp_lt_i64_e64 s18, s[14:15], s[4:5]
	v_add_nc_u64_e32 v[20:21], s[10:11], v[20:21]
	s_wait_loadcnt 0x1
	ds_store_b64 v24, v[26:27]
	s_wait_loadcnt 0x0
	ds_store_b64 v25, v[28:29]
	s_wait_dscnt 0x0
	s_barrier_signal -1
	s_barrier_wait -1
	ds_load_b128 v[26:29], v23
	ds_load_2addr_b64 v[30:33], v22 offset1:16
	ds_load_b128 v[34:37], v23 offset:1024
	ds_load_b128 v[38:41], v23 offset:16
	;; [unrolled: 1-line block ×3, first 2 shown]
	s_and_b32 vcc_lo, exec_lo, s18
	s_wait_dscnt 0x3
	v_fmac_f64_e32 v[16:17], v[30:31], v[26:27]
	v_fmac_f64_e32 v[14:15], v[32:33], v[26:27]
	s_wait_dscnt 0x2
	v_fmac_f64_e32 v[12:13], v[30:31], v[34:35]
	v_fmac_f64_e32 v[10:11], v[32:33], v[34:35]
	ds_load_2addr_b64 v[30:33], v22 offset0:32 offset1:48
	s_wait_dscnt 0x0
	v_fmac_f64_e32 v[16:17], v[30:31], v[28:29]
	v_fmac_f64_e32 v[14:15], v[32:33], v[28:29]
	v_fmac_f64_e32 v[12:13], v[30:31], v[36:37]
	v_fmac_f64_e32 v[10:11], v[32:33], v[36:37]
	ds_load_2addr_b64 v[26:29], v22 offset0:64 offset1:80
	s_wait_dscnt 0x0
	v_fmac_f64_e32 v[16:17], v[26:27], v[38:39]
	v_fmac_f64_e32 v[14:15], v[28:29], v[38:39]
	;; [unrolled: 6-line block ×3, first 2 shown]
	v_fmac_f64_e32 v[12:13], v[26:27], v[44:45]
	v_fmac_f64_e32 v[10:11], v[28:29], v[44:45]
	ds_load_b128 v[26:29], v23 offset:32
	ds_load_2addr_b64 v[30:33], v22 offset0:128 offset1:144
	ds_load_b128 v[34:37], v23 offset:1056
	ds_load_b128 v[38:41], v23 offset:48
	;; [unrolled: 1-line block ×3, first 2 shown]
	s_wait_dscnt 0x3
	v_fmac_f64_e32 v[16:17], v[30:31], v[26:27]
	v_fmac_f64_e32 v[14:15], v[32:33], v[26:27]
	s_wait_dscnt 0x2
	v_fmac_f64_e32 v[12:13], v[30:31], v[34:35]
	v_fmac_f64_e32 v[10:11], v[32:33], v[34:35]
	ds_load_2addr_b64 v[30:33], v22 offset0:160 offset1:176
	s_wait_dscnt 0x0
	v_fmac_f64_e32 v[16:17], v[30:31], v[28:29]
	v_fmac_f64_e32 v[14:15], v[32:33], v[28:29]
	;; [unrolled: 1-line block ×4, first 2 shown]
	ds_load_2addr_b64 v[26:29], v22 offset0:192 offset1:208
	s_wait_dscnt 0x0
	v_fmac_f64_e32 v[16:17], v[26:27], v[38:39]
	v_fmac_f64_e32 v[14:15], v[28:29], v[38:39]
	;; [unrolled: 1-line block ×4, first 2 shown]
	ds_load_2addr_b64 v[26:29], v22 offset0:224 offset1:240
	s_wait_dscnt 0x0
	s_barrier_signal -1
	s_barrier_wait -1
	v_fmac_f64_e32 v[16:17], v[26:27], v[40:41]
	v_fmac_f64_e32 v[14:15], v[28:29], v[40:41]
	;; [unrolled: 1-line block ×4, first 2 shown]
	s_cbranch_vccnz .LBB288_5
	s_branch .LBB288_7
.LBB288_6:                              ;   in Loop: Header=BB288_3 Depth=1
	v_mov_b64_e32 v[16:17], 0
	s_wait_xcnt 0x0
	v_mov_b64_e32 v[14:15], 0
	v_mov_b64_e32 v[12:13], 0
	v_mov_b64_e32 v[10:11], 0
.LBB288_7:                              ;   in Loop: Header=BB288_3 Depth=1
	s_mul_u64 s[14:15], s[40:41], s[2:3]
	s_and_not1_b32 vcc_lo, exec_lo, s1
	s_lshl_b64 s[14:15], s[14:15], 3
	s_delay_alu instid0(SALU_CYCLE_1) | instskip(NEXT) | instid1(SALU_CYCLE_1)
	s_add_nc_u64 s[14:15], s[36:37], s[14:15]
	v_lshl_add_u64 v[18:19], v[2:3], 3, s[14:15]
	s_delay_alu instid0(VALU_DEP_1)
	v_add_nc_u64_e32 v[20:21], v[18:19], v[6:7]
	v_lshl_add_u64 v[18:19], s[16:17], 3, v[18:19]
	s_cbranch_vccnz .LBB288_9
; %bb.8:                                ;   in Loop: Header=BB288_3 Depth=1
	v_mul_f64_e32 v[26:27], s[6:7], v[16:17]
	v_mul_f64_e32 v[28:29], s[6:7], v[14:15]
	;; [unrolled: 1-line block ×4, first 2 shown]
	v_add_nc_u64_e32 v[34:35], v[18:19], v[6:7]
	s_clause 0x3
	global_store_b64 v[20:21], v[26:27], off
	global_store_b64 v[20:21], v[28:29], off offset:128
	global_store_b64 v[34:35], v[30:31], off
	global_store_b64 v[34:35], v[32:33], off offset:128
	s_cbranch_execnz .LBB288_2
	s_branch .LBB288_10
.LBB288_9:                              ;   in Loop: Header=BB288_3 Depth=1
.LBB288_10:                             ;   in Loop: Header=BB288_3 Depth=1
	s_mul_u64 s[14:15], s[26:27], s[2:3]
	s_wait_xcnt 0x3
	v_lshl_add_u64 v[26:27], s[14:15], 3, v[0:1]
	s_wait_xcnt 0x2
	s_delay_alu instid0(VALU_DEP_1) | instskip(SKIP_3) | instid1(VALU_DEP_1)
	v_add_nc_u64_e32 v[28:29], v[26:27], v[6:7]
	global_load_b64 v[30:31], v[28:29], off
	s_wait_loadcnt 0x0
	v_mul_f64_e32 v[30:31], s[20:21], v[30:31]
	v_fmac_f64_e32 v[30:31], s[6:7], v[16:17]
	global_store_b64 v[20:21], v[30:31], off
	global_load_b64 v[16:17], v[28:29], off offset:128
	s_wait_loadcnt 0x0
	v_mul_f64_e32 v[16:17], s[20:21], v[16:17]
	s_delay_alu instid0(VALU_DEP_1) | instskip(SKIP_1) | instid1(VALU_DEP_1)
	v_fmac_f64_e32 v[16:17], s[6:7], v[14:15]
	v_lshl_add_u64 v[14:15], s[24:25], 3, v[26:27]
	v_add_nc_u64_e32 v[14:15], v[14:15], v[6:7]
	global_store_b64 v[20:21], v[16:17], off offset:128
	global_load_b64 v[16:17], v[14:15], off
	s_wait_loadcnt 0x0
	v_mul_f64_e32 v[16:17], s[20:21], v[16:17]
	s_delay_alu instid0(VALU_DEP_1)
	v_fmac_f64_e32 v[16:17], s[6:7], v[12:13]
	v_add_nc_u64_e32 v[12:13], v[18:19], v[6:7]
	global_store_b64 v[12:13], v[16:17], off
	global_load_b64 v[14:15], v[14:15], off offset:128
	s_wait_loadcnt 0x0
	v_mul_f64_e32 v[14:15], s[20:21], v[14:15]
	s_delay_alu instid0(VALU_DEP_1)
	v_fmac_f64_e32 v[14:15], s[6:7], v[10:11]
	global_store_b64 v[12:13], v[14:15], off offset:128
	s_branch .LBB288_2
.LBB288_11:
	s_endpgm
	.section	.rodata,"a",@progbits
	.p2align	6, 0x0
	.amdhsa_kernel _ZN12_GLOBAL__N_127rocblas_gemm_batched_kernelIdLi16ELi16ELi32ELi32ELi8ELi32ELi8ELi8ELi32ELc78ELc78EKdS1_dEEvlllT_PT11_llS4_llS2_PT12_llPT13_lli
		.amdhsa_group_segment_fixed_size 4096
		.amdhsa_private_segment_fixed_size 0
		.amdhsa_kernarg_size 140
		.amdhsa_user_sgpr_count 2
		.amdhsa_user_sgpr_dispatch_ptr 0
		.amdhsa_user_sgpr_queue_ptr 0
		.amdhsa_user_sgpr_kernarg_segment_ptr 1
		.amdhsa_user_sgpr_dispatch_id 0
		.amdhsa_user_sgpr_kernarg_preload_length 0
		.amdhsa_user_sgpr_kernarg_preload_offset 0
		.amdhsa_user_sgpr_private_segment_size 0
		.amdhsa_wavefront_size32 1
		.amdhsa_uses_dynamic_stack 0
		.amdhsa_enable_private_segment 0
		.amdhsa_system_sgpr_workgroup_id_x 1
		.amdhsa_system_sgpr_workgroup_id_y 1
		.amdhsa_system_sgpr_workgroup_id_z 1
		.amdhsa_system_sgpr_workgroup_info 0
		.amdhsa_system_vgpr_workitem_id 1
		.amdhsa_next_free_vgpr 46
		.amdhsa_next_free_sgpr 44
		.amdhsa_named_barrier_count 0
		.amdhsa_reserve_vcc 1
		.amdhsa_float_round_mode_32 0
		.amdhsa_float_round_mode_16_64 0
		.amdhsa_float_denorm_mode_32 3
		.amdhsa_float_denorm_mode_16_64 3
		.amdhsa_fp16_overflow 0
		.amdhsa_memory_ordered 1
		.amdhsa_forward_progress 1
		.amdhsa_inst_pref_size 11
		.amdhsa_round_robin_scheduling 0
		.amdhsa_exception_fp_ieee_invalid_op 0
		.amdhsa_exception_fp_denorm_src 0
		.amdhsa_exception_fp_ieee_div_zero 0
		.amdhsa_exception_fp_ieee_overflow 0
		.amdhsa_exception_fp_ieee_underflow 0
		.amdhsa_exception_fp_ieee_inexact 0
		.amdhsa_exception_int_div_zero 0
	.end_amdhsa_kernel
	.section	.text._ZN12_GLOBAL__N_127rocblas_gemm_batched_kernelIdLi16ELi16ELi32ELi32ELi8ELi32ELi8ELi8ELi32ELc78ELc78EKdS1_dEEvlllT_PT11_llS4_llS2_PT12_llPT13_lli,"axG",@progbits,_ZN12_GLOBAL__N_127rocblas_gemm_batched_kernelIdLi16ELi16ELi32ELi32ELi8ELi32ELi8ELi8ELi32ELc78ELc78EKdS1_dEEvlllT_PT11_llS4_llS2_PT12_llPT13_lli,comdat
.Lfunc_end288:
	.size	_ZN12_GLOBAL__N_127rocblas_gemm_batched_kernelIdLi16ELi16ELi32ELi32ELi8ELi32ELi8ELi8ELi32ELc78ELc78EKdS1_dEEvlllT_PT11_llS4_llS2_PT12_llPT13_lli, .Lfunc_end288-_ZN12_GLOBAL__N_127rocblas_gemm_batched_kernelIdLi16ELi16ELi32ELi32ELi8ELi32ELi8ELi8ELi32ELc78ELc78EKdS1_dEEvlllT_PT11_llS4_llS2_PT12_llPT13_lli
                                        ; -- End function
	.set _ZN12_GLOBAL__N_127rocblas_gemm_batched_kernelIdLi16ELi16ELi32ELi32ELi8ELi32ELi8ELi8ELi32ELc78ELc78EKdS1_dEEvlllT_PT11_llS4_llS2_PT12_llPT13_lli.num_vgpr, 46
	.set _ZN12_GLOBAL__N_127rocblas_gemm_batched_kernelIdLi16ELi16ELi32ELi32ELi8ELi32ELi8ELi8ELi32ELc78ELc78EKdS1_dEEvlllT_PT11_llS4_llS2_PT12_llPT13_lli.num_agpr, 0
	.set _ZN12_GLOBAL__N_127rocblas_gemm_batched_kernelIdLi16ELi16ELi32ELi32ELi8ELi32ELi8ELi8ELi32ELc78ELc78EKdS1_dEEvlllT_PT11_llS4_llS2_PT12_llPT13_lli.numbered_sgpr, 44
	.set _ZN12_GLOBAL__N_127rocblas_gemm_batched_kernelIdLi16ELi16ELi32ELi32ELi8ELi32ELi8ELi8ELi32ELc78ELc78EKdS1_dEEvlllT_PT11_llS4_llS2_PT12_llPT13_lli.num_named_barrier, 0
	.set _ZN12_GLOBAL__N_127rocblas_gemm_batched_kernelIdLi16ELi16ELi32ELi32ELi8ELi32ELi8ELi8ELi32ELc78ELc78EKdS1_dEEvlllT_PT11_llS4_llS2_PT12_llPT13_lli.private_seg_size, 0
	.set _ZN12_GLOBAL__N_127rocblas_gemm_batched_kernelIdLi16ELi16ELi32ELi32ELi8ELi32ELi8ELi8ELi32ELc78ELc78EKdS1_dEEvlllT_PT11_llS4_llS2_PT12_llPT13_lli.uses_vcc, 1
	.set _ZN12_GLOBAL__N_127rocblas_gemm_batched_kernelIdLi16ELi16ELi32ELi32ELi8ELi32ELi8ELi8ELi32ELc78ELc78EKdS1_dEEvlllT_PT11_llS4_llS2_PT12_llPT13_lli.uses_flat_scratch, 0
	.set _ZN12_GLOBAL__N_127rocblas_gemm_batched_kernelIdLi16ELi16ELi32ELi32ELi8ELi32ELi8ELi8ELi32ELc78ELc78EKdS1_dEEvlllT_PT11_llS4_llS2_PT12_llPT13_lli.has_dyn_sized_stack, 0
	.set _ZN12_GLOBAL__N_127rocblas_gemm_batched_kernelIdLi16ELi16ELi32ELi32ELi8ELi32ELi8ELi8ELi32ELc78ELc78EKdS1_dEEvlllT_PT11_llS4_llS2_PT12_llPT13_lli.has_recursion, 0
	.set _ZN12_GLOBAL__N_127rocblas_gemm_batched_kernelIdLi16ELi16ELi32ELi32ELi8ELi32ELi8ELi8ELi32ELc78ELc78EKdS1_dEEvlllT_PT11_llS4_llS2_PT12_llPT13_lli.has_indirect_call, 0
	.section	.AMDGPU.csdata,"",@progbits
; Kernel info:
; codeLenInByte = 1296
; TotalNumSgprs: 46
; NumVgprs: 46
; ScratchSize: 0
; MemoryBound: 0
; FloatMode: 240
; IeeeMode: 1
; LDSByteSize: 4096 bytes/workgroup (compile time only)
; SGPRBlocks: 0
; VGPRBlocks: 2
; NumSGPRsForWavesPerEU: 46
; NumVGPRsForWavesPerEU: 46
; NamedBarCnt: 0
; Occupancy: 16
; WaveLimiterHint : 1
; COMPUTE_PGM_RSRC2:SCRATCH_EN: 0
; COMPUTE_PGM_RSRC2:USER_SGPR: 2
; COMPUTE_PGM_RSRC2:TRAP_HANDLER: 0
; COMPUTE_PGM_RSRC2:TGID_X_EN: 1
; COMPUTE_PGM_RSRC2:TGID_Y_EN: 1
; COMPUTE_PGM_RSRC2:TGID_Z_EN: 1
; COMPUTE_PGM_RSRC2:TIDIG_COMP_CNT: 1
	.section	.text._ZN12_GLOBAL__N_127rocblas_gemm_batched_kernelIdLi16ELi16ELi32ELi32ELi8ELi32ELi8ELi8ELi32ELc84ELc78EKdS1_dEEvlllT_PT11_llS4_llS2_PT12_llPT13_lli,"axG",@progbits,_ZN12_GLOBAL__N_127rocblas_gemm_batched_kernelIdLi16ELi16ELi32ELi32ELi8ELi32ELi8ELi8ELi32ELc84ELc78EKdS1_dEEvlllT_PT11_llS4_llS2_PT12_llPT13_lli,comdat
	.globl	_ZN12_GLOBAL__N_127rocblas_gemm_batched_kernelIdLi16ELi16ELi32ELi32ELi8ELi32ELi8ELi8ELi32ELc84ELc78EKdS1_dEEvlllT_PT11_llS4_llS2_PT12_llPT13_lli ; -- Begin function _ZN12_GLOBAL__N_127rocblas_gemm_batched_kernelIdLi16ELi16ELi32ELi32ELi8ELi32ELi8ELi8ELi32ELc84ELc78EKdS1_dEEvlllT_PT11_llS4_llS2_PT12_llPT13_lli
	.p2align	8
	.type	_ZN12_GLOBAL__N_127rocblas_gemm_batched_kernelIdLi16ELi16ELi32ELi32ELi8ELi32ELi8ELi8ELi32ELc84ELc78EKdS1_dEEvlllT_PT11_llS4_llS2_PT12_llPT13_lli,@function
_ZN12_GLOBAL__N_127rocblas_gemm_batched_kernelIdLi16ELi16ELi32ELi32ELi8ELi32ELi8ELi8ELi32ELc84ELc78EKdS1_dEEvlllT_PT11_llS4_llS2_PT12_llPT13_lli: ; @_ZN12_GLOBAL__N_127rocblas_gemm_batched_kernelIdLi16ELi16ELi32ELi32ELi8ELi32ELi8ELi8ELi32ELc84ELc78EKdS1_dEEvlllT_PT11_llS4_llS2_PT12_llPT13_lli
; %bb.0:
	s_load_b32 s28, s[0:1], 0x88
	s_bfe_u32 s2, ttmp6, 0x40014
	s_lshr_b32 s3, ttmp7, 16
	s_add_co_i32 s2, s2, 1
	s_bfe_u32 s4, ttmp6, 0x40008
	s_mul_i32 s2, s3, s2
	s_getreg_b32 s29, hwreg(HW_REG_IB_STS2, 6, 4)
	s_add_co_i32 s4, s4, s2
	s_cmp_eq_u32 s29, 0
	s_cselect_b32 s2, s3, s4
	s_mov_b32 s3, 0
	s_wait_kmcnt 0x0
	s_cmp_ge_i32 s2, s28
	s_cbranch_scc1 .LBB289_11
; %bb.1:
	v_bfe_u32 v4, v0, 10, 10
	v_and_b32_e32 v6, 0x3ff, v0
	s_clause 0x2
	s_load_b512 s[4:19], s[0:1], 0x10
	s_load_b256 s[20:27], s[0:1], 0x70
	s_load_b256 s[36:43], s[0:1], 0x50
	s_wait_xcnt 0x0
	s_bfe_u32 s1, ttmp6, 0x4000c
	s_wait_kmcnt 0x0
	s_bfe_u32 s26, ttmp6, 0x40010
	s_add_co_i32 s1, s1, 1
	s_and_b32 s27, ttmp7, 0xffff
	s_add_co_i32 s26, s26, 1
	v_lshl_add_u32 v1, v4, 4, v6
	v_mov_b32_e32 v5, 0
	s_and_b32 s0, ttmp6, 15
	s_mul_i32 s1, ttmp9, s1
	s_mul_i32 s26, s27, s26
	s_bfe_u32 s30, ttmp6, 0x40004
	s_add_co_i32 s0, s0, s1
	s_add_co_i32 s30, s30, s26
	s_cmp_eq_u32 s29, 0
	v_dual_lshrrev_b32 v8, 3, v1 :: v_dual_bitop2_b32 v18, 31, v1 bitop3:0x40
	v_mov_b32_e32 v9, v5
	s_cselect_b32 s0, ttmp9, s0
	s_cselect_b32 s26, s27, s30
	s_ashr_i32 s1, s0, 31
	s_lshl_b32 s26, s26, 5
	s_mov_b32 s27, s3
	s_lshl_b64 s[30:31], s[0:1], 5
	v_add_nc_u64_e32 v[2:3], s[26:27], v[8:9]
	v_dual_mov_b32 v11, s31 :: v_dual_bitop2_b32 v10, s30, v18 bitop3:0x54
	v_add_nc_u64_e32 v[12:13], s[26:27], v[4:5]
	v_cmp_eq_f64_e64 s1, s[36:37], 0
	v_dual_mov_b32 v7, v5 :: v_dual_lshlrev_b32 v0, 3, v0
	s_delay_alu instid0(VALU_DEP_4) | instskip(SKIP_1) | instid1(VALU_DEP_3)
	v_mul_u64_e32 v[10:11], s[10:11], v[10:11]
	v_mul_u64_e32 v[14:15], s[16:17], v[2:3]
	v_dual_lshrrev_b32 v9, 5, v1 :: v_dual_bitop2_b32 v0, 56, v0 bitop3:0x40
	v_mul_u64_e32 v[16:17], s[40:41], v[12:13]
	v_mul_u64_e32 v[2:3], s[22:23], v[12:13]
	v_lshlrev_b32_e32 v22, 3, v6
	v_lshl_add_u32 v23, v4, 6, 0x800
	v_dual_mov_b32 v1, v5 :: v_dual_lshlrev_b32 v12, 3, v18
	v_lshl_or_b32 v8, v8, 6, v0
	v_lshlrev_b32_e32 v4, 3, v9
	v_cmp_gt_i64_e64 s0, s[4:5], 0
	v_add_nc_u64_e32 v[6:7], s[30:31], v[6:7]
	v_lshl_or_b32 v24, v9, 8, v12
	v_add_nc_u32_e32 v25, 0x800, v8
	s_lshl_b64 s[10:11], s[22:23], 4
	s_lshl_b64 s[12:13], s[12:13], 3
	s_delay_alu instid0(VALU_DEP_3) | instskip(SKIP_3) | instid1(VALU_DEP_3)
	v_lshlrev_b64_e32 v[6:7], 3, v[6:7]
	v_lshl_add_u64 v[4:5], v[10:11], 3, v[4:5]
	v_lshl_add_u64 v[8:9], v[14:15], 3, v[0:1]
	v_cndmask_b32_e64 v10, 0, 1, s0
	v_add_nc_u64_e32 v[0:1], s[8:9], v[4:5]
	s_delay_alu instid0(VALU_DEP_3) | instskip(SKIP_1) | instid1(VALU_DEP_4)
	v_add_nc_u64_e32 v[4:5], s[14:15], v[8:9]
	v_lshl_add_u64 v[8:9], v[16:17], 3, s[38:39]
	v_cmp_ne_u32_e64 s0, 1, v10
	s_lshl_b64 s[8:9], s[40:41], 4
	s_lshl_b64 s[14:15], s[18:19], 3
	s_branch .LBB289_3
.LBB289_2:                              ;   in Loop: Header=BB289_3 Depth=1
	s_add_co_i32 s2, s2, 0x10000
	s_delay_alu instid0(SALU_CYCLE_1)
	s_cmp_lt_i32 s2, s28
	s_cbranch_scc0 .LBB289_11
.LBB289_3:                              ; =>This Loop Header: Depth=1
                                        ;     Child Loop BB289_5 Depth 2
	s_and_b32 vcc_lo, exec_lo, s0
	s_cbranch_vccnz .LBB289_6
; %bb.4:                                ;   in Loop: Header=BB289_3 Depth=1
	v_mad_nc_u64_u32 v[18:19], s14, s2, v[4:5]
	s_wait_xcnt 0x2
	v_mad_nc_u64_u32 v[20:21], s12, s2, v[0:1]
	v_mov_b64_e32 v[10:11], 0
	s_wait_xcnt 0x0
	v_mov_b64_e32 v[12:13], 0
	v_mov_b64_e32 v[14:15], 0
	;; [unrolled: 1-line block ×3, first 2 shown]
	s_mov_b64 s[16:17], 0
	v_mad_u32 v19, s15, s2, v19
	v_mad_u32 v21, s13, s2, v21
.LBB289_5:                              ;   Parent Loop BB289_3 Depth=1
                                        ; =>  This Inner Loop Header: Depth=2
	global_load_b64 v[26:27], v[20:21], off
	global_load_b64 v[28:29], v[18:19], off
	s_add_nc_u64 s[16:17], s[16:17], 8
	s_wait_xcnt 0x0
	v_add_nc_u64_e32 v[18:19], 64, v[18:19]
	v_cmp_lt_i64_e64 s18, s[16:17], s[4:5]
	v_add_nc_u64_e32 v[20:21], 64, v[20:21]
	s_wait_loadcnt 0x1
	ds_store_b64 v24, v[26:27]
	s_wait_loadcnt 0x0
	ds_store_b64 v25, v[28:29]
	s_wait_dscnt 0x0
	s_barrier_signal -1
	s_barrier_wait -1
	ds_load_b128 v[26:29], v23
	ds_load_2addr_b64 v[30:33], v22 offset1:16
	ds_load_b128 v[34:37], v23 offset:1024
	ds_load_b128 v[38:41], v23 offset:16
	;; [unrolled: 1-line block ×3, first 2 shown]
	s_and_b32 vcc_lo, exec_lo, s18
	s_wait_dscnt 0x3
	v_fmac_f64_e32 v[16:17], v[30:31], v[26:27]
	v_fmac_f64_e32 v[14:15], v[32:33], v[26:27]
	s_wait_dscnt 0x2
	v_fmac_f64_e32 v[12:13], v[30:31], v[34:35]
	v_fmac_f64_e32 v[10:11], v[32:33], v[34:35]
	ds_load_2addr_b64 v[30:33], v22 offset0:32 offset1:48
	s_wait_dscnt 0x0
	v_fmac_f64_e32 v[16:17], v[30:31], v[28:29]
	v_fmac_f64_e32 v[14:15], v[32:33], v[28:29]
	v_fmac_f64_e32 v[12:13], v[30:31], v[36:37]
	v_fmac_f64_e32 v[10:11], v[32:33], v[36:37]
	ds_load_2addr_b64 v[26:29], v22 offset0:64 offset1:80
	s_wait_dscnt 0x0
	v_fmac_f64_e32 v[16:17], v[26:27], v[38:39]
	v_fmac_f64_e32 v[14:15], v[28:29], v[38:39]
	;; [unrolled: 6-line block ×3, first 2 shown]
	v_fmac_f64_e32 v[12:13], v[26:27], v[44:45]
	v_fmac_f64_e32 v[10:11], v[28:29], v[44:45]
	ds_load_b128 v[26:29], v23 offset:32
	ds_load_2addr_b64 v[30:33], v22 offset0:128 offset1:144
	ds_load_b128 v[34:37], v23 offset:1056
	ds_load_b128 v[38:41], v23 offset:48
	;; [unrolled: 1-line block ×3, first 2 shown]
	s_wait_dscnt 0x3
	v_fmac_f64_e32 v[16:17], v[30:31], v[26:27]
	v_fmac_f64_e32 v[14:15], v[32:33], v[26:27]
	s_wait_dscnt 0x2
	v_fmac_f64_e32 v[12:13], v[30:31], v[34:35]
	v_fmac_f64_e32 v[10:11], v[32:33], v[34:35]
	ds_load_2addr_b64 v[30:33], v22 offset0:160 offset1:176
	s_wait_dscnt 0x0
	v_fmac_f64_e32 v[16:17], v[30:31], v[28:29]
	v_fmac_f64_e32 v[14:15], v[32:33], v[28:29]
	;; [unrolled: 1-line block ×4, first 2 shown]
	ds_load_2addr_b64 v[26:29], v22 offset0:192 offset1:208
	s_wait_dscnt 0x0
	v_fmac_f64_e32 v[16:17], v[26:27], v[38:39]
	v_fmac_f64_e32 v[14:15], v[28:29], v[38:39]
	;; [unrolled: 1-line block ×4, first 2 shown]
	ds_load_2addr_b64 v[26:29], v22 offset0:224 offset1:240
	s_wait_dscnt 0x0
	s_barrier_signal -1
	s_barrier_wait -1
	v_fmac_f64_e32 v[16:17], v[26:27], v[40:41]
	v_fmac_f64_e32 v[14:15], v[28:29], v[40:41]
	;; [unrolled: 1-line block ×4, first 2 shown]
	s_cbranch_vccnz .LBB289_5
	s_branch .LBB289_7
.LBB289_6:                              ;   in Loop: Header=BB289_3 Depth=1
	v_mov_b64_e32 v[16:17], 0
	s_wait_xcnt 0x0
	v_mov_b64_e32 v[14:15], 0
	v_mov_b64_e32 v[12:13], 0
	;; [unrolled: 1-line block ×3, first 2 shown]
.LBB289_7:                              ;   in Loop: Header=BB289_3 Depth=1
	s_mul_u64 s[16:17], s[24:25], s[2:3]
	s_and_not1_b32 vcc_lo, exec_lo, s1
	s_lshl_b64 s[16:17], s[16:17], 3
	s_delay_alu instid0(SALU_CYCLE_1) | instskip(NEXT) | instid1(SALU_CYCLE_1)
	s_add_nc_u64 s[16:17], s[20:21], s[16:17]
	v_lshl_add_u64 v[18:19], v[2:3], 3, s[16:17]
	s_delay_alu instid0(VALU_DEP_1)
	v_add_nc_u64_e32 v[20:21], v[18:19], v[6:7]
	v_lshl_add_u64 v[18:19], s[10:11], 3, v[18:19]
	s_cbranch_vccnz .LBB289_9
; %bb.8:                                ;   in Loop: Header=BB289_3 Depth=1
	v_mul_f64_e32 v[26:27], s[6:7], v[16:17]
	v_mul_f64_e32 v[28:29], s[6:7], v[14:15]
	;; [unrolled: 1-line block ×4, first 2 shown]
	v_add_nc_u64_e32 v[34:35], v[18:19], v[6:7]
	s_clause 0x3
	global_store_b64 v[20:21], v[26:27], off
	global_store_b64 v[20:21], v[28:29], off offset:128
	global_store_b64 v[34:35], v[30:31], off
	global_store_b64 v[34:35], v[32:33], off offset:128
	s_cbranch_execnz .LBB289_2
	s_branch .LBB289_10
.LBB289_9:                              ;   in Loop: Header=BB289_3 Depth=1
.LBB289_10:                             ;   in Loop: Header=BB289_3 Depth=1
	s_mul_u64 s[16:17], s[42:43], s[2:3]
	s_wait_xcnt 0x3
	v_lshl_add_u64 v[26:27], s[16:17], 3, v[8:9]
	s_wait_xcnt 0x2
	s_delay_alu instid0(VALU_DEP_1) | instskip(SKIP_3) | instid1(VALU_DEP_1)
	v_add_nc_u64_e32 v[28:29], v[26:27], v[6:7]
	global_load_b64 v[30:31], v[28:29], off
	s_wait_loadcnt 0x0
	v_mul_f64_e32 v[30:31], s[36:37], v[30:31]
	v_fmac_f64_e32 v[30:31], s[6:7], v[16:17]
	global_store_b64 v[20:21], v[30:31], off
	global_load_b64 v[16:17], v[28:29], off offset:128
	s_wait_loadcnt 0x0
	v_mul_f64_e32 v[16:17], s[36:37], v[16:17]
	s_delay_alu instid0(VALU_DEP_1) | instskip(SKIP_1) | instid1(VALU_DEP_1)
	v_fmac_f64_e32 v[16:17], s[6:7], v[14:15]
	v_lshl_add_u64 v[14:15], s[8:9], 3, v[26:27]
	v_add_nc_u64_e32 v[14:15], v[14:15], v[6:7]
	global_store_b64 v[20:21], v[16:17], off offset:128
	global_load_b64 v[16:17], v[14:15], off
	s_wait_loadcnt 0x0
	v_mul_f64_e32 v[16:17], s[36:37], v[16:17]
	s_delay_alu instid0(VALU_DEP_1)
	v_fmac_f64_e32 v[16:17], s[6:7], v[12:13]
	v_add_nc_u64_e32 v[12:13], v[18:19], v[6:7]
	global_store_b64 v[12:13], v[16:17], off
	global_load_b64 v[14:15], v[14:15], off offset:128
	s_wait_loadcnt 0x0
	v_mul_f64_e32 v[14:15], s[36:37], v[14:15]
	s_delay_alu instid0(VALU_DEP_1)
	v_fmac_f64_e32 v[14:15], s[6:7], v[10:11]
	global_store_b64 v[12:13], v[14:15], off offset:128
	s_branch .LBB289_2
.LBB289_11:
	s_endpgm
	.section	.rodata,"a",@progbits
	.p2align	6, 0x0
	.amdhsa_kernel _ZN12_GLOBAL__N_127rocblas_gemm_batched_kernelIdLi16ELi16ELi32ELi32ELi8ELi32ELi8ELi8ELi32ELc84ELc78EKdS1_dEEvlllT_PT11_llS4_llS2_PT12_llPT13_lli
		.amdhsa_group_segment_fixed_size 4096
		.amdhsa_private_segment_fixed_size 0
		.amdhsa_kernarg_size 140
		.amdhsa_user_sgpr_count 2
		.amdhsa_user_sgpr_dispatch_ptr 0
		.amdhsa_user_sgpr_queue_ptr 0
		.amdhsa_user_sgpr_kernarg_segment_ptr 1
		.amdhsa_user_sgpr_dispatch_id 0
		.amdhsa_user_sgpr_kernarg_preload_length 0
		.amdhsa_user_sgpr_kernarg_preload_offset 0
		.amdhsa_user_sgpr_private_segment_size 0
		.amdhsa_wavefront_size32 1
		.amdhsa_uses_dynamic_stack 0
		.amdhsa_enable_private_segment 0
		.amdhsa_system_sgpr_workgroup_id_x 1
		.amdhsa_system_sgpr_workgroup_id_y 1
		.amdhsa_system_sgpr_workgroup_id_z 1
		.amdhsa_system_sgpr_workgroup_info 0
		.amdhsa_system_vgpr_workitem_id 1
		.amdhsa_next_free_vgpr 46
		.amdhsa_next_free_sgpr 44
		.amdhsa_named_barrier_count 0
		.amdhsa_reserve_vcc 1
		.amdhsa_float_round_mode_32 0
		.amdhsa_float_round_mode_16_64 0
		.amdhsa_float_denorm_mode_32 3
		.amdhsa_float_denorm_mode_16_64 3
		.amdhsa_fp16_overflow 0
		.amdhsa_memory_ordered 1
		.amdhsa_forward_progress 1
		.amdhsa_inst_pref_size 11
		.amdhsa_round_robin_scheduling 0
		.amdhsa_exception_fp_ieee_invalid_op 0
		.amdhsa_exception_fp_denorm_src 0
		.amdhsa_exception_fp_ieee_div_zero 0
		.amdhsa_exception_fp_ieee_overflow 0
		.amdhsa_exception_fp_ieee_underflow 0
		.amdhsa_exception_fp_ieee_inexact 0
		.amdhsa_exception_int_div_zero 0
	.end_amdhsa_kernel
	.section	.text._ZN12_GLOBAL__N_127rocblas_gemm_batched_kernelIdLi16ELi16ELi32ELi32ELi8ELi32ELi8ELi8ELi32ELc84ELc78EKdS1_dEEvlllT_PT11_llS4_llS2_PT12_llPT13_lli,"axG",@progbits,_ZN12_GLOBAL__N_127rocblas_gemm_batched_kernelIdLi16ELi16ELi32ELi32ELi8ELi32ELi8ELi8ELi32ELc84ELc78EKdS1_dEEvlllT_PT11_llS4_llS2_PT12_llPT13_lli,comdat
.Lfunc_end289:
	.size	_ZN12_GLOBAL__N_127rocblas_gemm_batched_kernelIdLi16ELi16ELi32ELi32ELi8ELi32ELi8ELi8ELi32ELc84ELc78EKdS1_dEEvlllT_PT11_llS4_llS2_PT12_llPT13_lli, .Lfunc_end289-_ZN12_GLOBAL__N_127rocblas_gemm_batched_kernelIdLi16ELi16ELi32ELi32ELi8ELi32ELi8ELi8ELi32ELc84ELc78EKdS1_dEEvlllT_PT11_llS4_llS2_PT12_llPT13_lli
                                        ; -- End function
	.set _ZN12_GLOBAL__N_127rocblas_gemm_batched_kernelIdLi16ELi16ELi32ELi32ELi8ELi32ELi8ELi8ELi32ELc84ELc78EKdS1_dEEvlllT_PT11_llS4_llS2_PT12_llPT13_lli.num_vgpr, 46
	.set _ZN12_GLOBAL__N_127rocblas_gemm_batched_kernelIdLi16ELi16ELi32ELi32ELi8ELi32ELi8ELi8ELi32ELc84ELc78EKdS1_dEEvlllT_PT11_llS4_llS2_PT12_llPT13_lli.num_agpr, 0
	.set _ZN12_GLOBAL__N_127rocblas_gemm_batched_kernelIdLi16ELi16ELi32ELi32ELi8ELi32ELi8ELi8ELi32ELc84ELc78EKdS1_dEEvlllT_PT11_llS4_llS2_PT12_llPT13_lli.numbered_sgpr, 44
	.set _ZN12_GLOBAL__N_127rocblas_gemm_batched_kernelIdLi16ELi16ELi32ELi32ELi8ELi32ELi8ELi8ELi32ELc84ELc78EKdS1_dEEvlllT_PT11_llS4_llS2_PT12_llPT13_lli.num_named_barrier, 0
	.set _ZN12_GLOBAL__N_127rocblas_gemm_batched_kernelIdLi16ELi16ELi32ELi32ELi8ELi32ELi8ELi8ELi32ELc84ELc78EKdS1_dEEvlllT_PT11_llS4_llS2_PT12_llPT13_lli.private_seg_size, 0
	.set _ZN12_GLOBAL__N_127rocblas_gemm_batched_kernelIdLi16ELi16ELi32ELi32ELi8ELi32ELi8ELi8ELi32ELc84ELc78EKdS1_dEEvlllT_PT11_llS4_llS2_PT12_llPT13_lli.uses_vcc, 1
	.set _ZN12_GLOBAL__N_127rocblas_gemm_batched_kernelIdLi16ELi16ELi32ELi32ELi8ELi32ELi8ELi8ELi32ELc84ELc78EKdS1_dEEvlllT_PT11_llS4_llS2_PT12_llPT13_lli.uses_flat_scratch, 0
	.set _ZN12_GLOBAL__N_127rocblas_gemm_batched_kernelIdLi16ELi16ELi32ELi32ELi8ELi32ELi8ELi8ELi32ELc84ELc78EKdS1_dEEvlllT_PT11_llS4_llS2_PT12_llPT13_lli.has_dyn_sized_stack, 0
	.set _ZN12_GLOBAL__N_127rocblas_gemm_batched_kernelIdLi16ELi16ELi32ELi32ELi8ELi32ELi8ELi8ELi32ELc84ELc78EKdS1_dEEvlllT_PT11_llS4_llS2_PT12_llPT13_lli.has_recursion, 0
	.set _ZN12_GLOBAL__N_127rocblas_gemm_batched_kernelIdLi16ELi16ELi32ELi32ELi8ELi32ELi8ELi8ELi32ELc84ELc78EKdS1_dEEvlllT_PT11_llS4_llS2_PT12_llPT13_lli.has_indirect_call, 0
	.section	.AMDGPU.csdata,"",@progbits
; Kernel info:
; codeLenInByte = 1292
; TotalNumSgprs: 46
; NumVgprs: 46
; ScratchSize: 0
; MemoryBound: 0
; FloatMode: 240
; IeeeMode: 1
; LDSByteSize: 4096 bytes/workgroup (compile time only)
; SGPRBlocks: 0
; VGPRBlocks: 2
; NumSGPRsForWavesPerEU: 46
; NumVGPRsForWavesPerEU: 46
; NamedBarCnt: 0
; Occupancy: 16
; WaveLimiterHint : 1
; COMPUTE_PGM_RSRC2:SCRATCH_EN: 0
; COMPUTE_PGM_RSRC2:USER_SGPR: 2
; COMPUTE_PGM_RSRC2:TRAP_HANDLER: 0
; COMPUTE_PGM_RSRC2:TGID_X_EN: 1
; COMPUTE_PGM_RSRC2:TGID_Y_EN: 1
; COMPUTE_PGM_RSRC2:TGID_Z_EN: 1
; COMPUTE_PGM_RSRC2:TIDIG_COMP_CNT: 1
	.section	.text._ZN12_GLOBAL__N_127rocblas_gemm_batched_kernelIdLi16ELi16ELi32ELi32ELi8ELi32ELi8ELi8ELi32ELc78ELc84EKdS1_dEEvlllT_PT11_llS4_llS2_PT12_llPT13_lli,"axG",@progbits,_ZN12_GLOBAL__N_127rocblas_gemm_batched_kernelIdLi16ELi16ELi32ELi32ELi8ELi32ELi8ELi8ELi32ELc78ELc84EKdS1_dEEvlllT_PT11_llS4_llS2_PT12_llPT13_lli,comdat
	.globl	_ZN12_GLOBAL__N_127rocblas_gemm_batched_kernelIdLi16ELi16ELi32ELi32ELi8ELi32ELi8ELi8ELi32ELc78ELc84EKdS1_dEEvlllT_PT11_llS4_llS2_PT12_llPT13_lli ; -- Begin function _ZN12_GLOBAL__N_127rocblas_gemm_batched_kernelIdLi16ELi16ELi32ELi32ELi8ELi32ELi8ELi8ELi32ELc78ELc84EKdS1_dEEvlllT_PT11_llS4_llS2_PT12_llPT13_lli
	.p2align	8
	.type	_ZN12_GLOBAL__N_127rocblas_gemm_batched_kernelIdLi16ELi16ELi32ELi32ELi8ELi32ELi8ELi8ELi32ELc78ELc84EKdS1_dEEvlllT_PT11_llS4_llS2_PT12_llPT13_lli,@function
_ZN12_GLOBAL__N_127rocblas_gemm_batched_kernelIdLi16ELi16ELi32ELi32ELi8ELi32ELi8ELi8ELi32ELc78ELc84EKdS1_dEEvlllT_PT11_llS4_llS2_PT12_llPT13_lli: ; @_ZN12_GLOBAL__N_127rocblas_gemm_batched_kernelIdLi16ELi16ELi32ELi32ELi8ELi32ELi8ELi8ELi32ELc78ELc84EKdS1_dEEvlllT_PT11_llS4_llS2_PT12_llPT13_lli
; %bb.0:
	s_load_b32 s30, s[0:1], 0x88
	s_bfe_u32 s2, ttmp6, 0x40014
	s_lshr_b32 s3, ttmp7, 16
	s_add_co_i32 s2, s2, 1
	s_bfe_u32 s4, ttmp6, 0x40008
	s_mul_i32 s2, s3, s2
	s_getreg_b32 s28, hwreg(HW_REG_IB_STS2, 6, 4)
	s_add_co_i32 s4, s4, s2
	s_cmp_eq_u32 s28, 0
	s_cselect_b32 s2, s3, s4
	s_mov_b32 s3, 0
	s_wait_kmcnt 0x0
	s_cmp_ge_i32 s2, s30
	s_cbranch_scc1 .LBB290_11
; %bb.1:
	s_clause 0x1
	s_load_b512 s[4:19], s[0:1], 0x10
	s_load_b256 s[20:27], s[0:1], 0x50
	s_bfe_u32 s29, ttmp6, 0x4000c
	s_bfe_u32 s33, ttmp6, 0x40010
	s_add_co_i32 s29, s29, 1
	s_and_b32 s34, ttmp7, 0xffff
	s_add_co_i32 s33, s33, 1
	s_and_b32 s31, ttmp6, 15
	s_mul_i32 s29, ttmp9, s29
	s_mul_i32 s33, s34, s33
	s_bfe_u32 s35, ttmp6, 0x40004
	s_add_co_i32 s31, s31, s29
	s_add_co_i32 s35, s35, s33
	s_cmp_eq_u32 s28, 0
	v_bfe_u32 v2, v0, 10, 10
	v_dual_mov_b32 v3, 0 :: v_dual_bitop2_b32 v16, 7, v0 bitop3:0x40
	s_cselect_b32 s29, s34, s35
	s_load_b256 s[36:43], s[0:1], 0x70
	s_cselect_b32 s28, ttmp9, s31
	s_lshl_b32 s34, s29, 5
	s_mov_b32 s35, s3
	v_and_b32_e32 v4, 0x3ff, v0
	v_add_nc_u64_e32 v[6:7], s[34:35], v[2:3]
	v_mov_b32_e32 v9, v3
	s_ashr_i32 s29, s28, 31
	s_wait_kmcnt 0x0
	v_cmp_eq_f64_e64 s1, s[20:21], 0
	v_lshl_add_u32 v5, v2, 4, v4
	s_lshl_b64 s[28:29], s[28:29], 5
	v_cmp_gt_i64_e64 s0, s[4:5], 0
	v_mul_u64_e32 v[10:11], s[24:25], v[6:7]
	s_delay_alu instid0(VALU_DEP_3)
	v_dual_lshlrev_b32 v22, 3, v4 :: v_dual_lshrrev_b32 v8, 3, v5
	v_lshrrev_b32_e32 v17, 5, v5
	v_lshl_add_u32 v23, v2, 6, 0x800
	s_lshl_b64 s[24:25], s[24:25], 4
	s_lshl_b64 s[12:13], s[12:13], 3
	v_mad_nc_u64_u32 v[12:13], s16, v16, v[8:9]
	v_lshlrev_b32_e32 v9, 3, v16
	v_mad_nc_u64_u32 v[14:15], s10, v17, s[28:29]
	v_mul_u64_e32 v[0:1], s[38:39], v[6:7]
	v_dual_mov_b32 v5, v3 :: v_dual_bitop2_b32 v6, 31, v5 bitop3:0x40
	s_delay_alu instid0(VALU_DEP_1)
	v_dual_mov_b32 v7, v3 :: v_dual_lshlrev_b32 v3, 3, v6
	v_mad_u32 v13, s17, v16, v13
	v_lshl_or_b32 v16, v8, 6, v9
	v_mad_u32 v15, s11, v17, v15
	v_add_nc_u64_e32 v[8:9], s[28:29], v[4:5]
	v_lshl_or_b32 v24, v17, 8, v3
	s_lshl_b64 s[28:29], s[38:39], 4
	v_add_nc_u32_e32 v25, 0x800, v16
	s_lshl_b64 s[10:11], s[10:11], 6
	v_add_nc_u64_e32 v[4:5], s[34:35], v[12:13]
	v_add_nc_u64_e32 v[12:13], v[14:15], v[6:7]
	v_lshl_add_u64 v[2:3], v[10:11], 3, s[22:23]
	v_cndmask_b32_e64 v10, 0, 1, s0
	v_lshlrev_b64_e32 v[6:7], 3, v[8:9]
	v_lshl_add_u64 v[4:5], v[4:5], 3, s[14:15]
	s_lshl_b64 s[14:15], s[18:19], 3
	v_lshl_add_u64 v[8:9], v[12:13], 3, s[8:9]
	v_cmp_ne_u32_e64 s0, 1, v10
	s_lshl_b64 s[8:9], s[16:17], 6
	s_branch .LBB290_3
.LBB290_2:                              ;   in Loop: Header=BB290_3 Depth=1
	s_add_co_i32 s2, s2, 0x10000
	s_delay_alu instid0(SALU_CYCLE_1)
	s_cmp_lt_i32 s2, s30
	s_cbranch_scc0 .LBB290_11
.LBB290_3:                              ; =>This Loop Header: Depth=1
                                        ;     Child Loop BB290_5 Depth 2
	s_and_b32 vcc_lo, exec_lo, s0
	s_cbranch_vccnz .LBB290_6
; %bb.4:                                ;   in Loop: Header=BB290_3 Depth=1
	v_mad_nc_u64_u32 v[18:19], s14, s2, v[4:5]
	s_wait_xcnt 0x2
	v_mad_nc_u64_u32 v[20:21], s12, s2, v[8:9]
	v_mov_b64_e32 v[10:11], 0
	s_wait_xcnt 0x0
	v_mov_b64_e32 v[12:13], 0
	v_mov_b64_e32 v[14:15], 0
	;; [unrolled: 1-line block ×3, first 2 shown]
	s_mov_b64 s[16:17], 0
	v_mad_u32 v19, s15, s2, v19
	v_mad_u32 v21, s13, s2, v21
.LBB290_5:                              ;   Parent Loop BB290_3 Depth=1
                                        ; =>  This Inner Loop Header: Depth=2
	global_load_b64 v[26:27], v[20:21], off
	global_load_b64 v[28:29], v[18:19], off
	s_add_nc_u64 s[16:17], s[16:17], 8
	s_wait_xcnt 0x0
	v_add_nc_u64_e32 v[18:19], s[8:9], v[18:19]
	v_cmp_lt_i64_e64 s18, s[16:17], s[4:5]
	v_add_nc_u64_e32 v[20:21], s[10:11], v[20:21]
	s_wait_loadcnt 0x1
	ds_store_b64 v24, v[26:27]
	s_wait_loadcnt 0x0
	ds_store_b64 v25, v[28:29]
	s_wait_dscnt 0x0
	s_barrier_signal -1
	s_barrier_wait -1
	ds_load_b128 v[26:29], v23
	ds_load_2addr_b64 v[30:33], v22 offset1:16
	ds_load_b128 v[34:37], v23 offset:1024
	ds_load_b128 v[38:41], v23 offset:16
	;; [unrolled: 1-line block ×3, first 2 shown]
	s_and_b32 vcc_lo, exec_lo, s18
	s_wait_dscnt 0x3
	v_fmac_f64_e32 v[16:17], v[30:31], v[26:27]
	v_fmac_f64_e32 v[14:15], v[32:33], v[26:27]
	s_wait_dscnt 0x2
	v_fmac_f64_e32 v[12:13], v[30:31], v[34:35]
	v_fmac_f64_e32 v[10:11], v[32:33], v[34:35]
	ds_load_2addr_b64 v[30:33], v22 offset0:32 offset1:48
	s_wait_dscnt 0x0
	v_fmac_f64_e32 v[16:17], v[30:31], v[28:29]
	v_fmac_f64_e32 v[14:15], v[32:33], v[28:29]
	v_fmac_f64_e32 v[12:13], v[30:31], v[36:37]
	v_fmac_f64_e32 v[10:11], v[32:33], v[36:37]
	ds_load_2addr_b64 v[26:29], v22 offset0:64 offset1:80
	s_wait_dscnt 0x0
	v_fmac_f64_e32 v[16:17], v[26:27], v[38:39]
	v_fmac_f64_e32 v[14:15], v[28:29], v[38:39]
	;; [unrolled: 6-line block ×3, first 2 shown]
	v_fmac_f64_e32 v[12:13], v[26:27], v[44:45]
	v_fmac_f64_e32 v[10:11], v[28:29], v[44:45]
	ds_load_b128 v[26:29], v23 offset:32
	ds_load_2addr_b64 v[30:33], v22 offset0:128 offset1:144
	ds_load_b128 v[34:37], v23 offset:1056
	ds_load_b128 v[38:41], v23 offset:48
	;; [unrolled: 1-line block ×3, first 2 shown]
	s_wait_dscnt 0x3
	v_fmac_f64_e32 v[16:17], v[30:31], v[26:27]
	v_fmac_f64_e32 v[14:15], v[32:33], v[26:27]
	s_wait_dscnt 0x2
	v_fmac_f64_e32 v[12:13], v[30:31], v[34:35]
	v_fmac_f64_e32 v[10:11], v[32:33], v[34:35]
	ds_load_2addr_b64 v[30:33], v22 offset0:160 offset1:176
	s_wait_dscnt 0x0
	v_fmac_f64_e32 v[16:17], v[30:31], v[28:29]
	v_fmac_f64_e32 v[14:15], v[32:33], v[28:29]
	;; [unrolled: 1-line block ×4, first 2 shown]
	ds_load_2addr_b64 v[26:29], v22 offset0:192 offset1:208
	s_wait_dscnt 0x0
	v_fmac_f64_e32 v[16:17], v[26:27], v[38:39]
	v_fmac_f64_e32 v[14:15], v[28:29], v[38:39]
	;; [unrolled: 1-line block ×4, first 2 shown]
	ds_load_2addr_b64 v[26:29], v22 offset0:224 offset1:240
	s_wait_dscnt 0x0
	s_barrier_signal -1
	s_barrier_wait -1
	v_fmac_f64_e32 v[16:17], v[26:27], v[40:41]
	v_fmac_f64_e32 v[14:15], v[28:29], v[40:41]
	;; [unrolled: 1-line block ×4, first 2 shown]
	s_cbranch_vccnz .LBB290_5
	s_branch .LBB290_7
.LBB290_6:                              ;   in Loop: Header=BB290_3 Depth=1
	v_mov_b64_e32 v[16:17], 0
	s_wait_xcnt 0x0
	v_mov_b64_e32 v[14:15], 0
	v_mov_b64_e32 v[12:13], 0
	;; [unrolled: 1-line block ×3, first 2 shown]
.LBB290_7:                              ;   in Loop: Header=BB290_3 Depth=1
	s_mul_u64 s[16:17], s[40:41], s[2:3]
	s_and_not1_b32 vcc_lo, exec_lo, s1
	s_lshl_b64 s[16:17], s[16:17], 3
	s_delay_alu instid0(SALU_CYCLE_1) | instskip(NEXT) | instid1(SALU_CYCLE_1)
	s_add_nc_u64 s[16:17], s[36:37], s[16:17]
	v_lshl_add_u64 v[18:19], v[0:1], 3, s[16:17]
	s_delay_alu instid0(VALU_DEP_1)
	v_add_nc_u64_e32 v[20:21], v[18:19], v[6:7]
	v_lshl_add_u64 v[18:19], s[28:29], 3, v[18:19]
	s_cbranch_vccnz .LBB290_9
; %bb.8:                                ;   in Loop: Header=BB290_3 Depth=1
	v_mul_f64_e32 v[26:27], s[6:7], v[16:17]
	v_mul_f64_e32 v[28:29], s[6:7], v[14:15]
	;; [unrolled: 1-line block ×4, first 2 shown]
	v_add_nc_u64_e32 v[34:35], v[18:19], v[6:7]
	s_clause 0x3
	global_store_b64 v[20:21], v[26:27], off
	global_store_b64 v[20:21], v[28:29], off offset:128
	global_store_b64 v[34:35], v[30:31], off
	global_store_b64 v[34:35], v[32:33], off offset:128
	s_cbranch_execnz .LBB290_2
	s_branch .LBB290_10
.LBB290_9:                              ;   in Loop: Header=BB290_3 Depth=1
.LBB290_10:                             ;   in Loop: Header=BB290_3 Depth=1
	s_mul_u64 s[16:17], s[26:27], s[2:3]
	s_wait_xcnt 0x3
	v_lshl_add_u64 v[26:27], s[16:17], 3, v[2:3]
	s_wait_xcnt 0x2
	s_delay_alu instid0(VALU_DEP_1) | instskip(SKIP_3) | instid1(VALU_DEP_1)
	v_add_nc_u64_e32 v[28:29], v[26:27], v[6:7]
	global_load_b64 v[30:31], v[28:29], off
	s_wait_loadcnt 0x0
	v_mul_f64_e32 v[30:31], s[20:21], v[30:31]
	v_fmac_f64_e32 v[30:31], s[6:7], v[16:17]
	global_store_b64 v[20:21], v[30:31], off
	global_load_b64 v[16:17], v[28:29], off offset:128
	s_wait_loadcnt 0x0
	v_mul_f64_e32 v[16:17], s[20:21], v[16:17]
	s_delay_alu instid0(VALU_DEP_1) | instskip(SKIP_1) | instid1(VALU_DEP_1)
	v_fmac_f64_e32 v[16:17], s[6:7], v[14:15]
	v_lshl_add_u64 v[14:15], s[24:25], 3, v[26:27]
	v_add_nc_u64_e32 v[14:15], v[14:15], v[6:7]
	global_store_b64 v[20:21], v[16:17], off offset:128
	global_load_b64 v[16:17], v[14:15], off
	s_wait_loadcnt 0x0
	v_mul_f64_e32 v[16:17], s[20:21], v[16:17]
	s_delay_alu instid0(VALU_DEP_1)
	v_fmac_f64_e32 v[16:17], s[6:7], v[12:13]
	v_add_nc_u64_e32 v[12:13], v[18:19], v[6:7]
	global_store_b64 v[12:13], v[16:17], off
	global_load_b64 v[14:15], v[14:15], off offset:128
	s_wait_loadcnt 0x0
	v_mul_f64_e32 v[14:15], s[20:21], v[14:15]
	s_delay_alu instid0(VALU_DEP_1)
	v_fmac_f64_e32 v[14:15], s[6:7], v[10:11]
	global_store_b64 v[12:13], v[14:15], off offset:128
	s_branch .LBB290_2
.LBB290_11:
	s_endpgm
	.section	.rodata,"a",@progbits
	.p2align	6, 0x0
	.amdhsa_kernel _ZN12_GLOBAL__N_127rocblas_gemm_batched_kernelIdLi16ELi16ELi32ELi32ELi8ELi32ELi8ELi8ELi32ELc78ELc84EKdS1_dEEvlllT_PT11_llS4_llS2_PT12_llPT13_lli
		.amdhsa_group_segment_fixed_size 4096
		.amdhsa_private_segment_fixed_size 0
		.amdhsa_kernarg_size 140
		.amdhsa_user_sgpr_count 2
		.amdhsa_user_sgpr_dispatch_ptr 0
		.amdhsa_user_sgpr_queue_ptr 0
		.amdhsa_user_sgpr_kernarg_segment_ptr 1
		.amdhsa_user_sgpr_dispatch_id 0
		.amdhsa_user_sgpr_kernarg_preload_length 0
		.amdhsa_user_sgpr_kernarg_preload_offset 0
		.amdhsa_user_sgpr_private_segment_size 0
		.amdhsa_wavefront_size32 1
		.amdhsa_uses_dynamic_stack 0
		.amdhsa_enable_private_segment 0
		.amdhsa_system_sgpr_workgroup_id_x 1
		.amdhsa_system_sgpr_workgroup_id_y 1
		.amdhsa_system_sgpr_workgroup_id_z 1
		.amdhsa_system_sgpr_workgroup_info 0
		.amdhsa_system_vgpr_workitem_id 1
		.amdhsa_next_free_vgpr 46
		.amdhsa_next_free_sgpr 44
		.amdhsa_named_barrier_count 0
		.amdhsa_reserve_vcc 1
		.amdhsa_float_round_mode_32 0
		.amdhsa_float_round_mode_16_64 0
		.amdhsa_float_denorm_mode_32 3
		.amdhsa_float_denorm_mode_16_64 3
		.amdhsa_fp16_overflow 0
		.amdhsa_memory_ordered 1
		.amdhsa_forward_progress 1
		.amdhsa_inst_pref_size 11
		.amdhsa_round_robin_scheduling 0
		.amdhsa_exception_fp_ieee_invalid_op 0
		.amdhsa_exception_fp_denorm_src 0
		.amdhsa_exception_fp_ieee_div_zero 0
		.amdhsa_exception_fp_ieee_overflow 0
		.amdhsa_exception_fp_ieee_underflow 0
		.amdhsa_exception_fp_ieee_inexact 0
		.amdhsa_exception_int_div_zero 0
	.end_amdhsa_kernel
	.section	.text._ZN12_GLOBAL__N_127rocblas_gemm_batched_kernelIdLi16ELi16ELi32ELi32ELi8ELi32ELi8ELi8ELi32ELc78ELc84EKdS1_dEEvlllT_PT11_llS4_llS2_PT12_llPT13_lli,"axG",@progbits,_ZN12_GLOBAL__N_127rocblas_gemm_batched_kernelIdLi16ELi16ELi32ELi32ELi8ELi32ELi8ELi8ELi32ELc78ELc84EKdS1_dEEvlllT_PT11_llS4_llS2_PT12_llPT13_lli,comdat
.Lfunc_end290:
	.size	_ZN12_GLOBAL__N_127rocblas_gemm_batched_kernelIdLi16ELi16ELi32ELi32ELi8ELi32ELi8ELi8ELi32ELc78ELc84EKdS1_dEEvlllT_PT11_llS4_llS2_PT12_llPT13_lli, .Lfunc_end290-_ZN12_GLOBAL__N_127rocblas_gemm_batched_kernelIdLi16ELi16ELi32ELi32ELi8ELi32ELi8ELi8ELi32ELc78ELc84EKdS1_dEEvlllT_PT11_llS4_llS2_PT12_llPT13_lli
                                        ; -- End function
	.set _ZN12_GLOBAL__N_127rocblas_gemm_batched_kernelIdLi16ELi16ELi32ELi32ELi8ELi32ELi8ELi8ELi32ELc78ELc84EKdS1_dEEvlllT_PT11_llS4_llS2_PT12_llPT13_lli.num_vgpr, 46
	.set _ZN12_GLOBAL__N_127rocblas_gemm_batched_kernelIdLi16ELi16ELi32ELi32ELi8ELi32ELi8ELi8ELi32ELc78ELc84EKdS1_dEEvlllT_PT11_llS4_llS2_PT12_llPT13_lli.num_agpr, 0
	.set _ZN12_GLOBAL__N_127rocblas_gemm_batched_kernelIdLi16ELi16ELi32ELi32ELi8ELi32ELi8ELi8ELi32ELc78ELc84EKdS1_dEEvlllT_PT11_llS4_llS2_PT12_llPT13_lli.numbered_sgpr, 44
	.set _ZN12_GLOBAL__N_127rocblas_gemm_batched_kernelIdLi16ELi16ELi32ELi32ELi8ELi32ELi8ELi8ELi32ELc78ELc84EKdS1_dEEvlllT_PT11_llS4_llS2_PT12_llPT13_lli.num_named_barrier, 0
	.set _ZN12_GLOBAL__N_127rocblas_gemm_batched_kernelIdLi16ELi16ELi32ELi32ELi8ELi32ELi8ELi8ELi32ELc78ELc84EKdS1_dEEvlllT_PT11_llS4_llS2_PT12_llPT13_lli.private_seg_size, 0
	.set _ZN12_GLOBAL__N_127rocblas_gemm_batched_kernelIdLi16ELi16ELi32ELi32ELi8ELi32ELi8ELi8ELi32ELc78ELc84EKdS1_dEEvlllT_PT11_llS4_llS2_PT12_llPT13_lli.uses_vcc, 1
	.set _ZN12_GLOBAL__N_127rocblas_gemm_batched_kernelIdLi16ELi16ELi32ELi32ELi8ELi32ELi8ELi8ELi32ELc78ELc84EKdS1_dEEvlllT_PT11_llS4_llS2_PT12_llPT13_lli.uses_flat_scratch, 0
	.set _ZN12_GLOBAL__N_127rocblas_gemm_batched_kernelIdLi16ELi16ELi32ELi32ELi8ELi32ELi8ELi8ELi32ELc78ELc84EKdS1_dEEvlllT_PT11_llS4_llS2_PT12_llPT13_lli.has_dyn_sized_stack, 0
	.set _ZN12_GLOBAL__N_127rocblas_gemm_batched_kernelIdLi16ELi16ELi32ELi32ELi8ELi32ELi8ELi8ELi32ELc78ELc84EKdS1_dEEvlllT_PT11_llS4_llS2_PT12_llPT13_lli.has_recursion, 0
	.set _ZN12_GLOBAL__N_127rocblas_gemm_batched_kernelIdLi16ELi16ELi32ELi32ELi8ELi32ELi8ELi8ELi32ELc78ELc84EKdS1_dEEvlllT_PT11_llS4_llS2_PT12_llPT13_lli.has_indirect_call, 0
	.section	.AMDGPU.csdata,"",@progbits
; Kernel info:
; codeLenInByte = 1304
; TotalNumSgprs: 46
; NumVgprs: 46
; ScratchSize: 0
; MemoryBound: 0
; FloatMode: 240
; IeeeMode: 1
; LDSByteSize: 4096 bytes/workgroup (compile time only)
; SGPRBlocks: 0
; VGPRBlocks: 2
; NumSGPRsForWavesPerEU: 46
; NumVGPRsForWavesPerEU: 46
; NamedBarCnt: 0
; Occupancy: 16
; WaveLimiterHint : 1
; COMPUTE_PGM_RSRC2:SCRATCH_EN: 0
; COMPUTE_PGM_RSRC2:USER_SGPR: 2
; COMPUTE_PGM_RSRC2:TRAP_HANDLER: 0
; COMPUTE_PGM_RSRC2:TGID_X_EN: 1
; COMPUTE_PGM_RSRC2:TGID_Y_EN: 1
; COMPUTE_PGM_RSRC2:TGID_Z_EN: 1
; COMPUTE_PGM_RSRC2:TIDIG_COMP_CNT: 1
	.section	.text._ZN12_GLOBAL__N_127rocblas_gemm_batched_kernelIdLi16ELi16ELi32ELi32ELi8ELi32ELi8ELi8ELi32ELc84ELc84EKdS1_dEEvlllT_PT11_llS4_llS2_PT12_llPT13_lli,"axG",@progbits,_ZN12_GLOBAL__N_127rocblas_gemm_batched_kernelIdLi16ELi16ELi32ELi32ELi8ELi32ELi8ELi8ELi32ELc84ELc84EKdS1_dEEvlllT_PT11_llS4_llS2_PT12_llPT13_lli,comdat
	.globl	_ZN12_GLOBAL__N_127rocblas_gemm_batched_kernelIdLi16ELi16ELi32ELi32ELi8ELi32ELi8ELi8ELi32ELc84ELc84EKdS1_dEEvlllT_PT11_llS4_llS2_PT12_llPT13_lli ; -- Begin function _ZN12_GLOBAL__N_127rocblas_gemm_batched_kernelIdLi16ELi16ELi32ELi32ELi8ELi32ELi8ELi8ELi32ELc84ELc84EKdS1_dEEvlllT_PT11_llS4_llS2_PT12_llPT13_lli
	.p2align	8
	.type	_ZN12_GLOBAL__N_127rocblas_gemm_batched_kernelIdLi16ELi16ELi32ELi32ELi8ELi32ELi8ELi8ELi32ELc84ELc84EKdS1_dEEvlllT_PT11_llS4_llS2_PT12_llPT13_lli,@function
_ZN12_GLOBAL__N_127rocblas_gemm_batched_kernelIdLi16ELi16ELi32ELi32ELi8ELi32ELi8ELi8ELi32ELc84ELc84EKdS1_dEEvlllT_PT11_llS4_llS2_PT12_llPT13_lli: ; @_ZN12_GLOBAL__N_127rocblas_gemm_batched_kernelIdLi16ELi16ELi32ELi32ELi8ELi32ELi8ELi8ELi32ELc84ELc84EKdS1_dEEvlllT_PT11_llS4_llS2_PT12_llPT13_lli
; %bb.0:
	s_load_b32 s28, s[0:1], 0x88
	s_bfe_u32 s2, ttmp6, 0x40014
	s_lshr_b32 s3, ttmp7, 16
	s_add_co_i32 s2, s2, 1
	s_bfe_u32 s4, ttmp6, 0x40008
	s_mul_i32 s2, s3, s2
	s_getreg_b32 s29, hwreg(HW_REG_IB_STS2, 6, 4)
	s_add_co_i32 s4, s4, s2
	s_cmp_eq_u32 s29, 0
	s_cselect_b32 s2, s3, s4
	s_mov_b32 s3, 0
	s_wait_kmcnt 0x0
	s_cmp_ge_i32 s2, s28
	s_cbranch_scc1 .LBB291_11
; %bb.1:
	s_clause 0x2
	s_load_b512 s[4:19], s[0:1], 0x10
	s_load_b256 s[20:27], s[0:1], 0x70
	s_load_b256 s[36:43], s[0:1], 0x50
	v_bfe_u32 v2, v0, 10, 10
	v_and_b32_e32 v4, 0x3ff, v0
	s_wait_xcnt 0x0
	s_bfe_u32 s0, ttmp6, 0x4000c
	s_wait_kmcnt 0x0
	s_bfe_u32 s26, ttmp6, 0x40010
	s_add_co_i32 s0, s0, 1
	s_and_b32 s27, ttmp7, 0xffff
	s_add_co_i32 s26, s26, 1
	s_and_b32 s1, ttmp6, 15
	s_mul_i32 s0, ttmp9, s0
	s_mul_i32 s26, s27, s26
	s_bfe_u32 s30, ttmp6, 0x40004
	v_lshl_add_u32 v16, v2, 4, v4
	s_add_co_i32 s1, s1, s0
	s_add_co_i32 s30, s30, s26
	s_cmp_eq_u32 s29, 0
	s_delay_alu instid0(VALU_DEP_1)
	v_dual_mov_b32 v3, 0 :: v_dual_bitop2_b32 v17, 31, v16 bitop3:0x40
	s_cselect_b32 s0, ttmp9, s1
	s_cselect_b32 s29, s27, s30
	s_ashr_i32 s1, s0, 31
	s_lshl_b32 s30, s29, 5
	s_lshl_b64 s[26:27], s[0:1], 5
	s_mov_b32 s31, s3
	v_dual_mov_b32 v7, s27 :: v_dual_bitop2_b32 v6, s26, v17 bitop3:0x54
	v_add_nc_u64_e32 v[8:9], s[30:31], v[2:3]
	v_dual_mov_b32 v11, v3 :: v_dual_bitop2_b32 v18, 7, v0 bitop3:0x40
	v_dual_mov_b32 v5, v3 :: v_dual_lshrrev_b32 v10, 3, v16
	s_delay_alu instid0(VALU_DEP_4) | instskip(SKIP_2) | instid1(VALU_DEP_4)
	v_mul_u64_e32 v[6:7], s[10:11], v[6:7]
	v_cmp_eq_f64_e64 s1, s[36:37], 0
	v_mul_u64_e32 v[12:13], s[40:41], v[8:9]
	v_mad_nc_u64_u32 v[14:15], s16, v18, v[10:11]
	v_mul_u64_e32 v[0:1], s[22:23], v[8:9]
	v_dual_lshlrev_b32 v8, 3, v18 :: v_dual_lshlrev_b32 v22, 3, v4
	v_dual_lshrrev_b32 v11, 5, v16 :: v_dual_lshlrev_b32 v16, 3, v17
	v_lshl_add_u32 v23, v2, 6, 0x800
	s_delay_alu instid0(VALU_DEP_3) | instskip(SKIP_1) | instid1(VALU_DEP_4)
	v_lshl_or_b32 v10, v10, 6, v8
	v_cmp_gt_i64_e64 s0, s[4:5], 0
	v_lshlrev_b32_e32 v2, 3, v11
	v_add_nc_u64_e32 v[8:9], s[26:27], v[4:5]
	v_mad_u32 v15, s17, v18, v15
	v_lshl_or_b32 v24, v11, 8, v16
	v_add_nc_u32_e32 v25, 0x800, v10
	s_lshl_b64 s[10:11], s[22:23], 4
	s_lshl_b64 s[22:23], s[40:41], 4
	;; [unrolled: 1-line block ×3, first 2 shown]
	s_delay_alu instid0(VALU_DEP_3) | instskip(SKIP_1) | instid1(VALU_DEP_1)
	v_add_nc_u64_e32 v[10:11], s[30:31], v[14:15]
	v_cndmask_b32_e64 v14, 0, 1, s0
	v_cmp_ne_u32_e64 s0, 1, v14
	v_lshl_add_u64 v[4:5], v[6:7], 3, v[2:3]
	v_lshlrev_b64_e32 v[6:7], 3, v[8:9]
	v_lshl_add_u64 v[2:3], v[12:13], 3, s[38:39]
	v_lshl_add_u64 v[8:9], v[10:11], 3, s[14:15]
	s_lshl_b64 s[14:15], s[16:17], 6
	v_add_nc_u64_e32 v[4:5], s[8:9], v[4:5]
	s_lshl_b64 s[8:9], s[18:19], 3
	s_branch .LBB291_3
.LBB291_2:                              ;   in Loop: Header=BB291_3 Depth=1
	s_add_co_i32 s2, s2, 0x10000
	s_delay_alu instid0(SALU_CYCLE_1)
	s_cmp_lt_i32 s2, s28
	s_cbranch_scc0 .LBB291_11
.LBB291_3:                              ; =>This Loop Header: Depth=1
                                        ;     Child Loop BB291_5 Depth 2
	s_and_b32 vcc_lo, exec_lo, s0
	s_cbranch_vccnz .LBB291_6
; %bb.4:                                ;   in Loop: Header=BB291_3 Depth=1
	v_mad_nc_u64_u32 v[18:19], s8, s2, v[8:9]
	s_wait_xcnt 0x2
	v_mad_nc_u64_u32 v[20:21], s12, s2, v[4:5]
	v_mov_b64_e32 v[10:11], 0
	s_wait_xcnt 0x0
	v_mov_b64_e32 v[12:13], 0
	v_mov_b64_e32 v[14:15], 0
	v_mov_b64_e32 v[16:17], 0
	s_mov_b64 s[16:17], 0
	v_mad_u32 v19, s9, s2, v19
	v_mad_u32 v21, s13, s2, v21
.LBB291_5:                              ;   Parent Loop BB291_3 Depth=1
                                        ; =>  This Inner Loop Header: Depth=2
	global_load_b64 v[26:27], v[20:21], off
	global_load_b64 v[28:29], v[18:19], off
	s_add_nc_u64 s[16:17], s[16:17], 8
	s_wait_xcnt 0x0
	v_add_nc_u64_e32 v[18:19], s[14:15], v[18:19]
	v_cmp_lt_i64_e64 s18, s[16:17], s[4:5]
	v_add_nc_u64_e32 v[20:21], 64, v[20:21]
	s_wait_loadcnt 0x1
	ds_store_b64 v24, v[26:27]
	s_wait_loadcnt 0x0
	ds_store_b64 v25, v[28:29]
	s_wait_dscnt 0x0
	s_barrier_signal -1
	s_barrier_wait -1
	ds_load_b128 v[26:29], v23
	ds_load_2addr_b64 v[30:33], v22 offset1:16
	ds_load_b128 v[34:37], v23 offset:1024
	ds_load_b128 v[38:41], v23 offset:16
	;; [unrolled: 1-line block ×3, first 2 shown]
	s_and_b32 vcc_lo, exec_lo, s18
	s_wait_dscnt 0x3
	v_fmac_f64_e32 v[16:17], v[30:31], v[26:27]
	v_fmac_f64_e32 v[14:15], v[32:33], v[26:27]
	s_wait_dscnt 0x2
	v_fmac_f64_e32 v[12:13], v[30:31], v[34:35]
	v_fmac_f64_e32 v[10:11], v[32:33], v[34:35]
	ds_load_2addr_b64 v[30:33], v22 offset0:32 offset1:48
	s_wait_dscnt 0x0
	v_fmac_f64_e32 v[16:17], v[30:31], v[28:29]
	v_fmac_f64_e32 v[14:15], v[32:33], v[28:29]
	v_fmac_f64_e32 v[12:13], v[30:31], v[36:37]
	v_fmac_f64_e32 v[10:11], v[32:33], v[36:37]
	ds_load_2addr_b64 v[26:29], v22 offset0:64 offset1:80
	s_wait_dscnt 0x0
	v_fmac_f64_e32 v[16:17], v[26:27], v[38:39]
	v_fmac_f64_e32 v[14:15], v[28:29], v[38:39]
	;; [unrolled: 6-line block ×3, first 2 shown]
	v_fmac_f64_e32 v[12:13], v[26:27], v[44:45]
	v_fmac_f64_e32 v[10:11], v[28:29], v[44:45]
	ds_load_b128 v[26:29], v23 offset:32
	ds_load_2addr_b64 v[30:33], v22 offset0:128 offset1:144
	ds_load_b128 v[34:37], v23 offset:1056
	ds_load_b128 v[38:41], v23 offset:48
	;; [unrolled: 1-line block ×3, first 2 shown]
	s_wait_dscnt 0x3
	v_fmac_f64_e32 v[16:17], v[30:31], v[26:27]
	v_fmac_f64_e32 v[14:15], v[32:33], v[26:27]
	s_wait_dscnt 0x2
	v_fmac_f64_e32 v[12:13], v[30:31], v[34:35]
	v_fmac_f64_e32 v[10:11], v[32:33], v[34:35]
	ds_load_2addr_b64 v[30:33], v22 offset0:160 offset1:176
	s_wait_dscnt 0x0
	v_fmac_f64_e32 v[16:17], v[30:31], v[28:29]
	v_fmac_f64_e32 v[14:15], v[32:33], v[28:29]
	;; [unrolled: 1-line block ×4, first 2 shown]
	ds_load_2addr_b64 v[26:29], v22 offset0:192 offset1:208
	s_wait_dscnt 0x0
	v_fmac_f64_e32 v[16:17], v[26:27], v[38:39]
	v_fmac_f64_e32 v[14:15], v[28:29], v[38:39]
	;; [unrolled: 1-line block ×4, first 2 shown]
	ds_load_2addr_b64 v[26:29], v22 offset0:224 offset1:240
	s_wait_dscnt 0x0
	s_barrier_signal -1
	s_barrier_wait -1
	v_fmac_f64_e32 v[16:17], v[26:27], v[40:41]
	v_fmac_f64_e32 v[14:15], v[28:29], v[40:41]
	;; [unrolled: 1-line block ×4, first 2 shown]
	s_cbranch_vccnz .LBB291_5
	s_branch .LBB291_7
.LBB291_6:                              ;   in Loop: Header=BB291_3 Depth=1
	v_mov_b64_e32 v[16:17], 0
	s_wait_xcnt 0x0
	v_mov_b64_e32 v[14:15], 0
	v_mov_b64_e32 v[12:13], 0
	;; [unrolled: 1-line block ×3, first 2 shown]
.LBB291_7:                              ;   in Loop: Header=BB291_3 Depth=1
	s_mul_u64 s[16:17], s[24:25], s[2:3]
	s_and_not1_b32 vcc_lo, exec_lo, s1
	s_lshl_b64 s[16:17], s[16:17], 3
	s_delay_alu instid0(SALU_CYCLE_1) | instskip(NEXT) | instid1(SALU_CYCLE_1)
	s_add_nc_u64 s[16:17], s[20:21], s[16:17]
	v_lshl_add_u64 v[18:19], v[0:1], 3, s[16:17]
	s_delay_alu instid0(VALU_DEP_1)
	v_add_nc_u64_e32 v[20:21], v[18:19], v[6:7]
	v_lshl_add_u64 v[18:19], s[10:11], 3, v[18:19]
	s_cbranch_vccnz .LBB291_9
; %bb.8:                                ;   in Loop: Header=BB291_3 Depth=1
	v_mul_f64_e32 v[26:27], s[6:7], v[16:17]
	v_mul_f64_e32 v[28:29], s[6:7], v[14:15]
	v_mul_f64_e32 v[30:31], s[6:7], v[12:13]
	v_mul_f64_e32 v[32:33], s[6:7], v[10:11]
	v_add_nc_u64_e32 v[34:35], v[18:19], v[6:7]
	s_clause 0x3
	global_store_b64 v[20:21], v[26:27], off
	global_store_b64 v[20:21], v[28:29], off offset:128
	global_store_b64 v[34:35], v[30:31], off
	global_store_b64 v[34:35], v[32:33], off offset:128
	s_cbranch_execnz .LBB291_2
	s_branch .LBB291_10
.LBB291_9:                              ;   in Loop: Header=BB291_3 Depth=1
.LBB291_10:                             ;   in Loop: Header=BB291_3 Depth=1
	s_mul_u64 s[16:17], s[42:43], s[2:3]
	s_wait_xcnt 0x3
	v_lshl_add_u64 v[26:27], s[16:17], 3, v[2:3]
	s_wait_xcnt 0x2
	s_delay_alu instid0(VALU_DEP_1) | instskip(SKIP_3) | instid1(VALU_DEP_1)
	v_add_nc_u64_e32 v[28:29], v[26:27], v[6:7]
	global_load_b64 v[30:31], v[28:29], off
	s_wait_loadcnt 0x0
	v_mul_f64_e32 v[30:31], s[36:37], v[30:31]
	v_fmac_f64_e32 v[30:31], s[6:7], v[16:17]
	global_store_b64 v[20:21], v[30:31], off
	global_load_b64 v[16:17], v[28:29], off offset:128
	s_wait_loadcnt 0x0
	v_mul_f64_e32 v[16:17], s[36:37], v[16:17]
	s_delay_alu instid0(VALU_DEP_1) | instskip(SKIP_1) | instid1(VALU_DEP_1)
	v_fmac_f64_e32 v[16:17], s[6:7], v[14:15]
	v_lshl_add_u64 v[14:15], s[22:23], 3, v[26:27]
	v_add_nc_u64_e32 v[14:15], v[14:15], v[6:7]
	global_store_b64 v[20:21], v[16:17], off offset:128
	global_load_b64 v[16:17], v[14:15], off
	s_wait_loadcnt 0x0
	v_mul_f64_e32 v[16:17], s[36:37], v[16:17]
	s_delay_alu instid0(VALU_DEP_1)
	v_fmac_f64_e32 v[16:17], s[6:7], v[12:13]
	v_add_nc_u64_e32 v[12:13], v[18:19], v[6:7]
	global_store_b64 v[12:13], v[16:17], off
	global_load_b64 v[14:15], v[14:15], off offset:128
	s_wait_loadcnt 0x0
	v_mul_f64_e32 v[14:15], s[36:37], v[14:15]
	s_delay_alu instid0(VALU_DEP_1)
	v_fmac_f64_e32 v[14:15], s[6:7], v[10:11]
	global_store_b64 v[12:13], v[14:15], off offset:128
	s_branch .LBB291_2
.LBB291_11:
	s_endpgm
	.section	.rodata,"a",@progbits
	.p2align	6, 0x0
	.amdhsa_kernel _ZN12_GLOBAL__N_127rocblas_gemm_batched_kernelIdLi16ELi16ELi32ELi32ELi8ELi32ELi8ELi8ELi32ELc84ELc84EKdS1_dEEvlllT_PT11_llS4_llS2_PT12_llPT13_lli
		.amdhsa_group_segment_fixed_size 4096
		.amdhsa_private_segment_fixed_size 0
		.amdhsa_kernarg_size 140
		.amdhsa_user_sgpr_count 2
		.amdhsa_user_sgpr_dispatch_ptr 0
		.amdhsa_user_sgpr_queue_ptr 0
		.amdhsa_user_sgpr_kernarg_segment_ptr 1
		.amdhsa_user_sgpr_dispatch_id 0
		.amdhsa_user_sgpr_kernarg_preload_length 0
		.amdhsa_user_sgpr_kernarg_preload_offset 0
		.amdhsa_user_sgpr_private_segment_size 0
		.amdhsa_wavefront_size32 1
		.amdhsa_uses_dynamic_stack 0
		.amdhsa_enable_private_segment 0
		.amdhsa_system_sgpr_workgroup_id_x 1
		.amdhsa_system_sgpr_workgroup_id_y 1
		.amdhsa_system_sgpr_workgroup_id_z 1
		.amdhsa_system_sgpr_workgroup_info 0
		.amdhsa_system_vgpr_workitem_id 1
		.amdhsa_next_free_vgpr 46
		.amdhsa_next_free_sgpr 44
		.amdhsa_named_barrier_count 0
		.amdhsa_reserve_vcc 1
		.amdhsa_float_round_mode_32 0
		.amdhsa_float_round_mode_16_64 0
		.amdhsa_float_denorm_mode_32 3
		.amdhsa_float_denorm_mode_16_64 3
		.amdhsa_fp16_overflow 0
		.amdhsa_memory_ordered 1
		.amdhsa_forward_progress 1
		.amdhsa_inst_pref_size 11
		.amdhsa_round_robin_scheduling 0
		.amdhsa_exception_fp_ieee_invalid_op 0
		.amdhsa_exception_fp_denorm_src 0
		.amdhsa_exception_fp_ieee_div_zero 0
		.amdhsa_exception_fp_ieee_overflow 0
		.amdhsa_exception_fp_ieee_underflow 0
		.amdhsa_exception_fp_ieee_inexact 0
		.amdhsa_exception_int_div_zero 0
	.end_amdhsa_kernel
	.section	.text._ZN12_GLOBAL__N_127rocblas_gemm_batched_kernelIdLi16ELi16ELi32ELi32ELi8ELi32ELi8ELi8ELi32ELc84ELc84EKdS1_dEEvlllT_PT11_llS4_llS2_PT12_llPT13_lli,"axG",@progbits,_ZN12_GLOBAL__N_127rocblas_gemm_batched_kernelIdLi16ELi16ELi32ELi32ELi8ELi32ELi8ELi8ELi32ELc84ELc84EKdS1_dEEvlllT_PT11_llS4_llS2_PT12_llPT13_lli,comdat
.Lfunc_end291:
	.size	_ZN12_GLOBAL__N_127rocblas_gemm_batched_kernelIdLi16ELi16ELi32ELi32ELi8ELi32ELi8ELi8ELi32ELc84ELc84EKdS1_dEEvlllT_PT11_llS4_llS2_PT12_llPT13_lli, .Lfunc_end291-_ZN12_GLOBAL__N_127rocblas_gemm_batched_kernelIdLi16ELi16ELi32ELi32ELi8ELi32ELi8ELi8ELi32ELc84ELc84EKdS1_dEEvlllT_PT11_llS4_llS2_PT12_llPT13_lli
                                        ; -- End function
	.set _ZN12_GLOBAL__N_127rocblas_gemm_batched_kernelIdLi16ELi16ELi32ELi32ELi8ELi32ELi8ELi8ELi32ELc84ELc84EKdS1_dEEvlllT_PT11_llS4_llS2_PT12_llPT13_lli.num_vgpr, 46
	.set _ZN12_GLOBAL__N_127rocblas_gemm_batched_kernelIdLi16ELi16ELi32ELi32ELi8ELi32ELi8ELi8ELi32ELc84ELc84EKdS1_dEEvlllT_PT11_llS4_llS2_PT12_llPT13_lli.num_agpr, 0
	.set _ZN12_GLOBAL__N_127rocblas_gemm_batched_kernelIdLi16ELi16ELi32ELi32ELi8ELi32ELi8ELi8ELi32ELc84ELc84EKdS1_dEEvlllT_PT11_llS4_llS2_PT12_llPT13_lli.numbered_sgpr, 44
	.set _ZN12_GLOBAL__N_127rocblas_gemm_batched_kernelIdLi16ELi16ELi32ELi32ELi8ELi32ELi8ELi8ELi32ELc84ELc84EKdS1_dEEvlllT_PT11_llS4_llS2_PT12_llPT13_lli.num_named_barrier, 0
	.set _ZN12_GLOBAL__N_127rocblas_gemm_batched_kernelIdLi16ELi16ELi32ELi32ELi8ELi32ELi8ELi8ELi32ELc84ELc84EKdS1_dEEvlllT_PT11_llS4_llS2_PT12_llPT13_lli.private_seg_size, 0
	.set _ZN12_GLOBAL__N_127rocblas_gemm_batched_kernelIdLi16ELi16ELi32ELi32ELi8ELi32ELi8ELi8ELi32ELc84ELc84EKdS1_dEEvlllT_PT11_llS4_llS2_PT12_llPT13_lli.uses_vcc, 1
	.set _ZN12_GLOBAL__N_127rocblas_gemm_batched_kernelIdLi16ELi16ELi32ELi32ELi8ELi32ELi8ELi8ELi32ELc84ELc84EKdS1_dEEvlllT_PT11_llS4_llS2_PT12_llPT13_lli.uses_flat_scratch, 0
	.set _ZN12_GLOBAL__N_127rocblas_gemm_batched_kernelIdLi16ELi16ELi32ELi32ELi8ELi32ELi8ELi8ELi32ELc84ELc84EKdS1_dEEvlllT_PT11_llS4_llS2_PT12_llPT13_lli.has_dyn_sized_stack, 0
	.set _ZN12_GLOBAL__N_127rocblas_gemm_batched_kernelIdLi16ELi16ELi32ELi32ELi8ELi32ELi8ELi8ELi32ELc84ELc84EKdS1_dEEvlllT_PT11_llS4_llS2_PT12_llPT13_lli.has_recursion, 0
	.set _ZN12_GLOBAL__N_127rocblas_gemm_batched_kernelIdLi16ELi16ELi32ELi32ELi8ELi32ELi8ELi8ELi32ELc84ELc84EKdS1_dEEvlllT_PT11_llS4_llS2_PT12_llPT13_lli.has_indirect_call, 0
	.section	.AMDGPU.csdata,"",@progbits
; Kernel info:
; codeLenInByte = 1312
; TotalNumSgprs: 46
; NumVgprs: 46
; ScratchSize: 0
; MemoryBound: 0
; FloatMode: 240
; IeeeMode: 1
; LDSByteSize: 4096 bytes/workgroup (compile time only)
; SGPRBlocks: 0
; VGPRBlocks: 2
; NumSGPRsForWavesPerEU: 46
; NumVGPRsForWavesPerEU: 46
; NamedBarCnt: 0
; Occupancy: 16
; WaveLimiterHint : 1
; COMPUTE_PGM_RSRC2:SCRATCH_EN: 0
; COMPUTE_PGM_RSRC2:USER_SGPR: 2
; COMPUTE_PGM_RSRC2:TRAP_HANDLER: 0
; COMPUTE_PGM_RSRC2:TGID_X_EN: 1
; COMPUTE_PGM_RSRC2:TGID_Y_EN: 1
; COMPUTE_PGM_RSRC2:TGID_Z_EN: 1
; COMPUTE_PGM_RSRC2:TIDIG_COMP_CNT: 1
	.section	.text._ZN12_GLOBAL__N_127rocblas_gemm_batched_kernelIdLi16ELi16ELi32ELi32ELi8ELi32ELi8ELi8ELi32ELc67ELc67EKdS1_dEEvlllT_PT11_llS4_llS2_PT12_llPT13_lli,"axG",@progbits,_ZN12_GLOBAL__N_127rocblas_gemm_batched_kernelIdLi16ELi16ELi32ELi32ELi8ELi32ELi8ELi8ELi32ELc67ELc67EKdS1_dEEvlllT_PT11_llS4_llS2_PT12_llPT13_lli,comdat
	.globl	_ZN12_GLOBAL__N_127rocblas_gemm_batched_kernelIdLi16ELi16ELi32ELi32ELi8ELi32ELi8ELi8ELi32ELc67ELc67EKdS1_dEEvlllT_PT11_llS4_llS2_PT12_llPT13_lli ; -- Begin function _ZN12_GLOBAL__N_127rocblas_gemm_batched_kernelIdLi16ELi16ELi32ELi32ELi8ELi32ELi8ELi8ELi32ELc67ELc67EKdS1_dEEvlllT_PT11_llS4_llS2_PT12_llPT13_lli
	.p2align	8
	.type	_ZN12_GLOBAL__N_127rocblas_gemm_batched_kernelIdLi16ELi16ELi32ELi32ELi8ELi32ELi8ELi8ELi32ELc67ELc67EKdS1_dEEvlllT_PT11_llS4_llS2_PT12_llPT13_lli,@function
_ZN12_GLOBAL__N_127rocblas_gemm_batched_kernelIdLi16ELi16ELi32ELi32ELi8ELi32ELi8ELi8ELi32ELc67ELc67EKdS1_dEEvlllT_PT11_llS4_llS2_PT12_llPT13_lli: ; @_ZN12_GLOBAL__N_127rocblas_gemm_batched_kernelIdLi16ELi16ELi32ELi32ELi8ELi32ELi8ELi8ELi32ELc67ELc67EKdS1_dEEvlllT_PT11_llS4_llS2_PT12_llPT13_lli
; %bb.0:
	s_load_b32 s28, s[0:1], 0x88
	s_bfe_u32 s2, ttmp6, 0x40014
	s_lshr_b32 s3, ttmp7, 16
	s_add_co_i32 s2, s2, 1
	s_bfe_u32 s4, ttmp6, 0x40008
	s_mul_i32 s2, s3, s2
	s_getreg_b32 s29, hwreg(HW_REG_IB_STS2, 6, 4)
	s_add_co_i32 s4, s4, s2
	s_cmp_eq_u32 s29, 0
	s_cselect_b32 s2, s3, s4
	s_mov_b32 s3, 0
	s_wait_kmcnt 0x0
	s_cmp_ge_i32 s2, s28
	s_cbranch_scc1 .LBB292_11
; %bb.1:
	s_clause 0x2
	s_load_b512 s[4:19], s[0:1], 0x10
	s_load_b256 s[20:27], s[0:1], 0x70
	s_load_b256 s[36:43], s[0:1], 0x50
	v_bfe_u32 v2, v0, 10, 10
	v_and_b32_e32 v4, 0x3ff, v0
	s_wait_xcnt 0x0
	s_bfe_u32 s0, ttmp6, 0x4000c
	s_wait_kmcnt 0x0
	s_bfe_u32 s26, ttmp6, 0x40010
	s_add_co_i32 s0, s0, 1
	s_and_b32 s27, ttmp7, 0xffff
	s_add_co_i32 s26, s26, 1
	s_and_b32 s1, ttmp6, 15
	s_mul_i32 s0, ttmp9, s0
	s_mul_i32 s26, s27, s26
	s_bfe_u32 s30, ttmp6, 0x40004
	v_lshl_add_u32 v16, v2, 4, v4
	s_add_co_i32 s1, s1, s0
	s_add_co_i32 s30, s30, s26
	s_cmp_eq_u32 s29, 0
	s_delay_alu instid0(VALU_DEP_1)
	v_dual_mov_b32 v3, 0 :: v_dual_bitop2_b32 v17, 31, v16 bitop3:0x40
	s_cselect_b32 s0, ttmp9, s1
	s_cselect_b32 s29, s27, s30
	s_ashr_i32 s1, s0, 31
	s_lshl_b32 s30, s29, 5
	s_lshl_b64 s[26:27], s[0:1], 5
	s_mov_b32 s31, s3
	v_dual_mov_b32 v7, s27 :: v_dual_bitop2_b32 v6, s26, v17 bitop3:0x54
	v_add_nc_u64_e32 v[8:9], s[30:31], v[2:3]
	v_dual_mov_b32 v11, v3 :: v_dual_bitop2_b32 v18, 7, v0 bitop3:0x40
	v_dual_mov_b32 v5, v3 :: v_dual_lshrrev_b32 v10, 3, v16
	s_delay_alu instid0(VALU_DEP_4) | instskip(SKIP_2) | instid1(VALU_DEP_4)
	v_mul_u64_e32 v[6:7], s[10:11], v[6:7]
	v_cmp_eq_f64_e64 s1, s[36:37], 0
	v_mul_u64_e32 v[12:13], s[40:41], v[8:9]
	v_mad_nc_u64_u32 v[14:15], s16, v18, v[10:11]
	v_mul_u64_e32 v[0:1], s[22:23], v[8:9]
	v_dual_lshlrev_b32 v8, 3, v18 :: v_dual_lshlrev_b32 v22, 3, v4
	v_dual_lshrrev_b32 v11, 5, v16 :: v_dual_lshlrev_b32 v16, 3, v17
	v_lshl_add_u32 v23, v2, 6, 0x800
	s_delay_alu instid0(VALU_DEP_3) | instskip(SKIP_1) | instid1(VALU_DEP_4)
	v_lshl_or_b32 v10, v10, 6, v8
	v_cmp_gt_i64_e64 s0, s[4:5], 0
	v_lshlrev_b32_e32 v2, 3, v11
	v_add_nc_u64_e32 v[8:9], s[26:27], v[4:5]
	v_mad_u32 v15, s17, v18, v15
	v_lshl_or_b32 v24, v11, 8, v16
	v_add_nc_u32_e32 v25, 0x800, v10
	s_lshl_b64 s[10:11], s[22:23], 4
	s_lshl_b64 s[22:23], s[40:41], 4
	;; [unrolled: 1-line block ×3, first 2 shown]
	s_delay_alu instid0(VALU_DEP_3) | instskip(SKIP_1) | instid1(VALU_DEP_1)
	v_add_nc_u64_e32 v[10:11], s[30:31], v[14:15]
	v_cndmask_b32_e64 v14, 0, 1, s0
	v_cmp_ne_u32_e64 s0, 1, v14
	v_lshl_add_u64 v[4:5], v[6:7], 3, v[2:3]
	v_lshlrev_b64_e32 v[6:7], 3, v[8:9]
	v_lshl_add_u64 v[2:3], v[12:13], 3, s[38:39]
	v_lshl_add_u64 v[8:9], v[10:11], 3, s[14:15]
	s_lshl_b64 s[14:15], s[16:17], 6
	v_add_nc_u64_e32 v[4:5], s[8:9], v[4:5]
	s_lshl_b64 s[8:9], s[18:19], 3
	s_branch .LBB292_3
.LBB292_2:                              ;   in Loop: Header=BB292_3 Depth=1
	s_add_co_i32 s2, s2, 0x10000
	s_delay_alu instid0(SALU_CYCLE_1)
	s_cmp_lt_i32 s2, s28
	s_cbranch_scc0 .LBB292_11
.LBB292_3:                              ; =>This Loop Header: Depth=1
                                        ;     Child Loop BB292_5 Depth 2
	s_and_b32 vcc_lo, exec_lo, s0
	s_cbranch_vccnz .LBB292_6
; %bb.4:                                ;   in Loop: Header=BB292_3 Depth=1
	v_mad_nc_u64_u32 v[18:19], s8, s2, v[8:9]
	s_wait_xcnt 0x2
	v_mad_nc_u64_u32 v[20:21], s12, s2, v[4:5]
	v_mov_b64_e32 v[10:11], 0
	s_wait_xcnt 0x0
	v_mov_b64_e32 v[12:13], 0
	v_mov_b64_e32 v[14:15], 0
	;; [unrolled: 1-line block ×3, first 2 shown]
	s_mov_b64 s[16:17], 0
	v_mad_u32 v19, s9, s2, v19
	v_mad_u32 v21, s13, s2, v21
.LBB292_5:                              ;   Parent Loop BB292_3 Depth=1
                                        ; =>  This Inner Loop Header: Depth=2
	global_load_b64 v[26:27], v[20:21], off
	global_load_b64 v[28:29], v[18:19], off
	s_add_nc_u64 s[16:17], s[16:17], 8
	s_wait_xcnt 0x0
	v_add_nc_u64_e32 v[18:19], s[14:15], v[18:19]
	v_cmp_lt_i64_e64 s18, s[16:17], s[4:5]
	v_add_nc_u64_e32 v[20:21], 64, v[20:21]
	s_wait_loadcnt 0x1
	ds_store_b64 v24, v[26:27]
	s_wait_loadcnt 0x0
	ds_store_b64 v25, v[28:29]
	s_wait_dscnt 0x0
	s_barrier_signal -1
	s_barrier_wait -1
	ds_load_b128 v[26:29], v23
	ds_load_2addr_b64 v[30:33], v22 offset1:16
	ds_load_b128 v[34:37], v23 offset:1024
	ds_load_b128 v[38:41], v23 offset:16
	;; [unrolled: 1-line block ×3, first 2 shown]
	s_and_b32 vcc_lo, exec_lo, s18
	s_wait_dscnt 0x3
	v_fmac_f64_e32 v[16:17], v[30:31], v[26:27]
	v_fmac_f64_e32 v[14:15], v[32:33], v[26:27]
	s_wait_dscnt 0x2
	v_fmac_f64_e32 v[12:13], v[30:31], v[34:35]
	v_fmac_f64_e32 v[10:11], v[32:33], v[34:35]
	ds_load_2addr_b64 v[30:33], v22 offset0:32 offset1:48
	s_wait_dscnt 0x0
	v_fmac_f64_e32 v[16:17], v[30:31], v[28:29]
	v_fmac_f64_e32 v[14:15], v[32:33], v[28:29]
	v_fmac_f64_e32 v[12:13], v[30:31], v[36:37]
	v_fmac_f64_e32 v[10:11], v[32:33], v[36:37]
	ds_load_2addr_b64 v[26:29], v22 offset0:64 offset1:80
	s_wait_dscnt 0x0
	v_fmac_f64_e32 v[16:17], v[26:27], v[38:39]
	v_fmac_f64_e32 v[14:15], v[28:29], v[38:39]
	;; [unrolled: 6-line block ×3, first 2 shown]
	v_fmac_f64_e32 v[12:13], v[26:27], v[44:45]
	v_fmac_f64_e32 v[10:11], v[28:29], v[44:45]
	ds_load_b128 v[26:29], v23 offset:32
	ds_load_2addr_b64 v[30:33], v22 offset0:128 offset1:144
	ds_load_b128 v[34:37], v23 offset:1056
	ds_load_b128 v[38:41], v23 offset:48
	ds_load_b128 v[42:45], v23 offset:1072
	s_wait_dscnt 0x3
	v_fmac_f64_e32 v[16:17], v[30:31], v[26:27]
	v_fmac_f64_e32 v[14:15], v[32:33], v[26:27]
	s_wait_dscnt 0x2
	v_fmac_f64_e32 v[12:13], v[30:31], v[34:35]
	v_fmac_f64_e32 v[10:11], v[32:33], v[34:35]
	ds_load_2addr_b64 v[30:33], v22 offset0:160 offset1:176
	s_wait_dscnt 0x0
	v_fmac_f64_e32 v[16:17], v[30:31], v[28:29]
	v_fmac_f64_e32 v[14:15], v[32:33], v[28:29]
	;; [unrolled: 1-line block ×4, first 2 shown]
	ds_load_2addr_b64 v[26:29], v22 offset0:192 offset1:208
	s_wait_dscnt 0x0
	v_fmac_f64_e32 v[16:17], v[26:27], v[38:39]
	v_fmac_f64_e32 v[14:15], v[28:29], v[38:39]
	;; [unrolled: 1-line block ×4, first 2 shown]
	ds_load_2addr_b64 v[26:29], v22 offset0:224 offset1:240
	s_wait_dscnt 0x0
	s_barrier_signal -1
	s_barrier_wait -1
	v_fmac_f64_e32 v[16:17], v[26:27], v[40:41]
	v_fmac_f64_e32 v[14:15], v[28:29], v[40:41]
	;; [unrolled: 1-line block ×4, first 2 shown]
	s_cbranch_vccnz .LBB292_5
	s_branch .LBB292_7
.LBB292_6:                              ;   in Loop: Header=BB292_3 Depth=1
	v_mov_b64_e32 v[16:17], 0
	s_wait_xcnt 0x0
	v_mov_b64_e32 v[14:15], 0
	v_mov_b64_e32 v[12:13], 0
	;; [unrolled: 1-line block ×3, first 2 shown]
.LBB292_7:                              ;   in Loop: Header=BB292_3 Depth=1
	s_mul_u64 s[16:17], s[24:25], s[2:3]
	s_and_not1_b32 vcc_lo, exec_lo, s1
	s_lshl_b64 s[16:17], s[16:17], 3
	s_delay_alu instid0(SALU_CYCLE_1) | instskip(NEXT) | instid1(SALU_CYCLE_1)
	s_add_nc_u64 s[16:17], s[20:21], s[16:17]
	v_lshl_add_u64 v[18:19], v[0:1], 3, s[16:17]
	s_delay_alu instid0(VALU_DEP_1)
	v_add_nc_u64_e32 v[20:21], v[18:19], v[6:7]
	v_lshl_add_u64 v[18:19], s[10:11], 3, v[18:19]
	s_cbranch_vccnz .LBB292_9
; %bb.8:                                ;   in Loop: Header=BB292_3 Depth=1
	v_mul_f64_e32 v[26:27], s[6:7], v[16:17]
	v_mul_f64_e32 v[28:29], s[6:7], v[14:15]
	;; [unrolled: 1-line block ×4, first 2 shown]
	v_add_nc_u64_e32 v[34:35], v[18:19], v[6:7]
	s_clause 0x3
	global_store_b64 v[20:21], v[26:27], off
	global_store_b64 v[20:21], v[28:29], off offset:128
	global_store_b64 v[34:35], v[30:31], off
	global_store_b64 v[34:35], v[32:33], off offset:128
	s_cbranch_execnz .LBB292_2
	s_branch .LBB292_10
.LBB292_9:                              ;   in Loop: Header=BB292_3 Depth=1
.LBB292_10:                             ;   in Loop: Header=BB292_3 Depth=1
	s_mul_u64 s[16:17], s[42:43], s[2:3]
	s_wait_xcnt 0x3
	v_lshl_add_u64 v[26:27], s[16:17], 3, v[2:3]
	s_wait_xcnt 0x2
	s_delay_alu instid0(VALU_DEP_1) | instskip(SKIP_3) | instid1(VALU_DEP_1)
	v_add_nc_u64_e32 v[28:29], v[26:27], v[6:7]
	global_load_b64 v[30:31], v[28:29], off
	s_wait_loadcnt 0x0
	v_mul_f64_e32 v[30:31], s[36:37], v[30:31]
	v_fmac_f64_e32 v[30:31], s[6:7], v[16:17]
	global_store_b64 v[20:21], v[30:31], off
	global_load_b64 v[16:17], v[28:29], off offset:128
	s_wait_loadcnt 0x0
	v_mul_f64_e32 v[16:17], s[36:37], v[16:17]
	s_delay_alu instid0(VALU_DEP_1) | instskip(SKIP_1) | instid1(VALU_DEP_1)
	v_fmac_f64_e32 v[16:17], s[6:7], v[14:15]
	v_lshl_add_u64 v[14:15], s[22:23], 3, v[26:27]
	v_add_nc_u64_e32 v[14:15], v[14:15], v[6:7]
	global_store_b64 v[20:21], v[16:17], off offset:128
	global_load_b64 v[16:17], v[14:15], off
	s_wait_loadcnt 0x0
	v_mul_f64_e32 v[16:17], s[36:37], v[16:17]
	s_delay_alu instid0(VALU_DEP_1)
	v_fmac_f64_e32 v[16:17], s[6:7], v[12:13]
	v_add_nc_u64_e32 v[12:13], v[18:19], v[6:7]
	global_store_b64 v[12:13], v[16:17], off
	global_load_b64 v[14:15], v[14:15], off offset:128
	s_wait_loadcnt 0x0
	v_mul_f64_e32 v[14:15], s[36:37], v[14:15]
	s_delay_alu instid0(VALU_DEP_1)
	v_fmac_f64_e32 v[14:15], s[6:7], v[10:11]
	global_store_b64 v[12:13], v[14:15], off offset:128
	s_branch .LBB292_2
.LBB292_11:
	s_endpgm
	.section	.rodata,"a",@progbits
	.p2align	6, 0x0
	.amdhsa_kernel _ZN12_GLOBAL__N_127rocblas_gemm_batched_kernelIdLi16ELi16ELi32ELi32ELi8ELi32ELi8ELi8ELi32ELc67ELc67EKdS1_dEEvlllT_PT11_llS4_llS2_PT12_llPT13_lli
		.amdhsa_group_segment_fixed_size 4096
		.amdhsa_private_segment_fixed_size 0
		.amdhsa_kernarg_size 140
		.amdhsa_user_sgpr_count 2
		.amdhsa_user_sgpr_dispatch_ptr 0
		.amdhsa_user_sgpr_queue_ptr 0
		.amdhsa_user_sgpr_kernarg_segment_ptr 1
		.amdhsa_user_sgpr_dispatch_id 0
		.amdhsa_user_sgpr_kernarg_preload_length 0
		.amdhsa_user_sgpr_kernarg_preload_offset 0
		.amdhsa_user_sgpr_private_segment_size 0
		.amdhsa_wavefront_size32 1
		.amdhsa_uses_dynamic_stack 0
		.amdhsa_enable_private_segment 0
		.amdhsa_system_sgpr_workgroup_id_x 1
		.amdhsa_system_sgpr_workgroup_id_y 1
		.amdhsa_system_sgpr_workgroup_id_z 1
		.amdhsa_system_sgpr_workgroup_info 0
		.amdhsa_system_vgpr_workitem_id 1
		.amdhsa_next_free_vgpr 46
		.amdhsa_next_free_sgpr 44
		.amdhsa_named_barrier_count 0
		.amdhsa_reserve_vcc 1
		.amdhsa_float_round_mode_32 0
		.amdhsa_float_round_mode_16_64 0
		.amdhsa_float_denorm_mode_32 3
		.amdhsa_float_denorm_mode_16_64 3
		.amdhsa_fp16_overflow 0
		.amdhsa_memory_ordered 1
		.amdhsa_forward_progress 1
		.amdhsa_inst_pref_size 11
		.amdhsa_round_robin_scheduling 0
		.amdhsa_exception_fp_ieee_invalid_op 0
		.amdhsa_exception_fp_denorm_src 0
		.amdhsa_exception_fp_ieee_div_zero 0
		.amdhsa_exception_fp_ieee_overflow 0
		.amdhsa_exception_fp_ieee_underflow 0
		.amdhsa_exception_fp_ieee_inexact 0
		.amdhsa_exception_int_div_zero 0
	.end_amdhsa_kernel
	.section	.text._ZN12_GLOBAL__N_127rocblas_gemm_batched_kernelIdLi16ELi16ELi32ELi32ELi8ELi32ELi8ELi8ELi32ELc67ELc67EKdS1_dEEvlllT_PT11_llS4_llS2_PT12_llPT13_lli,"axG",@progbits,_ZN12_GLOBAL__N_127rocblas_gemm_batched_kernelIdLi16ELi16ELi32ELi32ELi8ELi32ELi8ELi8ELi32ELc67ELc67EKdS1_dEEvlllT_PT11_llS4_llS2_PT12_llPT13_lli,comdat
.Lfunc_end292:
	.size	_ZN12_GLOBAL__N_127rocblas_gemm_batched_kernelIdLi16ELi16ELi32ELi32ELi8ELi32ELi8ELi8ELi32ELc67ELc67EKdS1_dEEvlllT_PT11_llS4_llS2_PT12_llPT13_lli, .Lfunc_end292-_ZN12_GLOBAL__N_127rocblas_gemm_batched_kernelIdLi16ELi16ELi32ELi32ELi8ELi32ELi8ELi8ELi32ELc67ELc67EKdS1_dEEvlllT_PT11_llS4_llS2_PT12_llPT13_lli
                                        ; -- End function
	.set _ZN12_GLOBAL__N_127rocblas_gemm_batched_kernelIdLi16ELi16ELi32ELi32ELi8ELi32ELi8ELi8ELi32ELc67ELc67EKdS1_dEEvlllT_PT11_llS4_llS2_PT12_llPT13_lli.num_vgpr, 46
	.set _ZN12_GLOBAL__N_127rocblas_gemm_batched_kernelIdLi16ELi16ELi32ELi32ELi8ELi32ELi8ELi8ELi32ELc67ELc67EKdS1_dEEvlllT_PT11_llS4_llS2_PT12_llPT13_lli.num_agpr, 0
	.set _ZN12_GLOBAL__N_127rocblas_gemm_batched_kernelIdLi16ELi16ELi32ELi32ELi8ELi32ELi8ELi8ELi32ELc67ELc67EKdS1_dEEvlllT_PT11_llS4_llS2_PT12_llPT13_lli.numbered_sgpr, 44
	.set _ZN12_GLOBAL__N_127rocblas_gemm_batched_kernelIdLi16ELi16ELi32ELi32ELi8ELi32ELi8ELi8ELi32ELc67ELc67EKdS1_dEEvlllT_PT11_llS4_llS2_PT12_llPT13_lli.num_named_barrier, 0
	.set _ZN12_GLOBAL__N_127rocblas_gemm_batched_kernelIdLi16ELi16ELi32ELi32ELi8ELi32ELi8ELi8ELi32ELc67ELc67EKdS1_dEEvlllT_PT11_llS4_llS2_PT12_llPT13_lli.private_seg_size, 0
	.set _ZN12_GLOBAL__N_127rocblas_gemm_batched_kernelIdLi16ELi16ELi32ELi32ELi8ELi32ELi8ELi8ELi32ELc67ELc67EKdS1_dEEvlllT_PT11_llS4_llS2_PT12_llPT13_lli.uses_vcc, 1
	.set _ZN12_GLOBAL__N_127rocblas_gemm_batched_kernelIdLi16ELi16ELi32ELi32ELi8ELi32ELi8ELi8ELi32ELc67ELc67EKdS1_dEEvlllT_PT11_llS4_llS2_PT12_llPT13_lli.uses_flat_scratch, 0
	.set _ZN12_GLOBAL__N_127rocblas_gemm_batched_kernelIdLi16ELi16ELi32ELi32ELi8ELi32ELi8ELi8ELi32ELc67ELc67EKdS1_dEEvlllT_PT11_llS4_llS2_PT12_llPT13_lli.has_dyn_sized_stack, 0
	.set _ZN12_GLOBAL__N_127rocblas_gemm_batched_kernelIdLi16ELi16ELi32ELi32ELi8ELi32ELi8ELi8ELi32ELc67ELc67EKdS1_dEEvlllT_PT11_llS4_llS2_PT12_llPT13_lli.has_recursion, 0
	.set _ZN12_GLOBAL__N_127rocblas_gemm_batched_kernelIdLi16ELi16ELi32ELi32ELi8ELi32ELi8ELi8ELi32ELc67ELc67EKdS1_dEEvlllT_PT11_llS4_llS2_PT12_llPT13_lli.has_indirect_call, 0
	.section	.AMDGPU.csdata,"",@progbits
; Kernel info:
; codeLenInByte = 1312
; TotalNumSgprs: 46
; NumVgprs: 46
; ScratchSize: 0
; MemoryBound: 0
; FloatMode: 240
; IeeeMode: 1
; LDSByteSize: 4096 bytes/workgroup (compile time only)
; SGPRBlocks: 0
; VGPRBlocks: 2
; NumSGPRsForWavesPerEU: 46
; NumVGPRsForWavesPerEU: 46
; NamedBarCnt: 0
; Occupancy: 16
; WaveLimiterHint : 1
; COMPUTE_PGM_RSRC2:SCRATCH_EN: 0
; COMPUTE_PGM_RSRC2:USER_SGPR: 2
; COMPUTE_PGM_RSRC2:TRAP_HANDLER: 0
; COMPUTE_PGM_RSRC2:TGID_X_EN: 1
; COMPUTE_PGM_RSRC2:TGID_Y_EN: 1
; COMPUTE_PGM_RSRC2:TGID_Z_EN: 1
; COMPUTE_PGM_RSRC2:TIDIG_COMP_CNT: 1
	.section	.text._ZN12_GLOBAL__N_127rocblas_gemm_batched_kernelIdLi16ELi16ELi32ELi32ELi8ELi32ELi8ELi8ELi32ELc67ELc78EKdS1_dEEvlllT_PT11_llS4_llS2_PT12_llPT13_lli,"axG",@progbits,_ZN12_GLOBAL__N_127rocblas_gemm_batched_kernelIdLi16ELi16ELi32ELi32ELi8ELi32ELi8ELi8ELi32ELc67ELc78EKdS1_dEEvlllT_PT11_llS4_llS2_PT12_llPT13_lli,comdat
	.globl	_ZN12_GLOBAL__N_127rocblas_gemm_batched_kernelIdLi16ELi16ELi32ELi32ELi8ELi32ELi8ELi8ELi32ELc67ELc78EKdS1_dEEvlllT_PT11_llS4_llS2_PT12_llPT13_lli ; -- Begin function _ZN12_GLOBAL__N_127rocblas_gemm_batched_kernelIdLi16ELi16ELi32ELi32ELi8ELi32ELi8ELi8ELi32ELc67ELc78EKdS1_dEEvlllT_PT11_llS4_llS2_PT12_llPT13_lli
	.p2align	8
	.type	_ZN12_GLOBAL__N_127rocblas_gemm_batched_kernelIdLi16ELi16ELi32ELi32ELi8ELi32ELi8ELi8ELi32ELc67ELc78EKdS1_dEEvlllT_PT11_llS4_llS2_PT12_llPT13_lli,@function
_ZN12_GLOBAL__N_127rocblas_gemm_batched_kernelIdLi16ELi16ELi32ELi32ELi8ELi32ELi8ELi8ELi32ELc67ELc78EKdS1_dEEvlllT_PT11_llS4_llS2_PT12_llPT13_lli: ; @_ZN12_GLOBAL__N_127rocblas_gemm_batched_kernelIdLi16ELi16ELi32ELi32ELi8ELi32ELi8ELi8ELi32ELc67ELc78EKdS1_dEEvlllT_PT11_llS4_llS2_PT12_llPT13_lli
; %bb.0:
	s_load_b32 s28, s[0:1], 0x88
	s_bfe_u32 s2, ttmp6, 0x40014
	s_lshr_b32 s3, ttmp7, 16
	s_add_co_i32 s2, s2, 1
	s_bfe_u32 s4, ttmp6, 0x40008
	s_mul_i32 s2, s3, s2
	s_getreg_b32 s29, hwreg(HW_REG_IB_STS2, 6, 4)
	s_add_co_i32 s4, s4, s2
	s_cmp_eq_u32 s29, 0
	s_cselect_b32 s2, s3, s4
	s_mov_b32 s3, 0
	s_wait_kmcnt 0x0
	s_cmp_ge_i32 s2, s28
	s_cbranch_scc1 .LBB293_11
; %bb.1:
	v_bfe_u32 v4, v0, 10, 10
	v_and_b32_e32 v6, 0x3ff, v0
	s_clause 0x2
	s_load_b512 s[4:19], s[0:1], 0x10
	s_load_b256 s[20:27], s[0:1], 0x70
	s_load_b256 s[36:43], s[0:1], 0x50
	s_wait_xcnt 0x0
	s_bfe_u32 s1, ttmp6, 0x4000c
	s_wait_kmcnt 0x0
	s_bfe_u32 s26, ttmp6, 0x40010
	s_add_co_i32 s1, s1, 1
	s_and_b32 s27, ttmp7, 0xffff
	s_add_co_i32 s26, s26, 1
	v_lshl_add_u32 v1, v4, 4, v6
	v_mov_b32_e32 v5, 0
	s_and_b32 s0, ttmp6, 15
	s_mul_i32 s1, ttmp9, s1
	s_mul_i32 s26, s27, s26
	s_bfe_u32 s30, ttmp6, 0x40004
	s_add_co_i32 s0, s0, s1
	s_add_co_i32 s30, s30, s26
	s_cmp_eq_u32 s29, 0
	v_dual_lshrrev_b32 v8, 3, v1 :: v_dual_bitop2_b32 v18, 31, v1 bitop3:0x40
	v_mov_b32_e32 v9, v5
	s_cselect_b32 s0, ttmp9, s0
	s_cselect_b32 s26, s27, s30
	s_ashr_i32 s1, s0, 31
	s_lshl_b32 s26, s26, 5
	s_mov_b32 s27, s3
	s_lshl_b64 s[30:31], s[0:1], 5
	v_add_nc_u64_e32 v[2:3], s[26:27], v[8:9]
	v_dual_mov_b32 v11, s31 :: v_dual_bitop2_b32 v10, s30, v18 bitop3:0x54
	v_add_nc_u64_e32 v[12:13], s[26:27], v[4:5]
	v_cmp_eq_f64_e64 s1, s[36:37], 0
	v_dual_mov_b32 v7, v5 :: v_dual_lshlrev_b32 v0, 3, v0
	s_delay_alu instid0(VALU_DEP_4) | instskip(SKIP_1) | instid1(VALU_DEP_3)
	v_mul_u64_e32 v[10:11], s[10:11], v[10:11]
	v_mul_u64_e32 v[14:15], s[16:17], v[2:3]
	v_dual_lshrrev_b32 v9, 5, v1 :: v_dual_bitop2_b32 v0, 56, v0 bitop3:0x40
	v_mul_u64_e32 v[16:17], s[40:41], v[12:13]
	v_mul_u64_e32 v[2:3], s[22:23], v[12:13]
	v_lshlrev_b32_e32 v22, 3, v6
	v_lshl_add_u32 v23, v4, 6, 0x800
	v_dual_mov_b32 v1, v5 :: v_dual_lshlrev_b32 v12, 3, v18
	v_lshl_or_b32 v8, v8, 6, v0
	v_lshlrev_b32_e32 v4, 3, v9
	v_cmp_gt_i64_e64 s0, s[4:5], 0
	v_add_nc_u64_e32 v[6:7], s[30:31], v[6:7]
	v_lshl_or_b32 v24, v9, 8, v12
	v_add_nc_u32_e32 v25, 0x800, v8
	s_lshl_b64 s[10:11], s[22:23], 4
	s_lshl_b64 s[12:13], s[12:13], 3
	s_delay_alu instid0(VALU_DEP_3) | instskip(SKIP_3) | instid1(VALU_DEP_3)
	v_lshlrev_b64_e32 v[6:7], 3, v[6:7]
	v_lshl_add_u64 v[4:5], v[10:11], 3, v[4:5]
	v_lshl_add_u64 v[8:9], v[14:15], 3, v[0:1]
	v_cndmask_b32_e64 v10, 0, 1, s0
	v_add_nc_u64_e32 v[0:1], s[8:9], v[4:5]
	s_delay_alu instid0(VALU_DEP_3) | instskip(SKIP_1) | instid1(VALU_DEP_4)
	v_add_nc_u64_e32 v[4:5], s[14:15], v[8:9]
	v_lshl_add_u64 v[8:9], v[16:17], 3, s[38:39]
	v_cmp_ne_u32_e64 s0, 1, v10
	s_lshl_b64 s[8:9], s[40:41], 4
	s_lshl_b64 s[14:15], s[18:19], 3
	s_branch .LBB293_3
.LBB293_2:                              ;   in Loop: Header=BB293_3 Depth=1
	s_add_co_i32 s2, s2, 0x10000
	s_delay_alu instid0(SALU_CYCLE_1)
	s_cmp_lt_i32 s2, s28
	s_cbranch_scc0 .LBB293_11
.LBB293_3:                              ; =>This Loop Header: Depth=1
                                        ;     Child Loop BB293_5 Depth 2
	s_and_b32 vcc_lo, exec_lo, s0
	s_cbranch_vccnz .LBB293_6
; %bb.4:                                ;   in Loop: Header=BB293_3 Depth=1
	v_mad_nc_u64_u32 v[18:19], s14, s2, v[4:5]
	s_wait_xcnt 0x2
	v_mad_nc_u64_u32 v[20:21], s12, s2, v[0:1]
	v_mov_b64_e32 v[10:11], 0
	s_wait_xcnt 0x0
	v_mov_b64_e32 v[12:13], 0
	v_mov_b64_e32 v[14:15], 0
	;; [unrolled: 1-line block ×3, first 2 shown]
	s_mov_b64 s[16:17], 0
	v_mad_u32 v19, s15, s2, v19
	v_mad_u32 v21, s13, s2, v21
.LBB293_5:                              ;   Parent Loop BB293_3 Depth=1
                                        ; =>  This Inner Loop Header: Depth=2
	global_load_b64 v[26:27], v[20:21], off
	global_load_b64 v[28:29], v[18:19], off
	s_add_nc_u64 s[16:17], s[16:17], 8
	s_wait_xcnt 0x0
	v_add_nc_u64_e32 v[18:19], 64, v[18:19]
	v_cmp_lt_i64_e64 s18, s[16:17], s[4:5]
	v_add_nc_u64_e32 v[20:21], 64, v[20:21]
	s_wait_loadcnt 0x1
	ds_store_b64 v24, v[26:27]
	s_wait_loadcnt 0x0
	ds_store_b64 v25, v[28:29]
	s_wait_dscnt 0x0
	s_barrier_signal -1
	s_barrier_wait -1
	ds_load_b128 v[26:29], v23
	ds_load_2addr_b64 v[30:33], v22 offset1:16
	ds_load_b128 v[34:37], v23 offset:1024
	ds_load_b128 v[38:41], v23 offset:16
	;; [unrolled: 1-line block ×3, first 2 shown]
	s_and_b32 vcc_lo, exec_lo, s18
	s_wait_dscnt 0x3
	v_fmac_f64_e32 v[16:17], v[30:31], v[26:27]
	v_fmac_f64_e32 v[14:15], v[32:33], v[26:27]
	s_wait_dscnt 0x2
	v_fmac_f64_e32 v[12:13], v[30:31], v[34:35]
	v_fmac_f64_e32 v[10:11], v[32:33], v[34:35]
	ds_load_2addr_b64 v[30:33], v22 offset0:32 offset1:48
	s_wait_dscnt 0x0
	v_fmac_f64_e32 v[16:17], v[30:31], v[28:29]
	v_fmac_f64_e32 v[14:15], v[32:33], v[28:29]
	v_fmac_f64_e32 v[12:13], v[30:31], v[36:37]
	v_fmac_f64_e32 v[10:11], v[32:33], v[36:37]
	ds_load_2addr_b64 v[26:29], v22 offset0:64 offset1:80
	s_wait_dscnt 0x0
	v_fmac_f64_e32 v[16:17], v[26:27], v[38:39]
	v_fmac_f64_e32 v[14:15], v[28:29], v[38:39]
	;; [unrolled: 6-line block ×3, first 2 shown]
	v_fmac_f64_e32 v[12:13], v[26:27], v[44:45]
	v_fmac_f64_e32 v[10:11], v[28:29], v[44:45]
	ds_load_b128 v[26:29], v23 offset:32
	ds_load_2addr_b64 v[30:33], v22 offset0:128 offset1:144
	ds_load_b128 v[34:37], v23 offset:1056
	ds_load_b128 v[38:41], v23 offset:48
	ds_load_b128 v[42:45], v23 offset:1072
	s_wait_dscnt 0x3
	v_fmac_f64_e32 v[16:17], v[30:31], v[26:27]
	v_fmac_f64_e32 v[14:15], v[32:33], v[26:27]
	s_wait_dscnt 0x2
	v_fmac_f64_e32 v[12:13], v[30:31], v[34:35]
	v_fmac_f64_e32 v[10:11], v[32:33], v[34:35]
	ds_load_2addr_b64 v[30:33], v22 offset0:160 offset1:176
	s_wait_dscnt 0x0
	v_fmac_f64_e32 v[16:17], v[30:31], v[28:29]
	v_fmac_f64_e32 v[14:15], v[32:33], v[28:29]
	;; [unrolled: 1-line block ×4, first 2 shown]
	ds_load_2addr_b64 v[26:29], v22 offset0:192 offset1:208
	s_wait_dscnt 0x0
	v_fmac_f64_e32 v[16:17], v[26:27], v[38:39]
	v_fmac_f64_e32 v[14:15], v[28:29], v[38:39]
	v_fmac_f64_e32 v[12:13], v[26:27], v[42:43]
	v_fmac_f64_e32 v[10:11], v[28:29], v[42:43]
	ds_load_2addr_b64 v[26:29], v22 offset0:224 offset1:240
	s_wait_dscnt 0x0
	s_barrier_signal -1
	s_barrier_wait -1
	v_fmac_f64_e32 v[16:17], v[26:27], v[40:41]
	v_fmac_f64_e32 v[14:15], v[28:29], v[40:41]
	;; [unrolled: 1-line block ×4, first 2 shown]
	s_cbranch_vccnz .LBB293_5
	s_branch .LBB293_7
.LBB293_6:                              ;   in Loop: Header=BB293_3 Depth=1
	v_mov_b64_e32 v[16:17], 0
	s_wait_xcnt 0x0
	v_mov_b64_e32 v[14:15], 0
	v_mov_b64_e32 v[12:13], 0
	;; [unrolled: 1-line block ×3, first 2 shown]
.LBB293_7:                              ;   in Loop: Header=BB293_3 Depth=1
	s_mul_u64 s[16:17], s[24:25], s[2:3]
	s_and_not1_b32 vcc_lo, exec_lo, s1
	s_lshl_b64 s[16:17], s[16:17], 3
	s_delay_alu instid0(SALU_CYCLE_1) | instskip(NEXT) | instid1(SALU_CYCLE_1)
	s_add_nc_u64 s[16:17], s[20:21], s[16:17]
	v_lshl_add_u64 v[18:19], v[2:3], 3, s[16:17]
	s_delay_alu instid0(VALU_DEP_1)
	v_add_nc_u64_e32 v[20:21], v[18:19], v[6:7]
	v_lshl_add_u64 v[18:19], s[10:11], 3, v[18:19]
	s_cbranch_vccnz .LBB293_9
; %bb.8:                                ;   in Loop: Header=BB293_3 Depth=1
	v_mul_f64_e32 v[26:27], s[6:7], v[16:17]
	v_mul_f64_e32 v[28:29], s[6:7], v[14:15]
	;; [unrolled: 1-line block ×4, first 2 shown]
	v_add_nc_u64_e32 v[34:35], v[18:19], v[6:7]
	s_clause 0x3
	global_store_b64 v[20:21], v[26:27], off
	global_store_b64 v[20:21], v[28:29], off offset:128
	global_store_b64 v[34:35], v[30:31], off
	global_store_b64 v[34:35], v[32:33], off offset:128
	s_cbranch_execnz .LBB293_2
	s_branch .LBB293_10
.LBB293_9:                              ;   in Loop: Header=BB293_3 Depth=1
.LBB293_10:                             ;   in Loop: Header=BB293_3 Depth=1
	s_mul_u64 s[16:17], s[42:43], s[2:3]
	s_wait_xcnt 0x3
	v_lshl_add_u64 v[26:27], s[16:17], 3, v[8:9]
	s_wait_xcnt 0x2
	s_delay_alu instid0(VALU_DEP_1) | instskip(SKIP_3) | instid1(VALU_DEP_1)
	v_add_nc_u64_e32 v[28:29], v[26:27], v[6:7]
	global_load_b64 v[30:31], v[28:29], off
	s_wait_loadcnt 0x0
	v_mul_f64_e32 v[30:31], s[36:37], v[30:31]
	v_fmac_f64_e32 v[30:31], s[6:7], v[16:17]
	global_store_b64 v[20:21], v[30:31], off
	global_load_b64 v[16:17], v[28:29], off offset:128
	s_wait_loadcnt 0x0
	v_mul_f64_e32 v[16:17], s[36:37], v[16:17]
	s_delay_alu instid0(VALU_DEP_1) | instskip(SKIP_1) | instid1(VALU_DEP_1)
	v_fmac_f64_e32 v[16:17], s[6:7], v[14:15]
	v_lshl_add_u64 v[14:15], s[8:9], 3, v[26:27]
	v_add_nc_u64_e32 v[14:15], v[14:15], v[6:7]
	global_store_b64 v[20:21], v[16:17], off offset:128
	global_load_b64 v[16:17], v[14:15], off
	s_wait_loadcnt 0x0
	v_mul_f64_e32 v[16:17], s[36:37], v[16:17]
	s_delay_alu instid0(VALU_DEP_1)
	v_fmac_f64_e32 v[16:17], s[6:7], v[12:13]
	v_add_nc_u64_e32 v[12:13], v[18:19], v[6:7]
	global_store_b64 v[12:13], v[16:17], off
	global_load_b64 v[14:15], v[14:15], off offset:128
	s_wait_loadcnt 0x0
	v_mul_f64_e32 v[14:15], s[36:37], v[14:15]
	s_delay_alu instid0(VALU_DEP_1)
	v_fmac_f64_e32 v[14:15], s[6:7], v[10:11]
	global_store_b64 v[12:13], v[14:15], off offset:128
	s_branch .LBB293_2
.LBB293_11:
	s_endpgm
	.section	.rodata,"a",@progbits
	.p2align	6, 0x0
	.amdhsa_kernel _ZN12_GLOBAL__N_127rocblas_gemm_batched_kernelIdLi16ELi16ELi32ELi32ELi8ELi32ELi8ELi8ELi32ELc67ELc78EKdS1_dEEvlllT_PT11_llS4_llS2_PT12_llPT13_lli
		.amdhsa_group_segment_fixed_size 4096
		.amdhsa_private_segment_fixed_size 0
		.amdhsa_kernarg_size 140
		.amdhsa_user_sgpr_count 2
		.amdhsa_user_sgpr_dispatch_ptr 0
		.amdhsa_user_sgpr_queue_ptr 0
		.amdhsa_user_sgpr_kernarg_segment_ptr 1
		.amdhsa_user_sgpr_dispatch_id 0
		.amdhsa_user_sgpr_kernarg_preload_length 0
		.amdhsa_user_sgpr_kernarg_preload_offset 0
		.amdhsa_user_sgpr_private_segment_size 0
		.amdhsa_wavefront_size32 1
		.amdhsa_uses_dynamic_stack 0
		.amdhsa_enable_private_segment 0
		.amdhsa_system_sgpr_workgroup_id_x 1
		.amdhsa_system_sgpr_workgroup_id_y 1
		.amdhsa_system_sgpr_workgroup_id_z 1
		.amdhsa_system_sgpr_workgroup_info 0
		.amdhsa_system_vgpr_workitem_id 1
		.amdhsa_next_free_vgpr 46
		.amdhsa_next_free_sgpr 44
		.amdhsa_named_barrier_count 0
		.amdhsa_reserve_vcc 1
		.amdhsa_float_round_mode_32 0
		.amdhsa_float_round_mode_16_64 0
		.amdhsa_float_denorm_mode_32 3
		.amdhsa_float_denorm_mode_16_64 3
		.amdhsa_fp16_overflow 0
		.amdhsa_memory_ordered 1
		.amdhsa_forward_progress 1
		.amdhsa_inst_pref_size 11
		.amdhsa_round_robin_scheduling 0
		.amdhsa_exception_fp_ieee_invalid_op 0
		.amdhsa_exception_fp_denorm_src 0
		.amdhsa_exception_fp_ieee_div_zero 0
		.amdhsa_exception_fp_ieee_overflow 0
		.amdhsa_exception_fp_ieee_underflow 0
		.amdhsa_exception_fp_ieee_inexact 0
		.amdhsa_exception_int_div_zero 0
	.end_amdhsa_kernel
	.section	.text._ZN12_GLOBAL__N_127rocblas_gemm_batched_kernelIdLi16ELi16ELi32ELi32ELi8ELi32ELi8ELi8ELi32ELc67ELc78EKdS1_dEEvlllT_PT11_llS4_llS2_PT12_llPT13_lli,"axG",@progbits,_ZN12_GLOBAL__N_127rocblas_gemm_batched_kernelIdLi16ELi16ELi32ELi32ELi8ELi32ELi8ELi8ELi32ELc67ELc78EKdS1_dEEvlllT_PT11_llS4_llS2_PT12_llPT13_lli,comdat
.Lfunc_end293:
	.size	_ZN12_GLOBAL__N_127rocblas_gemm_batched_kernelIdLi16ELi16ELi32ELi32ELi8ELi32ELi8ELi8ELi32ELc67ELc78EKdS1_dEEvlllT_PT11_llS4_llS2_PT12_llPT13_lli, .Lfunc_end293-_ZN12_GLOBAL__N_127rocblas_gemm_batched_kernelIdLi16ELi16ELi32ELi32ELi8ELi32ELi8ELi8ELi32ELc67ELc78EKdS1_dEEvlllT_PT11_llS4_llS2_PT12_llPT13_lli
                                        ; -- End function
	.set _ZN12_GLOBAL__N_127rocblas_gemm_batched_kernelIdLi16ELi16ELi32ELi32ELi8ELi32ELi8ELi8ELi32ELc67ELc78EKdS1_dEEvlllT_PT11_llS4_llS2_PT12_llPT13_lli.num_vgpr, 46
	.set _ZN12_GLOBAL__N_127rocblas_gemm_batched_kernelIdLi16ELi16ELi32ELi32ELi8ELi32ELi8ELi8ELi32ELc67ELc78EKdS1_dEEvlllT_PT11_llS4_llS2_PT12_llPT13_lli.num_agpr, 0
	.set _ZN12_GLOBAL__N_127rocblas_gemm_batched_kernelIdLi16ELi16ELi32ELi32ELi8ELi32ELi8ELi8ELi32ELc67ELc78EKdS1_dEEvlllT_PT11_llS4_llS2_PT12_llPT13_lli.numbered_sgpr, 44
	.set _ZN12_GLOBAL__N_127rocblas_gemm_batched_kernelIdLi16ELi16ELi32ELi32ELi8ELi32ELi8ELi8ELi32ELc67ELc78EKdS1_dEEvlllT_PT11_llS4_llS2_PT12_llPT13_lli.num_named_barrier, 0
	.set _ZN12_GLOBAL__N_127rocblas_gemm_batched_kernelIdLi16ELi16ELi32ELi32ELi8ELi32ELi8ELi8ELi32ELc67ELc78EKdS1_dEEvlllT_PT11_llS4_llS2_PT12_llPT13_lli.private_seg_size, 0
	.set _ZN12_GLOBAL__N_127rocblas_gemm_batched_kernelIdLi16ELi16ELi32ELi32ELi8ELi32ELi8ELi8ELi32ELc67ELc78EKdS1_dEEvlllT_PT11_llS4_llS2_PT12_llPT13_lli.uses_vcc, 1
	.set _ZN12_GLOBAL__N_127rocblas_gemm_batched_kernelIdLi16ELi16ELi32ELi32ELi8ELi32ELi8ELi8ELi32ELc67ELc78EKdS1_dEEvlllT_PT11_llS4_llS2_PT12_llPT13_lli.uses_flat_scratch, 0
	.set _ZN12_GLOBAL__N_127rocblas_gemm_batched_kernelIdLi16ELi16ELi32ELi32ELi8ELi32ELi8ELi8ELi32ELc67ELc78EKdS1_dEEvlllT_PT11_llS4_llS2_PT12_llPT13_lli.has_dyn_sized_stack, 0
	.set _ZN12_GLOBAL__N_127rocblas_gemm_batched_kernelIdLi16ELi16ELi32ELi32ELi8ELi32ELi8ELi8ELi32ELc67ELc78EKdS1_dEEvlllT_PT11_llS4_llS2_PT12_llPT13_lli.has_recursion, 0
	.set _ZN12_GLOBAL__N_127rocblas_gemm_batched_kernelIdLi16ELi16ELi32ELi32ELi8ELi32ELi8ELi8ELi32ELc67ELc78EKdS1_dEEvlllT_PT11_llS4_llS2_PT12_llPT13_lli.has_indirect_call, 0
	.section	.AMDGPU.csdata,"",@progbits
; Kernel info:
; codeLenInByte = 1292
; TotalNumSgprs: 46
; NumVgprs: 46
; ScratchSize: 0
; MemoryBound: 0
; FloatMode: 240
; IeeeMode: 1
; LDSByteSize: 4096 bytes/workgroup (compile time only)
; SGPRBlocks: 0
; VGPRBlocks: 2
; NumSGPRsForWavesPerEU: 46
; NumVGPRsForWavesPerEU: 46
; NamedBarCnt: 0
; Occupancy: 16
; WaveLimiterHint : 1
; COMPUTE_PGM_RSRC2:SCRATCH_EN: 0
; COMPUTE_PGM_RSRC2:USER_SGPR: 2
; COMPUTE_PGM_RSRC2:TRAP_HANDLER: 0
; COMPUTE_PGM_RSRC2:TGID_X_EN: 1
; COMPUTE_PGM_RSRC2:TGID_Y_EN: 1
; COMPUTE_PGM_RSRC2:TGID_Z_EN: 1
; COMPUTE_PGM_RSRC2:TIDIG_COMP_CNT: 1
	.section	.text._ZN12_GLOBAL__N_127rocblas_gemm_batched_kernelIdLi16ELi16ELi32ELi32ELi8ELi32ELi8ELi8ELi32ELc67ELc84EKdS1_dEEvlllT_PT11_llS4_llS2_PT12_llPT13_lli,"axG",@progbits,_ZN12_GLOBAL__N_127rocblas_gemm_batched_kernelIdLi16ELi16ELi32ELi32ELi8ELi32ELi8ELi8ELi32ELc67ELc84EKdS1_dEEvlllT_PT11_llS4_llS2_PT12_llPT13_lli,comdat
	.globl	_ZN12_GLOBAL__N_127rocblas_gemm_batched_kernelIdLi16ELi16ELi32ELi32ELi8ELi32ELi8ELi8ELi32ELc67ELc84EKdS1_dEEvlllT_PT11_llS4_llS2_PT12_llPT13_lli ; -- Begin function _ZN12_GLOBAL__N_127rocblas_gemm_batched_kernelIdLi16ELi16ELi32ELi32ELi8ELi32ELi8ELi8ELi32ELc67ELc84EKdS1_dEEvlllT_PT11_llS4_llS2_PT12_llPT13_lli
	.p2align	8
	.type	_ZN12_GLOBAL__N_127rocblas_gemm_batched_kernelIdLi16ELi16ELi32ELi32ELi8ELi32ELi8ELi8ELi32ELc67ELc84EKdS1_dEEvlllT_PT11_llS4_llS2_PT12_llPT13_lli,@function
_ZN12_GLOBAL__N_127rocblas_gemm_batched_kernelIdLi16ELi16ELi32ELi32ELi8ELi32ELi8ELi8ELi32ELc67ELc84EKdS1_dEEvlllT_PT11_llS4_llS2_PT12_llPT13_lli: ; @_ZN12_GLOBAL__N_127rocblas_gemm_batched_kernelIdLi16ELi16ELi32ELi32ELi8ELi32ELi8ELi8ELi32ELc67ELc84EKdS1_dEEvlllT_PT11_llS4_llS2_PT12_llPT13_lli
; %bb.0:
	s_load_b32 s28, s[0:1], 0x88
	s_bfe_u32 s2, ttmp6, 0x40014
	s_lshr_b32 s3, ttmp7, 16
	s_add_co_i32 s2, s2, 1
	s_bfe_u32 s4, ttmp6, 0x40008
	s_mul_i32 s2, s3, s2
	s_getreg_b32 s29, hwreg(HW_REG_IB_STS2, 6, 4)
	s_add_co_i32 s4, s4, s2
	s_cmp_eq_u32 s29, 0
	s_cselect_b32 s2, s3, s4
	s_mov_b32 s3, 0
	s_wait_kmcnt 0x0
	s_cmp_ge_i32 s2, s28
	s_cbranch_scc1 .LBB294_11
; %bb.1:
	s_clause 0x2
	s_load_b512 s[4:19], s[0:1], 0x10
	s_load_b256 s[20:27], s[0:1], 0x70
	s_load_b256 s[36:43], s[0:1], 0x50
	v_bfe_u32 v2, v0, 10, 10
	v_and_b32_e32 v4, 0x3ff, v0
	s_wait_xcnt 0x0
	s_bfe_u32 s0, ttmp6, 0x4000c
	s_wait_kmcnt 0x0
	s_bfe_u32 s26, ttmp6, 0x40010
	s_add_co_i32 s0, s0, 1
	s_and_b32 s27, ttmp7, 0xffff
	s_add_co_i32 s26, s26, 1
	s_and_b32 s1, ttmp6, 15
	s_mul_i32 s0, ttmp9, s0
	s_mul_i32 s26, s27, s26
	s_bfe_u32 s30, ttmp6, 0x40004
	v_lshl_add_u32 v16, v2, 4, v4
	s_add_co_i32 s1, s1, s0
	s_add_co_i32 s30, s30, s26
	s_cmp_eq_u32 s29, 0
	s_delay_alu instid0(VALU_DEP_1)
	v_dual_mov_b32 v3, 0 :: v_dual_bitop2_b32 v17, 31, v16 bitop3:0x40
	s_cselect_b32 s0, ttmp9, s1
	s_cselect_b32 s29, s27, s30
	s_ashr_i32 s1, s0, 31
	s_lshl_b32 s30, s29, 5
	s_lshl_b64 s[26:27], s[0:1], 5
	s_mov_b32 s31, s3
	v_dual_mov_b32 v7, s27 :: v_dual_bitop2_b32 v6, s26, v17 bitop3:0x54
	v_add_nc_u64_e32 v[8:9], s[30:31], v[2:3]
	v_dual_mov_b32 v11, v3 :: v_dual_bitop2_b32 v18, 7, v0 bitop3:0x40
	v_dual_mov_b32 v5, v3 :: v_dual_lshrrev_b32 v10, 3, v16
	s_delay_alu instid0(VALU_DEP_4) | instskip(SKIP_2) | instid1(VALU_DEP_4)
	v_mul_u64_e32 v[6:7], s[10:11], v[6:7]
	v_cmp_eq_f64_e64 s1, s[36:37], 0
	v_mul_u64_e32 v[12:13], s[40:41], v[8:9]
	v_mad_nc_u64_u32 v[14:15], s16, v18, v[10:11]
	v_mul_u64_e32 v[0:1], s[22:23], v[8:9]
	v_dual_lshlrev_b32 v8, 3, v18 :: v_dual_lshlrev_b32 v22, 3, v4
	v_dual_lshrrev_b32 v11, 5, v16 :: v_dual_lshlrev_b32 v16, 3, v17
	v_lshl_add_u32 v23, v2, 6, 0x800
	s_delay_alu instid0(VALU_DEP_3) | instskip(SKIP_1) | instid1(VALU_DEP_4)
	v_lshl_or_b32 v10, v10, 6, v8
	v_cmp_gt_i64_e64 s0, s[4:5], 0
	v_lshlrev_b32_e32 v2, 3, v11
	v_add_nc_u64_e32 v[8:9], s[26:27], v[4:5]
	v_mad_u32 v15, s17, v18, v15
	v_lshl_or_b32 v24, v11, 8, v16
	v_add_nc_u32_e32 v25, 0x800, v10
	s_lshl_b64 s[10:11], s[22:23], 4
	s_lshl_b64 s[22:23], s[40:41], 4
	;; [unrolled: 1-line block ×3, first 2 shown]
	s_delay_alu instid0(VALU_DEP_3) | instskip(SKIP_1) | instid1(VALU_DEP_1)
	v_add_nc_u64_e32 v[10:11], s[30:31], v[14:15]
	v_cndmask_b32_e64 v14, 0, 1, s0
	v_cmp_ne_u32_e64 s0, 1, v14
	v_lshl_add_u64 v[4:5], v[6:7], 3, v[2:3]
	v_lshlrev_b64_e32 v[6:7], 3, v[8:9]
	v_lshl_add_u64 v[2:3], v[12:13], 3, s[38:39]
	v_lshl_add_u64 v[8:9], v[10:11], 3, s[14:15]
	s_lshl_b64 s[14:15], s[16:17], 6
	v_add_nc_u64_e32 v[4:5], s[8:9], v[4:5]
	s_lshl_b64 s[8:9], s[18:19], 3
	s_branch .LBB294_3
.LBB294_2:                              ;   in Loop: Header=BB294_3 Depth=1
	s_add_co_i32 s2, s2, 0x10000
	s_delay_alu instid0(SALU_CYCLE_1)
	s_cmp_lt_i32 s2, s28
	s_cbranch_scc0 .LBB294_11
.LBB294_3:                              ; =>This Loop Header: Depth=1
                                        ;     Child Loop BB294_5 Depth 2
	s_and_b32 vcc_lo, exec_lo, s0
	s_cbranch_vccnz .LBB294_6
; %bb.4:                                ;   in Loop: Header=BB294_3 Depth=1
	v_mad_nc_u64_u32 v[18:19], s8, s2, v[8:9]
	s_wait_xcnt 0x2
	v_mad_nc_u64_u32 v[20:21], s12, s2, v[4:5]
	v_mov_b64_e32 v[10:11], 0
	s_wait_xcnt 0x0
	v_mov_b64_e32 v[12:13], 0
	v_mov_b64_e32 v[14:15], 0
	;; [unrolled: 1-line block ×3, first 2 shown]
	s_mov_b64 s[16:17], 0
	v_mad_u32 v19, s9, s2, v19
	v_mad_u32 v21, s13, s2, v21
.LBB294_5:                              ;   Parent Loop BB294_3 Depth=1
                                        ; =>  This Inner Loop Header: Depth=2
	global_load_b64 v[26:27], v[20:21], off
	global_load_b64 v[28:29], v[18:19], off
	s_add_nc_u64 s[16:17], s[16:17], 8
	s_wait_xcnt 0x0
	v_add_nc_u64_e32 v[18:19], s[14:15], v[18:19]
	v_cmp_lt_i64_e64 s18, s[16:17], s[4:5]
	v_add_nc_u64_e32 v[20:21], 64, v[20:21]
	s_wait_loadcnt 0x1
	ds_store_b64 v24, v[26:27]
	s_wait_loadcnt 0x0
	ds_store_b64 v25, v[28:29]
	s_wait_dscnt 0x0
	s_barrier_signal -1
	s_barrier_wait -1
	ds_load_b128 v[26:29], v23
	ds_load_2addr_b64 v[30:33], v22 offset1:16
	ds_load_b128 v[34:37], v23 offset:1024
	ds_load_b128 v[38:41], v23 offset:16
	;; [unrolled: 1-line block ×3, first 2 shown]
	s_and_b32 vcc_lo, exec_lo, s18
	s_wait_dscnt 0x3
	v_fmac_f64_e32 v[16:17], v[30:31], v[26:27]
	v_fmac_f64_e32 v[14:15], v[32:33], v[26:27]
	s_wait_dscnt 0x2
	v_fmac_f64_e32 v[12:13], v[30:31], v[34:35]
	v_fmac_f64_e32 v[10:11], v[32:33], v[34:35]
	ds_load_2addr_b64 v[30:33], v22 offset0:32 offset1:48
	s_wait_dscnt 0x0
	v_fmac_f64_e32 v[16:17], v[30:31], v[28:29]
	v_fmac_f64_e32 v[14:15], v[32:33], v[28:29]
	v_fmac_f64_e32 v[12:13], v[30:31], v[36:37]
	v_fmac_f64_e32 v[10:11], v[32:33], v[36:37]
	ds_load_2addr_b64 v[26:29], v22 offset0:64 offset1:80
	s_wait_dscnt 0x0
	v_fmac_f64_e32 v[16:17], v[26:27], v[38:39]
	v_fmac_f64_e32 v[14:15], v[28:29], v[38:39]
	;; [unrolled: 6-line block ×3, first 2 shown]
	v_fmac_f64_e32 v[12:13], v[26:27], v[44:45]
	v_fmac_f64_e32 v[10:11], v[28:29], v[44:45]
	ds_load_b128 v[26:29], v23 offset:32
	ds_load_2addr_b64 v[30:33], v22 offset0:128 offset1:144
	ds_load_b128 v[34:37], v23 offset:1056
	ds_load_b128 v[38:41], v23 offset:48
	;; [unrolled: 1-line block ×3, first 2 shown]
	s_wait_dscnt 0x3
	v_fmac_f64_e32 v[16:17], v[30:31], v[26:27]
	v_fmac_f64_e32 v[14:15], v[32:33], v[26:27]
	s_wait_dscnt 0x2
	v_fmac_f64_e32 v[12:13], v[30:31], v[34:35]
	v_fmac_f64_e32 v[10:11], v[32:33], v[34:35]
	ds_load_2addr_b64 v[30:33], v22 offset0:160 offset1:176
	s_wait_dscnt 0x0
	v_fmac_f64_e32 v[16:17], v[30:31], v[28:29]
	v_fmac_f64_e32 v[14:15], v[32:33], v[28:29]
	v_fmac_f64_e32 v[12:13], v[30:31], v[36:37]
	v_fmac_f64_e32 v[10:11], v[32:33], v[36:37]
	ds_load_2addr_b64 v[26:29], v22 offset0:192 offset1:208
	s_wait_dscnt 0x0
	v_fmac_f64_e32 v[16:17], v[26:27], v[38:39]
	v_fmac_f64_e32 v[14:15], v[28:29], v[38:39]
	;; [unrolled: 1-line block ×4, first 2 shown]
	ds_load_2addr_b64 v[26:29], v22 offset0:224 offset1:240
	s_wait_dscnt 0x0
	s_barrier_signal -1
	s_barrier_wait -1
	v_fmac_f64_e32 v[16:17], v[26:27], v[40:41]
	v_fmac_f64_e32 v[14:15], v[28:29], v[40:41]
	;; [unrolled: 1-line block ×4, first 2 shown]
	s_cbranch_vccnz .LBB294_5
	s_branch .LBB294_7
.LBB294_6:                              ;   in Loop: Header=BB294_3 Depth=1
	v_mov_b64_e32 v[16:17], 0
	s_wait_xcnt 0x0
	v_mov_b64_e32 v[14:15], 0
	v_mov_b64_e32 v[12:13], 0
	;; [unrolled: 1-line block ×3, first 2 shown]
.LBB294_7:                              ;   in Loop: Header=BB294_3 Depth=1
	s_mul_u64 s[16:17], s[24:25], s[2:3]
	s_and_not1_b32 vcc_lo, exec_lo, s1
	s_lshl_b64 s[16:17], s[16:17], 3
	s_delay_alu instid0(SALU_CYCLE_1) | instskip(NEXT) | instid1(SALU_CYCLE_1)
	s_add_nc_u64 s[16:17], s[20:21], s[16:17]
	v_lshl_add_u64 v[18:19], v[0:1], 3, s[16:17]
	s_delay_alu instid0(VALU_DEP_1)
	v_add_nc_u64_e32 v[20:21], v[18:19], v[6:7]
	v_lshl_add_u64 v[18:19], s[10:11], 3, v[18:19]
	s_cbranch_vccnz .LBB294_9
; %bb.8:                                ;   in Loop: Header=BB294_3 Depth=1
	v_mul_f64_e32 v[26:27], s[6:7], v[16:17]
	v_mul_f64_e32 v[28:29], s[6:7], v[14:15]
	;; [unrolled: 1-line block ×4, first 2 shown]
	v_add_nc_u64_e32 v[34:35], v[18:19], v[6:7]
	s_clause 0x3
	global_store_b64 v[20:21], v[26:27], off
	global_store_b64 v[20:21], v[28:29], off offset:128
	global_store_b64 v[34:35], v[30:31], off
	global_store_b64 v[34:35], v[32:33], off offset:128
	s_cbranch_execnz .LBB294_2
	s_branch .LBB294_10
.LBB294_9:                              ;   in Loop: Header=BB294_3 Depth=1
.LBB294_10:                             ;   in Loop: Header=BB294_3 Depth=1
	s_mul_u64 s[16:17], s[42:43], s[2:3]
	s_wait_xcnt 0x3
	v_lshl_add_u64 v[26:27], s[16:17], 3, v[2:3]
	s_wait_xcnt 0x2
	s_delay_alu instid0(VALU_DEP_1) | instskip(SKIP_3) | instid1(VALU_DEP_1)
	v_add_nc_u64_e32 v[28:29], v[26:27], v[6:7]
	global_load_b64 v[30:31], v[28:29], off
	s_wait_loadcnt 0x0
	v_mul_f64_e32 v[30:31], s[36:37], v[30:31]
	v_fmac_f64_e32 v[30:31], s[6:7], v[16:17]
	global_store_b64 v[20:21], v[30:31], off
	global_load_b64 v[16:17], v[28:29], off offset:128
	s_wait_loadcnt 0x0
	v_mul_f64_e32 v[16:17], s[36:37], v[16:17]
	s_delay_alu instid0(VALU_DEP_1) | instskip(SKIP_1) | instid1(VALU_DEP_1)
	v_fmac_f64_e32 v[16:17], s[6:7], v[14:15]
	v_lshl_add_u64 v[14:15], s[22:23], 3, v[26:27]
	v_add_nc_u64_e32 v[14:15], v[14:15], v[6:7]
	global_store_b64 v[20:21], v[16:17], off offset:128
	global_load_b64 v[16:17], v[14:15], off
	s_wait_loadcnt 0x0
	v_mul_f64_e32 v[16:17], s[36:37], v[16:17]
	s_delay_alu instid0(VALU_DEP_1)
	v_fmac_f64_e32 v[16:17], s[6:7], v[12:13]
	v_add_nc_u64_e32 v[12:13], v[18:19], v[6:7]
	global_store_b64 v[12:13], v[16:17], off
	global_load_b64 v[14:15], v[14:15], off offset:128
	s_wait_loadcnt 0x0
	v_mul_f64_e32 v[14:15], s[36:37], v[14:15]
	s_delay_alu instid0(VALU_DEP_1)
	v_fmac_f64_e32 v[14:15], s[6:7], v[10:11]
	global_store_b64 v[12:13], v[14:15], off offset:128
	s_branch .LBB294_2
.LBB294_11:
	s_endpgm
	.section	.rodata,"a",@progbits
	.p2align	6, 0x0
	.amdhsa_kernel _ZN12_GLOBAL__N_127rocblas_gemm_batched_kernelIdLi16ELi16ELi32ELi32ELi8ELi32ELi8ELi8ELi32ELc67ELc84EKdS1_dEEvlllT_PT11_llS4_llS2_PT12_llPT13_lli
		.amdhsa_group_segment_fixed_size 4096
		.amdhsa_private_segment_fixed_size 0
		.amdhsa_kernarg_size 140
		.amdhsa_user_sgpr_count 2
		.amdhsa_user_sgpr_dispatch_ptr 0
		.amdhsa_user_sgpr_queue_ptr 0
		.amdhsa_user_sgpr_kernarg_segment_ptr 1
		.amdhsa_user_sgpr_dispatch_id 0
		.amdhsa_user_sgpr_kernarg_preload_length 0
		.amdhsa_user_sgpr_kernarg_preload_offset 0
		.amdhsa_user_sgpr_private_segment_size 0
		.amdhsa_wavefront_size32 1
		.amdhsa_uses_dynamic_stack 0
		.amdhsa_enable_private_segment 0
		.amdhsa_system_sgpr_workgroup_id_x 1
		.amdhsa_system_sgpr_workgroup_id_y 1
		.amdhsa_system_sgpr_workgroup_id_z 1
		.amdhsa_system_sgpr_workgroup_info 0
		.amdhsa_system_vgpr_workitem_id 1
		.amdhsa_next_free_vgpr 46
		.amdhsa_next_free_sgpr 44
		.amdhsa_named_barrier_count 0
		.amdhsa_reserve_vcc 1
		.amdhsa_float_round_mode_32 0
		.amdhsa_float_round_mode_16_64 0
		.amdhsa_float_denorm_mode_32 3
		.amdhsa_float_denorm_mode_16_64 3
		.amdhsa_fp16_overflow 0
		.amdhsa_memory_ordered 1
		.amdhsa_forward_progress 1
		.amdhsa_inst_pref_size 11
		.amdhsa_round_robin_scheduling 0
		.amdhsa_exception_fp_ieee_invalid_op 0
		.amdhsa_exception_fp_denorm_src 0
		.amdhsa_exception_fp_ieee_div_zero 0
		.amdhsa_exception_fp_ieee_overflow 0
		.amdhsa_exception_fp_ieee_underflow 0
		.amdhsa_exception_fp_ieee_inexact 0
		.amdhsa_exception_int_div_zero 0
	.end_amdhsa_kernel
	.section	.text._ZN12_GLOBAL__N_127rocblas_gemm_batched_kernelIdLi16ELi16ELi32ELi32ELi8ELi32ELi8ELi8ELi32ELc67ELc84EKdS1_dEEvlllT_PT11_llS4_llS2_PT12_llPT13_lli,"axG",@progbits,_ZN12_GLOBAL__N_127rocblas_gemm_batched_kernelIdLi16ELi16ELi32ELi32ELi8ELi32ELi8ELi8ELi32ELc67ELc84EKdS1_dEEvlllT_PT11_llS4_llS2_PT12_llPT13_lli,comdat
.Lfunc_end294:
	.size	_ZN12_GLOBAL__N_127rocblas_gemm_batched_kernelIdLi16ELi16ELi32ELi32ELi8ELi32ELi8ELi8ELi32ELc67ELc84EKdS1_dEEvlllT_PT11_llS4_llS2_PT12_llPT13_lli, .Lfunc_end294-_ZN12_GLOBAL__N_127rocblas_gemm_batched_kernelIdLi16ELi16ELi32ELi32ELi8ELi32ELi8ELi8ELi32ELc67ELc84EKdS1_dEEvlllT_PT11_llS4_llS2_PT12_llPT13_lli
                                        ; -- End function
	.set _ZN12_GLOBAL__N_127rocblas_gemm_batched_kernelIdLi16ELi16ELi32ELi32ELi8ELi32ELi8ELi8ELi32ELc67ELc84EKdS1_dEEvlllT_PT11_llS4_llS2_PT12_llPT13_lli.num_vgpr, 46
	.set _ZN12_GLOBAL__N_127rocblas_gemm_batched_kernelIdLi16ELi16ELi32ELi32ELi8ELi32ELi8ELi8ELi32ELc67ELc84EKdS1_dEEvlllT_PT11_llS4_llS2_PT12_llPT13_lli.num_agpr, 0
	.set _ZN12_GLOBAL__N_127rocblas_gemm_batched_kernelIdLi16ELi16ELi32ELi32ELi8ELi32ELi8ELi8ELi32ELc67ELc84EKdS1_dEEvlllT_PT11_llS4_llS2_PT12_llPT13_lli.numbered_sgpr, 44
	.set _ZN12_GLOBAL__N_127rocblas_gemm_batched_kernelIdLi16ELi16ELi32ELi32ELi8ELi32ELi8ELi8ELi32ELc67ELc84EKdS1_dEEvlllT_PT11_llS4_llS2_PT12_llPT13_lli.num_named_barrier, 0
	.set _ZN12_GLOBAL__N_127rocblas_gemm_batched_kernelIdLi16ELi16ELi32ELi32ELi8ELi32ELi8ELi8ELi32ELc67ELc84EKdS1_dEEvlllT_PT11_llS4_llS2_PT12_llPT13_lli.private_seg_size, 0
	.set _ZN12_GLOBAL__N_127rocblas_gemm_batched_kernelIdLi16ELi16ELi32ELi32ELi8ELi32ELi8ELi8ELi32ELc67ELc84EKdS1_dEEvlllT_PT11_llS4_llS2_PT12_llPT13_lli.uses_vcc, 1
	.set _ZN12_GLOBAL__N_127rocblas_gemm_batched_kernelIdLi16ELi16ELi32ELi32ELi8ELi32ELi8ELi8ELi32ELc67ELc84EKdS1_dEEvlllT_PT11_llS4_llS2_PT12_llPT13_lli.uses_flat_scratch, 0
	.set _ZN12_GLOBAL__N_127rocblas_gemm_batched_kernelIdLi16ELi16ELi32ELi32ELi8ELi32ELi8ELi8ELi32ELc67ELc84EKdS1_dEEvlllT_PT11_llS4_llS2_PT12_llPT13_lli.has_dyn_sized_stack, 0
	.set _ZN12_GLOBAL__N_127rocblas_gemm_batched_kernelIdLi16ELi16ELi32ELi32ELi8ELi32ELi8ELi8ELi32ELc67ELc84EKdS1_dEEvlllT_PT11_llS4_llS2_PT12_llPT13_lli.has_recursion, 0
	.set _ZN12_GLOBAL__N_127rocblas_gemm_batched_kernelIdLi16ELi16ELi32ELi32ELi8ELi32ELi8ELi8ELi32ELc67ELc84EKdS1_dEEvlllT_PT11_llS4_llS2_PT12_llPT13_lli.has_indirect_call, 0
	.section	.AMDGPU.csdata,"",@progbits
; Kernel info:
; codeLenInByte = 1312
; TotalNumSgprs: 46
; NumVgprs: 46
; ScratchSize: 0
; MemoryBound: 0
; FloatMode: 240
; IeeeMode: 1
; LDSByteSize: 4096 bytes/workgroup (compile time only)
; SGPRBlocks: 0
; VGPRBlocks: 2
; NumSGPRsForWavesPerEU: 46
; NumVGPRsForWavesPerEU: 46
; NamedBarCnt: 0
; Occupancy: 16
; WaveLimiterHint : 1
; COMPUTE_PGM_RSRC2:SCRATCH_EN: 0
; COMPUTE_PGM_RSRC2:USER_SGPR: 2
; COMPUTE_PGM_RSRC2:TRAP_HANDLER: 0
; COMPUTE_PGM_RSRC2:TGID_X_EN: 1
; COMPUTE_PGM_RSRC2:TGID_Y_EN: 1
; COMPUTE_PGM_RSRC2:TGID_Z_EN: 1
; COMPUTE_PGM_RSRC2:TIDIG_COMP_CNT: 1
	.section	.text._ZN12_GLOBAL__N_127rocblas_gemm_batched_kernelIdLi16ELi16ELi32ELi32ELi8ELi32ELi8ELi8ELi32ELc78ELc67EKdS1_dEEvlllT_PT11_llS4_llS2_PT12_llPT13_lli,"axG",@progbits,_ZN12_GLOBAL__N_127rocblas_gemm_batched_kernelIdLi16ELi16ELi32ELi32ELi8ELi32ELi8ELi8ELi32ELc78ELc67EKdS1_dEEvlllT_PT11_llS4_llS2_PT12_llPT13_lli,comdat
	.globl	_ZN12_GLOBAL__N_127rocblas_gemm_batched_kernelIdLi16ELi16ELi32ELi32ELi8ELi32ELi8ELi8ELi32ELc78ELc67EKdS1_dEEvlllT_PT11_llS4_llS2_PT12_llPT13_lli ; -- Begin function _ZN12_GLOBAL__N_127rocblas_gemm_batched_kernelIdLi16ELi16ELi32ELi32ELi8ELi32ELi8ELi8ELi32ELc78ELc67EKdS1_dEEvlllT_PT11_llS4_llS2_PT12_llPT13_lli
	.p2align	8
	.type	_ZN12_GLOBAL__N_127rocblas_gemm_batched_kernelIdLi16ELi16ELi32ELi32ELi8ELi32ELi8ELi8ELi32ELc78ELc67EKdS1_dEEvlllT_PT11_llS4_llS2_PT12_llPT13_lli,@function
_ZN12_GLOBAL__N_127rocblas_gemm_batched_kernelIdLi16ELi16ELi32ELi32ELi8ELi32ELi8ELi8ELi32ELc78ELc67EKdS1_dEEvlllT_PT11_llS4_llS2_PT12_llPT13_lli: ; @_ZN12_GLOBAL__N_127rocblas_gemm_batched_kernelIdLi16ELi16ELi32ELi32ELi8ELi32ELi8ELi8ELi32ELc78ELc67EKdS1_dEEvlllT_PT11_llS4_llS2_PT12_llPT13_lli
; %bb.0:
	s_load_b32 s30, s[0:1], 0x88
	s_bfe_u32 s2, ttmp6, 0x40014
	s_lshr_b32 s3, ttmp7, 16
	s_add_co_i32 s2, s2, 1
	s_bfe_u32 s4, ttmp6, 0x40008
	s_mul_i32 s2, s3, s2
	s_getreg_b32 s28, hwreg(HW_REG_IB_STS2, 6, 4)
	s_add_co_i32 s4, s4, s2
	s_cmp_eq_u32 s28, 0
	s_cselect_b32 s2, s3, s4
	s_mov_b32 s3, 0
	s_wait_kmcnt 0x0
	s_cmp_ge_i32 s2, s30
	s_cbranch_scc1 .LBB295_11
; %bb.1:
	s_clause 0x1
	s_load_b512 s[4:19], s[0:1], 0x10
	s_load_b256 s[20:27], s[0:1], 0x50
	s_bfe_u32 s29, ttmp6, 0x4000c
	s_bfe_u32 s33, ttmp6, 0x40010
	s_add_co_i32 s29, s29, 1
	s_and_b32 s34, ttmp7, 0xffff
	s_add_co_i32 s33, s33, 1
	s_and_b32 s31, ttmp6, 15
	s_mul_i32 s29, ttmp9, s29
	s_mul_i32 s33, s34, s33
	s_bfe_u32 s35, ttmp6, 0x40004
	s_add_co_i32 s31, s31, s29
	s_add_co_i32 s35, s35, s33
	s_cmp_eq_u32 s28, 0
	v_bfe_u32 v2, v0, 10, 10
	v_dual_mov_b32 v3, 0 :: v_dual_bitop2_b32 v16, 7, v0 bitop3:0x40
	s_cselect_b32 s29, s34, s35
	s_load_b256 s[36:43], s[0:1], 0x70
	s_cselect_b32 s28, ttmp9, s31
	s_lshl_b32 s34, s29, 5
	s_mov_b32 s35, s3
	v_and_b32_e32 v4, 0x3ff, v0
	v_add_nc_u64_e32 v[6:7], s[34:35], v[2:3]
	v_mov_b32_e32 v9, v3
	s_ashr_i32 s29, s28, 31
	s_wait_kmcnt 0x0
	v_cmp_eq_f64_e64 s1, s[20:21], 0
	v_lshl_add_u32 v5, v2, 4, v4
	s_lshl_b64 s[28:29], s[28:29], 5
	v_cmp_gt_i64_e64 s0, s[4:5], 0
	v_mul_u64_e32 v[10:11], s[24:25], v[6:7]
	s_delay_alu instid0(VALU_DEP_3)
	v_dual_lshlrev_b32 v22, 3, v4 :: v_dual_lshrrev_b32 v8, 3, v5
	v_lshrrev_b32_e32 v17, 5, v5
	v_lshl_add_u32 v23, v2, 6, 0x800
	s_lshl_b64 s[24:25], s[24:25], 4
	s_lshl_b64 s[12:13], s[12:13], 3
	v_mad_nc_u64_u32 v[12:13], s16, v16, v[8:9]
	v_lshlrev_b32_e32 v9, 3, v16
	v_mad_nc_u64_u32 v[14:15], s10, v17, s[28:29]
	v_mul_u64_e32 v[0:1], s[38:39], v[6:7]
	v_dual_mov_b32 v5, v3 :: v_dual_bitop2_b32 v6, 31, v5 bitop3:0x40
	s_delay_alu instid0(VALU_DEP_1)
	v_dual_mov_b32 v7, v3 :: v_dual_lshlrev_b32 v3, 3, v6
	v_mad_u32 v13, s17, v16, v13
	v_lshl_or_b32 v16, v8, 6, v9
	v_mad_u32 v15, s11, v17, v15
	v_add_nc_u64_e32 v[8:9], s[28:29], v[4:5]
	v_lshl_or_b32 v24, v17, 8, v3
	s_lshl_b64 s[28:29], s[38:39], 4
	v_add_nc_u32_e32 v25, 0x800, v16
	s_lshl_b64 s[10:11], s[10:11], 6
	v_add_nc_u64_e32 v[4:5], s[34:35], v[12:13]
	v_add_nc_u64_e32 v[12:13], v[14:15], v[6:7]
	v_lshl_add_u64 v[2:3], v[10:11], 3, s[22:23]
	v_cndmask_b32_e64 v10, 0, 1, s0
	v_lshlrev_b64_e32 v[6:7], 3, v[8:9]
	v_lshl_add_u64 v[4:5], v[4:5], 3, s[14:15]
	s_lshl_b64 s[14:15], s[18:19], 3
	v_lshl_add_u64 v[8:9], v[12:13], 3, s[8:9]
	v_cmp_ne_u32_e64 s0, 1, v10
	s_lshl_b64 s[8:9], s[16:17], 6
	s_branch .LBB295_3
.LBB295_2:                              ;   in Loop: Header=BB295_3 Depth=1
	s_add_co_i32 s2, s2, 0x10000
	s_delay_alu instid0(SALU_CYCLE_1)
	s_cmp_lt_i32 s2, s30
	s_cbranch_scc0 .LBB295_11
.LBB295_3:                              ; =>This Loop Header: Depth=1
                                        ;     Child Loop BB295_5 Depth 2
	s_and_b32 vcc_lo, exec_lo, s0
	s_cbranch_vccnz .LBB295_6
; %bb.4:                                ;   in Loop: Header=BB295_3 Depth=1
	v_mad_nc_u64_u32 v[18:19], s14, s2, v[4:5]
	s_wait_xcnt 0x2
	v_mad_nc_u64_u32 v[20:21], s12, s2, v[8:9]
	v_mov_b64_e32 v[10:11], 0
	s_wait_xcnt 0x0
	v_mov_b64_e32 v[12:13], 0
	v_mov_b64_e32 v[14:15], 0
	v_mov_b64_e32 v[16:17], 0
	s_mov_b64 s[16:17], 0
	v_mad_u32 v19, s15, s2, v19
	v_mad_u32 v21, s13, s2, v21
.LBB295_5:                              ;   Parent Loop BB295_3 Depth=1
                                        ; =>  This Inner Loop Header: Depth=2
	global_load_b64 v[26:27], v[20:21], off
	global_load_b64 v[28:29], v[18:19], off
	s_add_nc_u64 s[16:17], s[16:17], 8
	s_wait_xcnt 0x0
	v_add_nc_u64_e32 v[18:19], s[8:9], v[18:19]
	v_cmp_lt_i64_e64 s18, s[16:17], s[4:5]
	v_add_nc_u64_e32 v[20:21], s[10:11], v[20:21]
	s_wait_loadcnt 0x1
	ds_store_b64 v24, v[26:27]
	s_wait_loadcnt 0x0
	ds_store_b64 v25, v[28:29]
	s_wait_dscnt 0x0
	s_barrier_signal -1
	s_barrier_wait -1
	ds_load_b128 v[26:29], v23
	ds_load_2addr_b64 v[30:33], v22 offset1:16
	ds_load_b128 v[34:37], v23 offset:1024
	ds_load_b128 v[38:41], v23 offset:16
	;; [unrolled: 1-line block ×3, first 2 shown]
	s_and_b32 vcc_lo, exec_lo, s18
	s_wait_dscnt 0x3
	v_fmac_f64_e32 v[16:17], v[30:31], v[26:27]
	v_fmac_f64_e32 v[14:15], v[32:33], v[26:27]
	s_wait_dscnt 0x2
	v_fmac_f64_e32 v[12:13], v[30:31], v[34:35]
	v_fmac_f64_e32 v[10:11], v[32:33], v[34:35]
	ds_load_2addr_b64 v[30:33], v22 offset0:32 offset1:48
	s_wait_dscnt 0x0
	v_fmac_f64_e32 v[16:17], v[30:31], v[28:29]
	v_fmac_f64_e32 v[14:15], v[32:33], v[28:29]
	v_fmac_f64_e32 v[12:13], v[30:31], v[36:37]
	v_fmac_f64_e32 v[10:11], v[32:33], v[36:37]
	ds_load_2addr_b64 v[26:29], v22 offset0:64 offset1:80
	s_wait_dscnt 0x0
	v_fmac_f64_e32 v[16:17], v[26:27], v[38:39]
	v_fmac_f64_e32 v[14:15], v[28:29], v[38:39]
	;; [unrolled: 6-line block ×3, first 2 shown]
	v_fmac_f64_e32 v[12:13], v[26:27], v[44:45]
	v_fmac_f64_e32 v[10:11], v[28:29], v[44:45]
	ds_load_b128 v[26:29], v23 offset:32
	ds_load_2addr_b64 v[30:33], v22 offset0:128 offset1:144
	ds_load_b128 v[34:37], v23 offset:1056
	ds_load_b128 v[38:41], v23 offset:48
	;; [unrolled: 1-line block ×3, first 2 shown]
	s_wait_dscnt 0x3
	v_fmac_f64_e32 v[16:17], v[30:31], v[26:27]
	v_fmac_f64_e32 v[14:15], v[32:33], v[26:27]
	s_wait_dscnt 0x2
	v_fmac_f64_e32 v[12:13], v[30:31], v[34:35]
	v_fmac_f64_e32 v[10:11], v[32:33], v[34:35]
	ds_load_2addr_b64 v[30:33], v22 offset0:160 offset1:176
	s_wait_dscnt 0x0
	v_fmac_f64_e32 v[16:17], v[30:31], v[28:29]
	v_fmac_f64_e32 v[14:15], v[32:33], v[28:29]
	;; [unrolled: 1-line block ×4, first 2 shown]
	ds_load_2addr_b64 v[26:29], v22 offset0:192 offset1:208
	s_wait_dscnt 0x0
	v_fmac_f64_e32 v[16:17], v[26:27], v[38:39]
	v_fmac_f64_e32 v[14:15], v[28:29], v[38:39]
	;; [unrolled: 1-line block ×4, first 2 shown]
	ds_load_2addr_b64 v[26:29], v22 offset0:224 offset1:240
	s_wait_dscnt 0x0
	s_barrier_signal -1
	s_barrier_wait -1
	v_fmac_f64_e32 v[16:17], v[26:27], v[40:41]
	v_fmac_f64_e32 v[14:15], v[28:29], v[40:41]
	;; [unrolled: 1-line block ×4, first 2 shown]
	s_cbranch_vccnz .LBB295_5
	s_branch .LBB295_7
.LBB295_6:                              ;   in Loop: Header=BB295_3 Depth=1
	v_mov_b64_e32 v[16:17], 0
	s_wait_xcnt 0x0
	v_mov_b64_e32 v[14:15], 0
	v_mov_b64_e32 v[12:13], 0
	v_mov_b64_e32 v[10:11], 0
.LBB295_7:                              ;   in Loop: Header=BB295_3 Depth=1
	s_mul_u64 s[16:17], s[40:41], s[2:3]
	s_and_not1_b32 vcc_lo, exec_lo, s1
	s_lshl_b64 s[16:17], s[16:17], 3
	s_delay_alu instid0(SALU_CYCLE_1) | instskip(NEXT) | instid1(SALU_CYCLE_1)
	s_add_nc_u64 s[16:17], s[36:37], s[16:17]
	v_lshl_add_u64 v[18:19], v[0:1], 3, s[16:17]
	s_delay_alu instid0(VALU_DEP_1)
	v_add_nc_u64_e32 v[20:21], v[18:19], v[6:7]
	v_lshl_add_u64 v[18:19], s[28:29], 3, v[18:19]
	s_cbranch_vccnz .LBB295_9
; %bb.8:                                ;   in Loop: Header=BB295_3 Depth=1
	v_mul_f64_e32 v[26:27], s[6:7], v[16:17]
	v_mul_f64_e32 v[28:29], s[6:7], v[14:15]
	;; [unrolled: 1-line block ×4, first 2 shown]
	v_add_nc_u64_e32 v[34:35], v[18:19], v[6:7]
	s_clause 0x3
	global_store_b64 v[20:21], v[26:27], off
	global_store_b64 v[20:21], v[28:29], off offset:128
	global_store_b64 v[34:35], v[30:31], off
	global_store_b64 v[34:35], v[32:33], off offset:128
	s_cbranch_execnz .LBB295_2
	s_branch .LBB295_10
.LBB295_9:                              ;   in Loop: Header=BB295_3 Depth=1
.LBB295_10:                             ;   in Loop: Header=BB295_3 Depth=1
	s_mul_u64 s[16:17], s[26:27], s[2:3]
	s_wait_xcnt 0x3
	v_lshl_add_u64 v[26:27], s[16:17], 3, v[2:3]
	s_wait_xcnt 0x2
	s_delay_alu instid0(VALU_DEP_1) | instskip(SKIP_3) | instid1(VALU_DEP_1)
	v_add_nc_u64_e32 v[28:29], v[26:27], v[6:7]
	global_load_b64 v[30:31], v[28:29], off
	s_wait_loadcnt 0x0
	v_mul_f64_e32 v[30:31], s[20:21], v[30:31]
	v_fmac_f64_e32 v[30:31], s[6:7], v[16:17]
	global_store_b64 v[20:21], v[30:31], off
	global_load_b64 v[16:17], v[28:29], off offset:128
	s_wait_loadcnt 0x0
	v_mul_f64_e32 v[16:17], s[20:21], v[16:17]
	s_delay_alu instid0(VALU_DEP_1) | instskip(SKIP_1) | instid1(VALU_DEP_1)
	v_fmac_f64_e32 v[16:17], s[6:7], v[14:15]
	v_lshl_add_u64 v[14:15], s[24:25], 3, v[26:27]
	v_add_nc_u64_e32 v[14:15], v[14:15], v[6:7]
	global_store_b64 v[20:21], v[16:17], off offset:128
	global_load_b64 v[16:17], v[14:15], off
	s_wait_loadcnt 0x0
	v_mul_f64_e32 v[16:17], s[20:21], v[16:17]
	s_delay_alu instid0(VALU_DEP_1)
	v_fmac_f64_e32 v[16:17], s[6:7], v[12:13]
	v_add_nc_u64_e32 v[12:13], v[18:19], v[6:7]
	global_store_b64 v[12:13], v[16:17], off
	global_load_b64 v[14:15], v[14:15], off offset:128
	s_wait_loadcnt 0x0
	v_mul_f64_e32 v[14:15], s[20:21], v[14:15]
	s_delay_alu instid0(VALU_DEP_1)
	v_fmac_f64_e32 v[14:15], s[6:7], v[10:11]
	global_store_b64 v[12:13], v[14:15], off offset:128
	s_branch .LBB295_2
.LBB295_11:
	s_endpgm
	.section	.rodata,"a",@progbits
	.p2align	6, 0x0
	.amdhsa_kernel _ZN12_GLOBAL__N_127rocblas_gemm_batched_kernelIdLi16ELi16ELi32ELi32ELi8ELi32ELi8ELi8ELi32ELc78ELc67EKdS1_dEEvlllT_PT11_llS4_llS2_PT12_llPT13_lli
		.amdhsa_group_segment_fixed_size 4096
		.amdhsa_private_segment_fixed_size 0
		.amdhsa_kernarg_size 140
		.amdhsa_user_sgpr_count 2
		.amdhsa_user_sgpr_dispatch_ptr 0
		.amdhsa_user_sgpr_queue_ptr 0
		.amdhsa_user_sgpr_kernarg_segment_ptr 1
		.amdhsa_user_sgpr_dispatch_id 0
		.amdhsa_user_sgpr_kernarg_preload_length 0
		.amdhsa_user_sgpr_kernarg_preload_offset 0
		.amdhsa_user_sgpr_private_segment_size 0
		.amdhsa_wavefront_size32 1
		.amdhsa_uses_dynamic_stack 0
		.amdhsa_enable_private_segment 0
		.amdhsa_system_sgpr_workgroup_id_x 1
		.amdhsa_system_sgpr_workgroup_id_y 1
		.amdhsa_system_sgpr_workgroup_id_z 1
		.amdhsa_system_sgpr_workgroup_info 0
		.amdhsa_system_vgpr_workitem_id 1
		.amdhsa_next_free_vgpr 46
		.amdhsa_next_free_sgpr 44
		.amdhsa_named_barrier_count 0
		.amdhsa_reserve_vcc 1
		.amdhsa_float_round_mode_32 0
		.amdhsa_float_round_mode_16_64 0
		.amdhsa_float_denorm_mode_32 3
		.amdhsa_float_denorm_mode_16_64 3
		.amdhsa_fp16_overflow 0
		.amdhsa_memory_ordered 1
		.amdhsa_forward_progress 1
		.amdhsa_inst_pref_size 11
		.amdhsa_round_robin_scheduling 0
		.amdhsa_exception_fp_ieee_invalid_op 0
		.amdhsa_exception_fp_denorm_src 0
		.amdhsa_exception_fp_ieee_div_zero 0
		.amdhsa_exception_fp_ieee_overflow 0
		.amdhsa_exception_fp_ieee_underflow 0
		.amdhsa_exception_fp_ieee_inexact 0
		.amdhsa_exception_int_div_zero 0
	.end_amdhsa_kernel
	.section	.text._ZN12_GLOBAL__N_127rocblas_gemm_batched_kernelIdLi16ELi16ELi32ELi32ELi8ELi32ELi8ELi8ELi32ELc78ELc67EKdS1_dEEvlllT_PT11_llS4_llS2_PT12_llPT13_lli,"axG",@progbits,_ZN12_GLOBAL__N_127rocblas_gemm_batched_kernelIdLi16ELi16ELi32ELi32ELi8ELi32ELi8ELi8ELi32ELc78ELc67EKdS1_dEEvlllT_PT11_llS4_llS2_PT12_llPT13_lli,comdat
.Lfunc_end295:
	.size	_ZN12_GLOBAL__N_127rocblas_gemm_batched_kernelIdLi16ELi16ELi32ELi32ELi8ELi32ELi8ELi8ELi32ELc78ELc67EKdS1_dEEvlllT_PT11_llS4_llS2_PT12_llPT13_lli, .Lfunc_end295-_ZN12_GLOBAL__N_127rocblas_gemm_batched_kernelIdLi16ELi16ELi32ELi32ELi8ELi32ELi8ELi8ELi32ELc78ELc67EKdS1_dEEvlllT_PT11_llS4_llS2_PT12_llPT13_lli
                                        ; -- End function
	.set _ZN12_GLOBAL__N_127rocblas_gemm_batched_kernelIdLi16ELi16ELi32ELi32ELi8ELi32ELi8ELi8ELi32ELc78ELc67EKdS1_dEEvlllT_PT11_llS4_llS2_PT12_llPT13_lli.num_vgpr, 46
	.set _ZN12_GLOBAL__N_127rocblas_gemm_batched_kernelIdLi16ELi16ELi32ELi32ELi8ELi32ELi8ELi8ELi32ELc78ELc67EKdS1_dEEvlllT_PT11_llS4_llS2_PT12_llPT13_lli.num_agpr, 0
	.set _ZN12_GLOBAL__N_127rocblas_gemm_batched_kernelIdLi16ELi16ELi32ELi32ELi8ELi32ELi8ELi8ELi32ELc78ELc67EKdS1_dEEvlllT_PT11_llS4_llS2_PT12_llPT13_lli.numbered_sgpr, 44
	.set _ZN12_GLOBAL__N_127rocblas_gemm_batched_kernelIdLi16ELi16ELi32ELi32ELi8ELi32ELi8ELi8ELi32ELc78ELc67EKdS1_dEEvlllT_PT11_llS4_llS2_PT12_llPT13_lli.num_named_barrier, 0
	.set _ZN12_GLOBAL__N_127rocblas_gemm_batched_kernelIdLi16ELi16ELi32ELi32ELi8ELi32ELi8ELi8ELi32ELc78ELc67EKdS1_dEEvlllT_PT11_llS4_llS2_PT12_llPT13_lli.private_seg_size, 0
	.set _ZN12_GLOBAL__N_127rocblas_gemm_batched_kernelIdLi16ELi16ELi32ELi32ELi8ELi32ELi8ELi8ELi32ELc78ELc67EKdS1_dEEvlllT_PT11_llS4_llS2_PT12_llPT13_lli.uses_vcc, 1
	.set _ZN12_GLOBAL__N_127rocblas_gemm_batched_kernelIdLi16ELi16ELi32ELi32ELi8ELi32ELi8ELi8ELi32ELc78ELc67EKdS1_dEEvlllT_PT11_llS4_llS2_PT12_llPT13_lli.uses_flat_scratch, 0
	.set _ZN12_GLOBAL__N_127rocblas_gemm_batched_kernelIdLi16ELi16ELi32ELi32ELi8ELi32ELi8ELi8ELi32ELc78ELc67EKdS1_dEEvlllT_PT11_llS4_llS2_PT12_llPT13_lli.has_dyn_sized_stack, 0
	.set _ZN12_GLOBAL__N_127rocblas_gemm_batched_kernelIdLi16ELi16ELi32ELi32ELi8ELi32ELi8ELi8ELi32ELc78ELc67EKdS1_dEEvlllT_PT11_llS4_llS2_PT12_llPT13_lli.has_recursion, 0
	.set _ZN12_GLOBAL__N_127rocblas_gemm_batched_kernelIdLi16ELi16ELi32ELi32ELi8ELi32ELi8ELi8ELi32ELc78ELc67EKdS1_dEEvlllT_PT11_llS4_llS2_PT12_llPT13_lli.has_indirect_call, 0
	.section	.AMDGPU.csdata,"",@progbits
; Kernel info:
; codeLenInByte = 1304
; TotalNumSgprs: 46
; NumVgprs: 46
; ScratchSize: 0
; MemoryBound: 0
; FloatMode: 240
; IeeeMode: 1
; LDSByteSize: 4096 bytes/workgroup (compile time only)
; SGPRBlocks: 0
; VGPRBlocks: 2
; NumSGPRsForWavesPerEU: 46
; NumVGPRsForWavesPerEU: 46
; NamedBarCnt: 0
; Occupancy: 16
; WaveLimiterHint : 1
; COMPUTE_PGM_RSRC2:SCRATCH_EN: 0
; COMPUTE_PGM_RSRC2:USER_SGPR: 2
; COMPUTE_PGM_RSRC2:TRAP_HANDLER: 0
; COMPUTE_PGM_RSRC2:TGID_X_EN: 1
; COMPUTE_PGM_RSRC2:TGID_Y_EN: 1
; COMPUTE_PGM_RSRC2:TGID_Z_EN: 1
; COMPUTE_PGM_RSRC2:TIDIG_COMP_CNT: 1
	.section	.text._ZN12_GLOBAL__N_127rocblas_gemm_batched_kernelIdLi16ELi16ELi32ELi32ELi8ELi32ELi8ELi8ELi32ELc84ELc67EKdS1_dEEvlllT_PT11_llS4_llS2_PT12_llPT13_lli,"axG",@progbits,_ZN12_GLOBAL__N_127rocblas_gemm_batched_kernelIdLi16ELi16ELi32ELi32ELi8ELi32ELi8ELi8ELi32ELc84ELc67EKdS1_dEEvlllT_PT11_llS4_llS2_PT12_llPT13_lli,comdat
	.globl	_ZN12_GLOBAL__N_127rocblas_gemm_batched_kernelIdLi16ELi16ELi32ELi32ELi8ELi32ELi8ELi8ELi32ELc84ELc67EKdS1_dEEvlllT_PT11_llS4_llS2_PT12_llPT13_lli ; -- Begin function _ZN12_GLOBAL__N_127rocblas_gemm_batched_kernelIdLi16ELi16ELi32ELi32ELi8ELi32ELi8ELi8ELi32ELc84ELc67EKdS1_dEEvlllT_PT11_llS4_llS2_PT12_llPT13_lli
	.p2align	8
	.type	_ZN12_GLOBAL__N_127rocblas_gemm_batched_kernelIdLi16ELi16ELi32ELi32ELi8ELi32ELi8ELi8ELi32ELc84ELc67EKdS1_dEEvlllT_PT11_llS4_llS2_PT12_llPT13_lli,@function
_ZN12_GLOBAL__N_127rocblas_gemm_batched_kernelIdLi16ELi16ELi32ELi32ELi8ELi32ELi8ELi8ELi32ELc84ELc67EKdS1_dEEvlllT_PT11_llS4_llS2_PT12_llPT13_lli: ; @_ZN12_GLOBAL__N_127rocblas_gemm_batched_kernelIdLi16ELi16ELi32ELi32ELi8ELi32ELi8ELi8ELi32ELc84ELc67EKdS1_dEEvlllT_PT11_llS4_llS2_PT12_llPT13_lli
; %bb.0:
	s_load_b32 s28, s[0:1], 0x88
	s_bfe_u32 s2, ttmp6, 0x40014
	s_lshr_b32 s3, ttmp7, 16
	s_add_co_i32 s2, s2, 1
	s_bfe_u32 s4, ttmp6, 0x40008
	s_mul_i32 s2, s3, s2
	s_getreg_b32 s29, hwreg(HW_REG_IB_STS2, 6, 4)
	s_add_co_i32 s4, s4, s2
	s_cmp_eq_u32 s29, 0
	s_cselect_b32 s2, s3, s4
	s_mov_b32 s3, 0
	s_wait_kmcnt 0x0
	s_cmp_ge_i32 s2, s28
	s_cbranch_scc1 .LBB296_11
; %bb.1:
	s_clause 0x2
	s_load_b512 s[4:19], s[0:1], 0x10
	s_load_b256 s[20:27], s[0:1], 0x70
	s_load_b256 s[36:43], s[0:1], 0x50
	v_bfe_u32 v2, v0, 10, 10
	v_and_b32_e32 v4, 0x3ff, v0
	s_wait_xcnt 0x0
	s_bfe_u32 s0, ttmp6, 0x4000c
	s_wait_kmcnt 0x0
	s_bfe_u32 s26, ttmp6, 0x40010
	s_add_co_i32 s0, s0, 1
	s_and_b32 s27, ttmp7, 0xffff
	s_add_co_i32 s26, s26, 1
	s_and_b32 s1, ttmp6, 15
	s_mul_i32 s0, ttmp9, s0
	s_mul_i32 s26, s27, s26
	s_bfe_u32 s30, ttmp6, 0x40004
	v_lshl_add_u32 v16, v2, 4, v4
	s_add_co_i32 s1, s1, s0
	s_add_co_i32 s30, s30, s26
	s_cmp_eq_u32 s29, 0
	s_delay_alu instid0(VALU_DEP_1)
	v_dual_mov_b32 v3, 0 :: v_dual_bitop2_b32 v17, 31, v16 bitop3:0x40
	s_cselect_b32 s0, ttmp9, s1
	s_cselect_b32 s29, s27, s30
	s_ashr_i32 s1, s0, 31
	s_lshl_b32 s30, s29, 5
	s_lshl_b64 s[26:27], s[0:1], 5
	s_mov_b32 s31, s3
	v_dual_mov_b32 v7, s27 :: v_dual_bitop2_b32 v6, s26, v17 bitop3:0x54
	v_add_nc_u64_e32 v[8:9], s[30:31], v[2:3]
	v_dual_mov_b32 v11, v3 :: v_dual_bitop2_b32 v18, 7, v0 bitop3:0x40
	v_dual_mov_b32 v5, v3 :: v_dual_lshrrev_b32 v10, 3, v16
	s_delay_alu instid0(VALU_DEP_4) | instskip(SKIP_2) | instid1(VALU_DEP_4)
	v_mul_u64_e32 v[6:7], s[10:11], v[6:7]
	v_cmp_eq_f64_e64 s1, s[36:37], 0
	v_mul_u64_e32 v[12:13], s[40:41], v[8:9]
	v_mad_nc_u64_u32 v[14:15], s16, v18, v[10:11]
	v_mul_u64_e32 v[0:1], s[22:23], v[8:9]
	v_dual_lshlrev_b32 v8, 3, v18 :: v_dual_lshlrev_b32 v22, 3, v4
	v_dual_lshrrev_b32 v11, 5, v16 :: v_dual_lshlrev_b32 v16, 3, v17
	v_lshl_add_u32 v23, v2, 6, 0x800
	s_delay_alu instid0(VALU_DEP_3) | instskip(SKIP_1) | instid1(VALU_DEP_4)
	v_lshl_or_b32 v10, v10, 6, v8
	v_cmp_gt_i64_e64 s0, s[4:5], 0
	v_lshlrev_b32_e32 v2, 3, v11
	v_add_nc_u64_e32 v[8:9], s[26:27], v[4:5]
	v_mad_u32 v15, s17, v18, v15
	v_lshl_or_b32 v24, v11, 8, v16
	v_add_nc_u32_e32 v25, 0x800, v10
	s_lshl_b64 s[10:11], s[22:23], 4
	s_lshl_b64 s[22:23], s[40:41], 4
	;; [unrolled: 1-line block ×3, first 2 shown]
	s_delay_alu instid0(VALU_DEP_3) | instskip(SKIP_1) | instid1(VALU_DEP_1)
	v_add_nc_u64_e32 v[10:11], s[30:31], v[14:15]
	v_cndmask_b32_e64 v14, 0, 1, s0
	v_cmp_ne_u32_e64 s0, 1, v14
	v_lshl_add_u64 v[4:5], v[6:7], 3, v[2:3]
	v_lshlrev_b64_e32 v[6:7], 3, v[8:9]
	v_lshl_add_u64 v[2:3], v[12:13], 3, s[38:39]
	v_lshl_add_u64 v[8:9], v[10:11], 3, s[14:15]
	s_lshl_b64 s[14:15], s[16:17], 6
	v_add_nc_u64_e32 v[4:5], s[8:9], v[4:5]
	s_lshl_b64 s[8:9], s[18:19], 3
	s_branch .LBB296_3
.LBB296_2:                              ;   in Loop: Header=BB296_3 Depth=1
	s_add_co_i32 s2, s2, 0x10000
	s_delay_alu instid0(SALU_CYCLE_1)
	s_cmp_lt_i32 s2, s28
	s_cbranch_scc0 .LBB296_11
.LBB296_3:                              ; =>This Loop Header: Depth=1
                                        ;     Child Loop BB296_5 Depth 2
	s_and_b32 vcc_lo, exec_lo, s0
	s_cbranch_vccnz .LBB296_6
; %bb.4:                                ;   in Loop: Header=BB296_3 Depth=1
	v_mad_nc_u64_u32 v[18:19], s8, s2, v[8:9]
	s_wait_xcnt 0x2
	v_mad_nc_u64_u32 v[20:21], s12, s2, v[4:5]
	v_mov_b64_e32 v[10:11], 0
	s_wait_xcnt 0x0
	v_mov_b64_e32 v[12:13], 0
	v_mov_b64_e32 v[14:15], 0
	v_mov_b64_e32 v[16:17], 0
	s_mov_b64 s[16:17], 0
	v_mad_u32 v19, s9, s2, v19
	v_mad_u32 v21, s13, s2, v21
.LBB296_5:                              ;   Parent Loop BB296_3 Depth=1
                                        ; =>  This Inner Loop Header: Depth=2
	global_load_b64 v[26:27], v[20:21], off
	global_load_b64 v[28:29], v[18:19], off
	s_add_nc_u64 s[16:17], s[16:17], 8
	s_wait_xcnt 0x0
	v_add_nc_u64_e32 v[18:19], s[14:15], v[18:19]
	v_cmp_lt_i64_e64 s18, s[16:17], s[4:5]
	v_add_nc_u64_e32 v[20:21], 64, v[20:21]
	s_wait_loadcnt 0x1
	ds_store_b64 v24, v[26:27]
	s_wait_loadcnt 0x0
	ds_store_b64 v25, v[28:29]
	s_wait_dscnt 0x0
	s_barrier_signal -1
	s_barrier_wait -1
	ds_load_b128 v[26:29], v23
	ds_load_2addr_b64 v[30:33], v22 offset1:16
	ds_load_b128 v[34:37], v23 offset:1024
	ds_load_b128 v[38:41], v23 offset:16
	;; [unrolled: 1-line block ×3, first 2 shown]
	s_and_b32 vcc_lo, exec_lo, s18
	s_wait_dscnt 0x3
	v_fmac_f64_e32 v[16:17], v[30:31], v[26:27]
	v_fmac_f64_e32 v[14:15], v[32:33], v[26:27]
	s_wait_dscnt 0x2
	v_fmac_f64_e32 v[12:13], v[30:31], v[34:35]
	v_fmac_f64_e32 v[10:11], v[32:33], v[34:35]
	ds_load_2addr_b64 v[30:33], v22 offset0:32 offset1:48
	s_wait_dscnt 0x0
	v_fmac_f64_e32 v[16:17], v[30:31], v[28:29]
	v_fmac_f64_e32 v[14:15], v[32:33], v[28:29]
	v_fmac_f64_e32 v[12:13], v[30:31], v[36:37]
	v_fmac_f64_e32 v[10:11], v[32:33], v[36:37]
	ds_load_2addr_b64 v[26:29], v22 offset0:64 offset1:80
	s_wait_dscnt 0x0
	v_fmac_f64_e32 v[16:17], v[26:27], v[38:39]
	v_fmac_f64_e32 v[14:15], v[28:29], v[38:39]
	;; [unrolled: 6-line block ×3, first 2 shown]
	v_fmac_f64_e32 v[12:13], v[26:27], v[44:45]
	v_fmac_f64_e32 v[10:11], v[28:29], v[44:45]
	ds_load_b128 v[26:29], v23 offset:32
	ds_load_2addr_b64 v[30:33], v22 offset0:128 offset1:144
	ds_load_b128 v[34:37], v23 offset:1056
	ds_load_b128 v[38:41], v23 offset:48
	ds_load_b128 v[42:45], v23 offset:1072
	s_wait_dscnt 0x3
	v_fmac_f64_e32 v[16:17], v[30:31], v[26:27]
	v_fmac_f64_e32 v[14:15], v[32:33], v[26:27]
	s_wait_dscnt 0x2
	v_fmac_f64_e32 v[12:13], v[30:31], v[34:35]
	v_fmac_f64_e32 v[10:11], v[32:33], v[34:35]
	ds_load_2addr_b64 v[30:33], v22 offset0:160 offset1:176
	s_wait_dscnt 0x0
	v_fmac_f64_e32 v[16:17], v[30:31], v[28:29]
	v_fmac_f64_e32 v[14:15], v[32:33], v[28:29]
	;; [unrolled: 1-line block ×4, first 2 shown]
	ds_load_2addr_b64 v[26:29], v22 offset0:192 offset1:208
	s_wait_dscnt 0x0
	v_fmac_f64_e32 v[16:17], v[26:27], v[38:39]
	v_fmac_f64_e32 v[14:15], v[28:29], v[38:39]
	;; [unrolled: 1-line block ×4, first 2 shown]
	ds_load_2addr_b64 v[26:29], v22 offset0:224 offset1:240
	s_wait_dscnt 0x0
	s_barrier_signal -1
	s_barrier_wait -1
	v_fmac_f64_e32 v[16:17], v[26:27], v[40:41]
	v_fmac_f64_e32 v[14:15], v[28:29], v[40:41]
	;; [unrolled: 1-line block ×4, first 2 shown]
	s_cbranch_vccnz .LBB296_5
	s_branch .LBB296_7
.LBB296_6:                              ;   in Loop: Header=BB296_3 Depth=1
	v_mov_b64_e32 v[16:17], 0
	s_wait_xcnt 0x0
	v_mov_b64_e32 v[14:15], 0
	v_mov_b64_e32 v[12:13], 0
	;; [unrolled: 1-line block ×3, first 2 shown]
.LBB296_7:                              ;   in Loop: Header=BB296_3 Depth=1
	s_mul_u64 s[16:17], s[24:25], s[2:3]
	s_and_not1_b32 vcc_lo, exec_lo, s1
	s_lshl_b64 s[16:17], s[16:17], 3
	s_delay_alu instid0(SALU_CYCLE_1) | instskip(NEXT) | instid1(SALU_CYCLE_1)
	s_add_nc_u64 s[16:17], s[20:21], s[16:17]
	v_lshl_add_u64 v[18:19], v[0:1], 3, s[16:17]
	s_delay_alu instid0(VALU_DEP_1)
	v_add_nc_u64_e32 v[20:21], v[18:19], v[6:7]
	v_lshl_add_u64 v[18:19], s[10:11], 3, v[18:19]
	s_cbranch_vccnz .LBB296_9
; %bb.8:                                ;   in Loop: Header=BB296_3 Depth=1
	v_mul_f64_e32 v[26:27], s[6:7], v[16:17]
	v_mul_f64_e32 v[28:29], s[6:7], v[14:15]
	v_mul_f64_e32 v[30:31], s[6:7], v[12:13]
	v_mul_f64_e32 v[32:33], s[6:7], v[10:11]
	v_add_nc_u64_e32 v[34:35], v[18:19], v[6:7]
	s_clause 0x3
	global_store_b64 v[20:21], v[26:27], off
	global_store_b64 v[20:21], v[28:29], off offset:128
	global_store_b64 v[34:35], v[30:31], off
	global_store_b64 v[34:35], v[32:33], off offset:128
	s_cbranch_execnz .LBB296_2
	s_branch .LBB296_10
.LBB296_9:                              ;   in Loop: Header=BB296_3 Depth=1
.LBB296_10:                             ;   in Loop: Header=BB296_3 Depth=1
	s_mul_u64 s[16:17], s[42:43], s[2:3]
	s_wait_xcnt 0x3
	v_lshl_add_u64 v[26:27], s[16:17], 3, v[2:3]
	s_wait_xcnt 0x2
	s_delay_alu instid0(VALU_DEP_1) | instskip(SKIP_3) | instid1(VALU_DEP_1)
	v_add_nc_u64_e32 v[28:29], v[26:27], v[6:7]
	global_load_b64 v[30:31], v[28:29], off
	s_wait_loadcnt 0x0
	v_mul_f64_e32 v[30:31], s[36:37], v[30:31]
	v_fmac_f64_e32 v[30:31], s[6:7], v[16:17]
	global_store_b64 v[20:21], v[30:31], off
	global_load_b64 v[16:17], v[28:29], off offset:128
	s_wait_loadcnt 0x0
	v_mul_f64_e32 v[16:17], s[36:37], v[16:17]
	s_delay_alu instid0(VALU_DEP_1) | instskip(SKIP_1) | instid1(VALU_DEP_1)
	v_fmac_f64_e32 v[16:17], s[6:7], v[14:15]
	v_lshl_add_u64 v[14:15], s[22:23], 3, v[26:27]
	v_add_nc_u64_e32 v[14:15], v[14:15], v[6:7]
	global_store_b64 v[20:21], v[16:17], off offset:128
	global_load_b64 v[16:17], v[14:15], off
	s_wait_loadcnt 0x0
	v_mul_f64_e32 v[16:17], s[36:37], v[16:17]
	s_delay_alu instid0(VALU_DEP_1)
	v_fmac_f64_e32 v[16:17], s[6:7], v[12:13]
	v_add_nc_u64_e32 v[12:13], v[18:19], v[6:7]
	global_store_b64 v[12:13], v[16:17], off
	global_load_b64 v[14:15], v[14:15], off offset:128
	s_wait_loadcnt 0x0
	v_mul_f64_e32 v[14:15], s[36:37], v[14:15]
	s_delay_alu instid0(VALU_DEP_1)
	v_fmac_f64_e32 v[14:15], s[6:7], v[10:11]
	global_store_b64 v[12:13], v[14:15], off offset:128
	s_branch .LBB296_2
.LBB296_11:
	s_endpgm
	.section	.rodata,"a",@progbits
	.p2align	6, 0x0
	.amdhsa_kernel _ZN12_GLOBAL__N_127rocblas_gemm_batched_kernelIdLi16ELi16ELi32ELi32ELi8ELi32ELi8ELi8ELi32ELc84ELc67EKdS1_dEEvlllT_PT11_llS4_llS2_PT12_llPT13_lli
		.amdhsa_group_segment_fixed_size 4096
		.amdhsa_private_segment_fixed_size 0
		.amdhsa_kernarg_size 140
		.amdhsa_user_sgpr_count 2
		.amdhsa_user_sgpr_dispatch_ptr 0
		.amdhsa_user_sgpr_queue_ptr 0
		.amdhsa_user_sgpr_kernarg_segment_ptr 1
		.amdhsa_user_sgpr_dispatch_id 0
		.amdhsa_user_sgpr_kernarg_preload_length 0
		.amdhsa_user_sgpr_kernarg_preload_offset 0
		.amdhsa_user_sgpr_private_segment_size 0
		.amdhsa_wavefront_size32 1
		.amdhsa_uses_dynamic_stack 0
		.amdhsa_enable_private_segment 0
		.amdhsa_system_sgpr_workgroup_id_x 1
		.amdhsa_system_sgpr_workgroup_id_y 1
		.amdhsa_system_sgpr_workgroup_id_z 1
		.amdhsa_system_sgpr_workgroup_info 0
		.amdhsa_system_vgpr_workitem_id 1
		.amdhsa_next_free_vgpr 46
		.amdhsa_next_free_sgpr 44
		.amdhsa_named_barrier_count 0
		.amdhsa_reserve_vcc 1
		.amdhsa_float_round_mode_32 0
		.amdhsa_float_round_mode_16_64 0
		.amdhsa_float_denorm_mode_32 3
		.amdhsa_float_denorm_mode_16_64 3
		.amdhsa_fp16_overflow 0
		.amdhsa_memory_ordered 1
		.amdhsa_forward_progress 1
		.amdhsa_inst_pref_size 11
		.amdhsa_round_robin_scheduling 0
		.amdhsa_exception_fp_ieee_invalid_op 0
		.amdhsa_exception_fp_denorm_src 0
		.amdhsa_exception_fp_ieee_div_zero 0
		.amdhsa_exception_fp_ieee_overflow 0
		.amdhsa_exception_fp_ieee_underflow 0
		.amdhsa_exception_fp_ieee_inexact 0
		.amdhsa_exception_int_div_zero 0
	.end_amdhsa_kernel
	.section	.text._ZN12_GLOBAL__N_127rocblas_gemm_batched_kernelIdLi16ELi16ELi32ELi32ELi8ELi32ELi8ELi8ELi32ELc84ELc67EKdS1_dEEvlllT_PT11_llS4_llS2_PT12_llPT13_lli,"axG",@progbits,_ZN12_GLOBAL__N_127rocblas_gemm_batched_kernelIdLi16ELi16ELi32ELi32ELi8ELi32ELi8ELi8ELi32ELc84ELc67EKdS1_dEEvlllT_PT11_llS4_llS2_PT12_llPT13_lli,comdat
.Lfunc_end296:
	.size	_ZN12_GLOBAL__N_127rocblas_gemm_batched_kernelIdLi16ELi16ELi32ELi32ELi8ELi32ELi8ELi8ELi32ELc84ELc67EKdS1_dEEvlllT_PT11_llS4_llS2_PT12_llPT13_lli, .Lfunc_end296-_ZN12_GLOBAL__N_127rocblas_gemm_batched_kernelIdLi16ELi16ELi32ELi32ELi8ELi32ELi8ELi8ELi32ELc84ELc67EKdS1_dEEvlllT_PT11_llS4_llS2_PT12_llPT13_lli
                                        ; -- End function
	.set _ZN12_GLOBAL__N_127rocblas_gemm_batched_kernelIdLi16ELi16ELi32ELi32ELi8ELi32ELi8ELi8ELi32ELc84ELc67EKdS1_dEEvlllT_PT11_llS4_llS2_PT12_llPT13_lli.num_vgpr, 46
	.set _ZN12_GLOBAL__N_127rocblas_gemm_batched_kernelIdLi16ELi16ELi32ELi32ELi8ELi32ELi8ELi8ELi32ELc84ELc67EKdS1_dEEvlllT_PT11_llS4_llS2_PT12_llPT13_lli.num_agpr, 0
	.set _ZN12_GLOBAL__N_127rocblas_gemm_batched_kernelIdLi16ELi16ELi32ELi32ELi8ELi32ELi8ELi8ELi32ELc84ELc67EKdS1_dEEvlllT_PT11_llS4_llS2_PT12_llPT13_lli.numbered_sgpr, 44
	.set _ZN12_GLOBAL__N_127rocblas_gemm_batched_kernelIdLi16ELi16ELi32ELi32ELi8ELi32ELi8ELi8ELi32ELc84ELc67EKdS1_dEEvlllT_PT11_llS4_llS2_PT12_llPT13_lli.num_named_barrier, 0
	.set _ZN12_GLOBAL__N_127rocblas_gemm_batched_kernelIdLi16ELi16ELi32ELi32ELi8ELi32ELi8ELi8ELi32ELc84ELc67EKdS1_dEEvlllT_PT11_llS4_llS2_PT12_llPT13_lli.private_seg_size, 0
	.set _ZN12_GLOBAL__N_127rocblas_gemm_batched_kernelIdLi16ELi16ELi32ELi32ELi8ELi32ELi8ELi8ELi32ELc84ELc67EKdS1_dEEvlllT_PT11_llS4_llS2_PT12_llPT13_lli.uses_vcc, 1
	.set _ZN12_GLOBAL__N_127rocblas_gemm_batched_kernelIdLi16ELi16ELi32ELi32ELi8ELi32ELi8ELi8ELi32ELc84ELc67EKdS1_dEEvlllT_PT11_llS4_llS2_PT12_llPT13_lli.uses_flat_scratch, 0
	.set _ZN12_GLOBAL__N_127rocblas_gemm_batched_kernelIdLi16ELi16ELi32ELi32ELi8ELi32ELi8ELi8ELi32ELc84ELc67EKdS1_dEEvlllT_PT11_llS4_llS2_PT12_llPT13_lli.has_dyn_sized_stack, 0
	.set _ZN12_GLOBAL__N_127rocblas_gemm_batched_kernelIdLi16ELi16ELi32ELi32ELi8ELi32ELi8ELi8ELi32ELc84ELc67EKdS1_dEEvlllT_PT11_llS4_llS2_PT12_llPT13_lli.has_recursion, 0
	.set _ZN12_GLOBAL__N_127rocblas_gemm_batched_kernelIdLi16ELi16ELi32ELi32ELi8ELi32ELi8ELi8ELi32ELc84ELc67EKdS1_dEEvlllT_PT11_llS4_llS2_PT12_llPT13_lli.has_indirect_call, 0
	.section	.AMDGPU.csdata,"",@progbits
; Kernel info:
; codeLenInByte = 1312
; TotalNumSgprs: 46
; NumVgprs: 46
; ScratchSize: 0
; MemoryBound: 0
; FloatMode: 240
; IeeeMode: 1
; LDSByteSize: 4096 bytes/workgroup (compile time only)
; SGPRBlocks: 0
; VGPRBlocks: 2
; NumSGPRsForWavesPerEU: 46
; NumVGPRsForWavesPerEU: 46
; NamedBarCnt: 0
; Occupancy: 16
; WaveLimiterHint : 1
; COMPUTE_PGM_RSRC2:SCRATCH_EN: 0
; COMPUTE_PGM_RSRC2:USER_SGPR: 2
; COMPUTE_PGM_RSRC2:TRAP_HANDLER: 0
; COMPUTE_PGM_RSRC2:TGID_X_EN: 1
; COMPUTE_PGM_RSRC2:TGID_Y_EN: 1
; COMPUTE_PGM_RSRC2:TGID_Z_EN: 1
; COMPUTE_PGM_RSRC2:TIDIG_COMP_CNT: 1
	.section	.text._ZN12_GLOBAL__N_135rocblas_gemm_batched_general_kernelIdLi16ELi16ELi32ELi32ELi8ELi32ELi8ELi8ELi32ELc78ELc78EKdS1_dEEvlllT_PT11_llS4_llS2_PT12_llPT13_lli,"axG",@progbits,_ZN12_GLOBAL__N_135rocblas_gemm_batched_general_kernelIdLi16ELi16ELi32ELi32ELi8ELi32ELi8ELi8ELi32ELc78ELc78EKdS1_dEEvlllT_PT11_llS4_llS2_PT12_llPT13_lli,comdat
	.globl	_ZN12_GLOBAL__N_135rocblas_gemm_batched_general_kernelIdLi16ELi16ELi32ELi32ELi8ELi32ELi8ELi8ELi32ELc78ELc78EKdS1_dEEvlllT_PT11_llS4_llS2_PT12_llPT13_lli ; -- Begin function _ZN12_GLOBAL__N_135rocblas_gemm_batched_general_kernelIdLi16ELi16ELi32ELi32ELi8ELi32ELi8ELi8ELi32ELc78ELc78EKdS1_dEEvlllT_PT11_llS4_llS2_PT12_llPT13_lli
	.p2align	8
	.type	_ZN12_GLOBAL__N_135rocblas_gemm_batched_general_kernelIdLi16ELi16ELi32ELi32ELi8ELi32ELi8ELi8ELi32ELc78ELc78EKdS1_dEEvlllT_PT11_llS4_llS2_PT12_llPT13_lli,@function
_ZN12_GLOBAL__N_135rocblas_gemm_batched_general_kernelIdLi16ELi16ELi32ELi32ELi8ELi32ELi8ELi8ELi32ELc78ELc78EKdS1_dEEvlllT_PT11_llS4_llS2_PT12_llPT13_lli: ; @_ZN12_GLOBAL__N_135rocblas_gemm_batched_general_kernelIdLi16ELi16ELi32ELi32ELi8ELi32ELi8ELi8ELi32ELc78ELc78EKdS1_dEEvlllT_PT11_llS4_llS2_PT12_llPT13_lli
; %bb.0:
	s_load_b32 s26, s[0:1], 0x88
	s_bfe_u32 s2, ttmp6, 0x40014
	s_lshr_b32 s3, ttmp7, 16
	s_add_co_i32 s2, s2, 1
	s_bfe_u32 s5, ttmp6, 0x40008
	s_mul_i32 s4, s3, s2
	s_getreg_b32 s2, hwreg(HW_REG_IB_STS2, 6, 4)
	s_add_co_i32 s5, s5, s4
	s_cmp_eq_u32 s2, 0
	s_mov_b32 s21, 0
	s_cselect_b32 s20, s3, s5
	s_wait_kmcnt 0x0
	s_cmp_ge_i32 s20, s26
	s_cbranch_scc1 .LBB297_35
; %bb.1:
	s_load_b512 s[4:19], s[0:1], 0x0
	v_bfe_u32 v8, v0, 10, 10
	v_and_b32_e32 v10, 0x3ff, v0
	s_load_b512 s[36:51], s[0:1], 0x40
	s_bfe_u32 s22, ttmp6, 0x4000c
	s_bfe_u32 s23, ttmp6, 0x40010
	s_add_co_i32 s22, s22, 1
	s_and_b32 s24, ttmp7, 0xffff
	s_add_co_i32 s23, s23, 1
	v_lshl_add_u32 v1, v8, 4, v10
	v_mov_b32_e32 v9, 0
	s_and_b32 s3, ttmp6, 15
	s_mul_i32 s22, ttmp9, s22
	s_mul_i32 s23, s24, s23
	s_bfe_u32 s25, ttmp6, 0x40004
	s_add_co_i32 s3, s3, s22
	s_add_co_i32 s25, s25, s23
	s_cmp_eq_u32 s2, 0
	v_dual_mov_b32 v3, v9 :: v_dual_lshrrev_b32 v2, 5, v1
	v_dual_mov_b32 v7, v9 :: v_dual_lshrrev_b32 v6, 3, v1
	v_and_b32_e32 v4, 31, v1
	s_cselect_b32 s22, s24, s25
	s_cselect_b32 s2, ttmp9, s3
	s_lshl_b32 s22, s22, 5
	s_mov_b32 s23, s21
	s_wait_kmcnt 0x0
	v_mul_u64_e32 v[14:15], s[14:15], v[2:3]
	v_add_nc_u64_e32 v[12:13], s[22:23], v[6:7]
	v_add_nc_u64_e32 v[16:17], s[22:23], v[8:9]
	v_dual_mov_b32 v11, v9 :: v_dual_bitop2_b32 v0, 7, v0 bitop3:0x40
	s_ashr_i32 s3, s2, 31
	s_load_b64 s[22:23], s[0:1], 0x80
	s_wait_xcnt 0x0
	s_lshl_b64 s[0:1], s[2:3], 5
	v_mul_u64_e32 v[18:19], s[36:37], v[12:13]
	v_mul_u64_e32 v[20:21], s[44:45], v[16:17]
	v_dual_mov_b32 v23, s1 :: v_dual_bitop2_b32 v22, s0, v4 bitop3:0x54
	v_dual_lshlrev_b32 v26, 3, v4 :: v_dual_lshlrev_b32 v34, 3, v10
	v_cmp_eq_f64_e64 s27, s[40:41], 0
	v_mul_u64_e32 v[4:5], s[50:51], v[16:17]
	v_dual_mov_b32 v1, v9 :: v_dual_lshlrev_b32 v24, 3, v0
	s_lshl_b64 s[2:3], s[2:3], 8
	v_mov_b32_e32 v27, v9
	v_cmp_gt_i64_e64 s28, s[8:9], 0
	s_delay_alu instid0(VALU_DEP_3)
	v_lshl_or_b32 v25, v6, 6, v24
	v_add_nc_u64_e32 v[6:7], s[0:1], v[10:11]
	v_cmp_gt_i64_e64 s1, s[6:7], v[12:13]
	v_add_nc_u64_e32 v[12:13], 16, v[16:17]
	v_cmp_gt_i64_e64 s0, s[4:5], v[22:23]
	v_add_nc_u32_e32 v33, 0x800, v25
	v_mov_b32_e32 v25, v9
	v_lshl_or_b32 v32, v2, 8, v26
	v_add_nc_u64_e32 v[10:11], 16, v[6:7]
	v_lshl_add_u32 v35, v8, 6, 0x800
	s_lshl_b64 s[24:25], s[44:45], 4
	v_lshl_add_u64 v[14:15], v[14:15], 3, s[2:3]
	v_cmp_gt_i64_e64 s3, s[4:5], v[6:7]
	v_cmp_gt_i64_e64 s2, s[6:7], v[16:17]
	s_lshl_b64 s[16:17], s[16:17], 3
	v_cmp_gt_i64_e64 s4, s[4:5], v[10:11]
	v_add_nc_u64_e32 v[14:15], v[14:15], v[26:27]
	v_cmp_gt_i64_e64 s5, s[6:7], v[12:13]
	s_lshl_b64 s[6:7], s[50:51], 4
	v_lshl_add_u64 v[10:11], v[18:19], 3, v[24:25]
	v_lshl_add_u64 v[8:9], v[20:21], 3, s[42:43]
	s_lshl_b64 s[14:15], s[14:15], 6
	v_add_nc_u64_e32 v[12:13], s[12:13], v[14:15]
	s_delay_alu instid0(VALU_DEP_3)
	v_add_nc_u64_e32 v[10:11], s[18:19], v[10:11]
	s_lshl_b64 s[12:13], s[38:39], 3
	s_branch .LBB297_4
.LBB297_2:                              ;   in Loop: Header=BB297_4 Depth=1
	s_wait_xcnt 0x0
	s_or_b32 exec_lo, exec_lo, s29
.LBB297_3:                              ;   in Loop: Header=BB297_4 Depth=1
	s_add_co_i32 s20, s20, 0x10000
	s_delay_alu instid0(SALU_CYCLE_1)
	s_cmp_lt_i32 s20, s26
	s_cbranch_scc0 .LBB297_35
.LBB297_4:                              ; =>This Loop Header: Depth=1
                                        ;     Child Loop BB297_7 Depth 2
	s_and_not1_b32 vcc_lo, exec_lo, s28
	s_cbranch_vccnz .LBB297_11
; %bb.5:                                ;   in Loop: Header=BB297_4 Depth=1
	s_delay_alu instid0(VALU_DEP_1)
	v_mad_nc_u64_u32 v[22:23], s12, s20, v[10:11]
	v_mad_nc_u64_u32 v[24:25], s16, s20, v[12:13]
	v_mov_b64_e32 v[14:15], 0
	v_mov_b64_e32 v[16:17], 0
	;; [unrolled: 1-line block ×4, first 2 shown]
	s_mov_b64 s[18:19], 0
	v_mad_u32 v23, s13, s20, v23
	v_mad_u32 v25, s17, s20, v25
	s_branch .LBB297_7
.LBB297_6:                              ;   in Loop: Header=BB297_7 Depth=2
	s_wait_xcnt 0x0
	s_or_b32 exec_lo, exec_lo, s29
	s_wait_loadcnt 0x0
	ds_store_b64 v33, v[28:29]
	s_wait_dscnt 0x0
	s_barrier_signal -1
	s_barrier_wait -1
	ds_load_b128 v[26:29], v35
	ds_load_2addr_b64 v[36:39], v34 offset1:16
	ds_load_b128 v[40:43], v35 offset:1024
	ds_load_b128 v[44:47], v35 offset:16
	;; [unrolled: 1-line block ×3, first 2 shown]
	s_add_nc_u64 s[18:19], s[18:19], 8
	v_add_nc_u64_e32 v[22:23], 64, v[22:23]
	v_cmp_lt_i64_e64 s29, s[18:19], s[8:9]
	v_add_nc_u64_e32 v[24:25], s[14:15], v[24:25]
	s_and_b32 vcc_lo, exec_lo, s29
	s_wait_dscnt 0x3
	v_fmac_f64_e32 v[20:21], v[36:37], v[26:27]
	v_fmac_f64_e32 v[18:19], v[38:39], v[26:27]
	s_wait_dscnt 0x2
	v_fmac_f64_e32 v[16:17], v[36:37], v[40:41]
	v_fmac_f64_e32 v[14:15], v[38:39], v[40:41]
	ds_load_2addr_b64 v[36:39], v34 offset0:32 offset1:48
	s_wait_dscnt 0x0
	v_fmac_f64_e32 v[20:21], v[36:37], v[28:29]
	v_fmac_f64_e32 v[18:19], v[38:39], v[28:29]
	v_fmac_f64_e32 v[16:17], v[36:37], v[42:43]
	v_fmac_f64_e32 v[14:15], v[38:39], v[42:43]
	ds_load_2addr_b64 v[26:29], v34 offset0:64 offset1:80
	s_wait_dscnt 0x0
	v_fmac_f64_e32 v[20:21], v[26:27], v[44:45]
	v_fmac_f64_e32 v[18:19], v[28:29], v[44:45]
	;; [unrolled: 6-line block ×3, first 2 shown]
	v_fmac_f64_e32 v[16:17], v[26:27], v[50:51]
	v_fmac_f64_e32 v[14:15], v[28:29], v[50:51]
	ds_load_b128 v[26:29], v35 offset:32
	ds_load_2addr_b64 v[36:39], v34 offset0:128 offset1:144
	ds_load_b128 v[40:43], v35 offset:1056
	ds_load_b128 v[44:47], v35 offset:48
	;; [unrolled: 1-line block ×3, first 2 shown]
	s_wait_dscnt 0x3
	v_fmac_f64_e32 v[20:21], v[36:37], v[26:27]
	v_fmac_f64_e32 v[18:19], v[38:39], v[26:27]
	s_wait_dscnt 0x2
	v_fmac_f64_e32 v[16:17], v[36:37], v[40:41]
	v_fmac_f64_e32 v[14:15], v[38:39], v[40:41]
	ds_load_2addr_b64 v[36:39], v34 offset0:160 offset1:176
	s_wait_dscnt 0x0
	v_fmac_f64_e32 v[20:21], v[36:37], v[28:29]
	v_fmac_f64_e32 v[18:19], v[38:39], v[28:29]
	;; [unrolled: 1-line block ×4, first 2 shown]
	ds_load_2addr_b64 v[26:29], v34 offset0:192 offset1:208
	s_wait_dscnt 0x0
	v_fmac_f64_e32 v[20:21], v[26:27], v[44:45]
	v_fmac_f64_e32 v[18:19], v[28:29], v[44:45]
	;; [unrolled: 1-line block ×4, first 2 shown]
	ds_load_2addr_b64 v[26:29], v34 offset0:224 offset1:240
	s_wait_dscnt 0x0
	s_barrier_signal -1
	s_barrier_wait -1
	v_fmac_f64_e32 v[20:21], v[26:27], v[46:47]
	v_fmac_f64_e32 v[18:19], v[28:29], v[46:47]
	;; [unrolled: 1-line block ×4, first 2 shown]
	s_cbranch_vccz .LBB297_12
.LBB297_7:                              ;   Parent Loop BB297_4 Depth=1
                                        ; =>  This Inner Loop Header: Depth=2
	v_add_nc_u64_e32 v[26:27], s[18:19], v[2:3]
	s_delay_alu instid0(VALU_DEP_1) | instskip(SKIP_2) | instid1(SALU_CYCLE_1)
	v_cmp_gt_i64_e32 vcc_lo, s[8:9], v[26:27]
	v_mov_b64_e32 v[26:27], 0
	s_and_b32 s30, s0, vcc_lo
	s_and_saveexec_b32 s29, s30
	s_cbranch_execz .LBB297_9
; %bb.8:                                ;   in Loop: Header=BB297_7 Depth=2
	global_load_b64 v[26:27], v[24:25], off
.LBB297_9:                              ;   in Loop: Header=BB297_7 Depth=2
	s_wait_xcnt 0x0
	s_or_b32 exec_lo, exec_lo, s29
	v_add_nc_u64_e32 v[28:29], s[18:19], v[0:1]
	s_wait_loadcnt 0x0
	ds_store_b64 v32, v[26:27]
	v_cmp_gt_i64_e32 vcc_lo, s[8:9], v[28:29]
	v_mov_b64_e32 v[28:29], 0
	s_and_b32 s30, vcc_lo, s1
	s_delay_alu instid0(SALU_CYCLE_1)
	s_and_saveexec_b32 s29, s30
	s_cbranch_execz .LBB297_6
; %bb.10:                               ;   in Loop: Header=BB297_7 Depth=2
	global_load_b64 v[28:29], v[22:23], off
	s_branch .LBB297_6
.LBB297_11:                             ;   in Loop: Header=BB297_4 Depth=1
	v_mov_b64_e32 v[20:21], 0
	v_mov_b64_e32 v[18:19], 0
	;; [unrolled: 1-line block ×4, first 2 shown]
.LBB297_12:                             ;   in Loop: Header=BB297_4 Depth=1
	s_wait_kmcnt 0x0
	s_mul_u64 s[18:19], s[22:23], s[20:21]
	s_and_not1_b32 vcc_lo, exec_lo, s27
	s_lshl_b64 s[18:19], s[18:19], 3
	s_delay_alu instid0(SALU_CYCLE_1)
	s_add_nc_u64 s[18:19], s[48:49], s[18:19]
	s_cbranch_vccnz .LBB297_17
; %bb.13:                               ;   in Loop: Header=BB297_4 Depth=1
	s_and_saveexec_b32 s29, s2
	s_cbranch_execz .LBB297_24
; %bb.14:                               ;   in Loop: Header=BB297_4 Depth=1
	v_lshl_add_u64 v[22:23], v[4:5], 3, s[18:19]
	s_delay_alu instid0(VALU_DEP_1)
	v_lshl_add_u64 v[24:25], v[6:7], 3, v[22:23]
	s_and_saveexec_b32 s30, s3
	s_cbranch_execnz .LBB297_18
; %bb.15:                               ;   in Loop: Header=BB297_4 Depth=1
	s_or_b32 exec_lo, exec_lo, s30
	s_and_saveexec_b32 s30, s4
	s_cbranch_execnz .LBB297_19
.LBB297_16:                             ;   in Loop: Header=BB297_4 Depth=1
	s_or_b32 exec_lo, exec_lo, s30
	s_delay_alu instid0(SALU_CYCLE_1)
	s_and_b32 exec_lo, exec_lo, s5
	s_cbranch_execnz .LBB297_20
	s_branch .LBB297_24
.LBB297_17:                             ;   in Loop: Header=BB297_4 Depth=1
	s_branch .LBB297_25
.LBB297_18:                             ;   in Loop: Header=BB297_4 Depth=1
	v_mul_f64_e32 v[26:27], s[10:11], v[20:21]
	global_store_b64 v[24:25], v[26:27], off
	s_wait_xcnt 0x0
	s_or_b32 exec_lo, exec_lo, s30
	s_and_saveexec_b32 s30, s4
	s_cbranch_execz .LBB297_16
.LBB297_19:                             ;   in Loop: Header=BB297_4 Depth=1
	v_mul_f64_e32 v[26:27], s[10:11], v[18:19]
	global_store_b64 v[24:25], v[26:27], off offset:128
	s_wait_xcnt 0x0
	s_or_b32 exec_lo, exec_lo, s30
	s_delay_alu instid0(SALU_CYCLE_1)
	s_and_b32 exec_lo, exec_lo, s5
	s_cbranch_execz .LBB297_24
.LBB297_20:                             ;   in Loop: Header=BB297_4 Depth=1
	v_lshl_add_u64 v[22:23], s[6:7], 3, v[22:23]
	s_delay_alu instid0(VALU_DEP_1)
	v_lshl_add_u64 v[22:23], v[6:7], 3, v[22:23]
	s_and_saveexec_b32 s30, s3
	s_cbranch_execz .LBB297_22
; %bb.21:                               ;   in Loop: Header=BB297_4 Depth=1
	v_mul_f64_e32 v[24:25], s[10:11], v[16:17]
	global_store_b64 v[22:23], v[24:25], off
.LBB297_22:                             ;   in Loop: Header=BB297_4 Depth=1
	s_wait_xcnt 0x0
	s_or_b32 exec_lo, exec_lo, s30
	s_delay_alu instid0(SALU_CYCLE_1)
	s_and_b32 exec_lo, exec_lo, s4
	s_cbranch_execz .LBB297_24
; %bb.23:                               ;   in Loop: Header=BB297_4 Depth=1
	v_mul_f64_e32 v[24:25], s[10:11], v[14:15]
	global_store_b64 v[22:23], v[24:25], off offset:128
.LBB297_24:                             ;   in Loop: Header=BB297_4 Depth=1
	s_wait_xcnt 0x0
	s_or_b32 exec_lo, exec_lo, s29
	s_cbranch_execnz .LBB297_3
.LBB297_25:                             ;   in Loop: Header=BB297_4 Depth=1
	s_and_saveexec_b32 s29, s2
	s_cbranch_execz .LBB297_2
; %bb.26:                               ;   in Loop: Header=BB297_4 Depth=1
	s_mul_u64 s[30:31], s[46:47], s[20:21]
	v_lshlrev_b64_e32 v[22:23], 3, v[6:7]
	v_lshl_add_u64 v[24:25], s[30:31], 3, v[8:9]
	v_lshl_add_u64 v[26:27], v[4:5], 3, s[18:19]
	s_delay_alu instid0(VALU_DEP_2) | instskip(NEXT) | instid1(VALU_DEP_2)
	v_add_nc_u64_e32 v[30:31], v[24:25], v[22:23]
	v_add_nc_u64_e32 v[28:29], v[26:27], v[22:23]
	s_and_saveexec_b32 s18, s3
	s_cbranch_execnz .LBB297_29
; %bb.27:                               ;   in Loop: Header=BB297_4 Depth=1
	s_or_b32 exec_lo, exec_lo, s18
	s_and_saveexec_b32 s18, s4
	s_cbranch_execnz .LBB297_30
.LBB297_28:                             ;   in Loop: Header=BB297_4 Depth=1
	s_or_b32 exec_lo, exec_lo, s18
	s_delay_alu instid0(SALU_CYCLE_1)
	s_and_b32 exec_lo, exec_lo, s5
	s_cbranch_execz .LBB297_2
	s_branch .LBB297_31
.LBB297_29:                             ;   in Loop: Header=BB297_4 Depth=1
	global_load_b64 v[36:37], v[30:31], off
	s_wait_loadcnt 0x0
	v_mul_f64_e32 v[36:37], s[40:41], v[36:37]
	s_delay_alu instid0(VALU_DEP_1)
	v_fmac_f64_e32 v[36:37], s[10:11], v[20:21]
	global_store_b64 v[28:29], v[36:37], off
	s_wait_xcnt 0x0
	s_or_b32 exec_lo, exec_lo, s18
	s_and_saveexec_b32 s18, s4
	s_cbranch_execz .LBB297_28
.LBB297_30:                             ;   in Loop: Header=BB297_4 Depth=1
	global_load_b64 v[20:21], v[30:31], off offset:128
	s_wait_loadcnt 0x0
	v_mul_f64_e32 v[20:21], s[40:41], v[20:21]
	s_delay_alu instid0(VALU_DEP_1) | instskip(SKIP_3) | instid1(SALU_CYCLE_1)
	v_fmac_f64_e32 v[20:21], s[10:11], v[18:19]
	global_store_b64 v[28:29], v[20:21], off offset:128
	s_wait_xcnt 0x0
	s_or_b32 exec_lo, exec_lo, s18
	s_and_b32 exec_lo, exec_lo, s5
	s_cbranch_execz .LBB297_2
.LBB297_31:                             ;   in Loop: Header=BB297_4 Depth=1
	v_lshl_add_u64 v[18:19], s[24:25], 3, v[24:25]
	v_lshl_add_u64 v[24:25], s[6:7], 3, v[26:27]
	s_delay_alu instid0(VALU_DEP_2) | instskip(NEXT) | instid1(VALU_DEP_2)
	v_add_nc_u64_e32 v[20:21], v[18:19], v[22:23]
	v_add_nc_u64_e32 v[18:19], v[24:25], v[22:23]
	s_and_saveexec_b32 s18, s3
	s_cbranch_execz .LBB297_33
; %bb.32:                               ;   in Loop: Header=BB297_4 Depth=1
	global_load_b64 v[22:23], v[20:21], off
	s_wait_loadcnt 0x0
	v_mul_f64_e32 v[22:23], s[40:41], v[22:23]
	s_delay_alu instid0(VALU_DEP_1)
	v_fmac_f64_e32 v[22:23], s[10:11], v[16:17]
	global_store_b64 v[18:19], v[22:23], off
.LBB297_33:                             ;   in Loop: Header=BB297_4 Depth=1
	s_wait_xcnt 0x0
	s_or_b32 exec_lo, exec_lo, s18
	s_delay_alu instid0(SALU_CYCLE_1)
	s_and_b32 exec_lo, exec_lo, s4
	s_cbranch_execz .LBB297_2
; %bb.34:                               ;   in Loop: Header=BB297_4 Depth=1
	global_load_b64 v[16:17], v[20:21], off offset:128
	s_wait_loadcnt 0x0
	v_mul_f64_e32 v[16:17], s[40:41], v[16:17]
	s_delay_alu instid0(VALU_DEP_1)
	v_fmac_f64_e32 v[16:17], s[10:11], v[14:15]
	global_store_b64 v[18:19], v[16:17], off offset:128
	s_branch .LBB297_2
.LBB297_35:
	s_endpgm
	.section	.rodata,"a",@progbits
	.p2align	6, 0x0
	.amdhsa_kernel _ZN12_GLOBAL__N_135rocblas_gemm_batched_general_kernelIdLi16ELi16ELi32ELi32ELi8ELi32ELi8ELi8ELi32ELc78ELc78EKdS1_dEEvlllT_PT11_llS4_llS2_PT12_llPT13_lli
		.amdhsa_group_segment_fixed_size 4096
		.amdhsa_private_segment_fixed_size 0
		.amdhsa_kernarg_size 140
		.amdhsa_user_sgpr_count 2
		.amdhsa_user_sgpr_dispatch_ptr 0
		.amdhsa_user_sgpr_queue_ptr 0
		.amdhsa_user_sgpr_kernarg_segment_ptr 1
		.amdhsa_user_sgpr_dispatch_id 0
		.amdhsa_user_sgpr_kernarg_preload_length 0
		.amdhsa_user_sgpr_kernarg_preload_offset 0
		.amdhsa_user_sgpr_private_segment_size 0
		.amdhsa_wavefront_size32 1
		.amdhsa_uses_dynamic_stack 0
		.amdhsa_enable_private_segment 0
		.amdhsa_system_sgpr_workgroup_id_x 1
		.amdhsa_system_sgpr_workgroup_id_y 1
		.amdhsa_system_sgpr_workgroup_id_z 1
		.amdhsa_system_sgpr_workgroup_info 0
		.amdhsa_system_vgpr_workitem_id 1
		.amdhsa_next_free_vgpr 52
		.amdhsa_next_free_sgpr 52
		.amdhsa_named_barrier_count 0
		.amdhsa_reserve_vcc 1
		.amdhsa_float_round_mode_32 0
		.amdhsa_float_round_mode_16_64 0
		.amdhsa_float_denorm_mode_32 3
		.amdhsa_float_denorm_mode_16_64 3
		.amdhsa_fp16_overflow 0
		.amdhsa_memory_ordered 1
		.amdhsa_forward_progress 1
		.amdhsa_inst_pref_size 14
		.amdhsa_round_robin_scheduling 0
		.amdhsa_exception_fp_ieee_invalid_op 0
		.amdhsa_exception_fp_denorm_src 0
		.amdhsa_exception_fp_ieee_div_zero 0
		.amdhsa_exception_fp_ieee_overflow 0
		.amdhsa_exception_fp_ieee_underflow 0
		.amdhsa_exception_fp_ieee_inexact 0
		.amdhsa_exception_int_div_zero 0
	.end_amdhsa_kernel
	.section	.text._ZN12_GLOBAL__N_135rocblas_gemm_batched_general_kernelIdLi16ELi16ELi32ELi32ELi8ELi32ELi8ELi8ELi32ELc78ELc78EKdS1_dEEvlllT_PT11_llS4_llS2_PT12_llPT13_lli,"axG",@progbits,_ZN12_GLOBAL__N_135rocblas_gemm_batched_general_kernelIdLi16ELi16ELi32ELi32ELi8ELi32ELi8ELi8ELi32ELc78ELc78EKdS1_dEEvlllT_PT11_llS4_llS2_PT12_llPT13_lli,comdat
.Lfunc_end297:
	.size	_ZN12_GLOBAL__N_135rocblas_gemm_batched_general_kernelIdLi16ELi16ELi32ELi32ELi8ELi32ELi8ELi8ELi32ELc78ELc78EKdS1_dEEvlllT_PT11_llS4_llS2_PT12_llPT13_lli, .Lfunc_end297-_ZN12_GLOBAL__N_135rocblas_gemm_batched_general_kernelIdLi16ELi16ELi32ELi32ELi8ELi32ELi8ELi8ELi32ELc78ELc78EKdS1_dEEvlllT_PT11_llS4_llS2_PT12_llPT13_lli
                                        ; -- End function
	.set _ZN12_GLOBAL__N_135rocblas_gemm_batched_general_kernelIdLi16ELi16ELi32ELi32ELi8ELi32ELi8ELi8ELi32ELc78ELc78EKdS1_dEEvlllT_PT11_llS4_llS2_PT12_llPT13_lli.num_vgpr, 52
	.set _ZN12_GLOBAL__N_135rocblas_gemm_batched_general_kernelIdLi16ELi16ELi32ELi32ELi8ELi32ELi8ELi8ELi32ELc78ELc78EKdS1_dEEvlllT_PT11_llS4_llS2_PT12_llPT13_lli.num_agpr, 0
	.set _ZN12_GLOBAL__N_135rocblas_gemm_batched_general_kernelIdLi16ELi16ELi32ELi32ELi8ELi32ELi8ELi8ELi32ELc78ELc78EKdS1_dEEvlllT_PT11_llS4_llS2_PT12_llPT13_lli.numbered_sgpr, 52
	.set _ZN12_GLOBAL__N_135rocblas_gemm_batched_general_kernelIdLi16ELi16ELi32ELi32ELi8ELi32ELi8ELi8ELi32ELc78ELc78EKdS1_dEEvlllT_PT11_llS4_llS2_PT12_llPT13_lli.num_named_barrier, 0
	.set _ZN12_GLOBAL__N_135rocblas_gemm_batched_general_kernelIdLi16ELi16ELi32ELi32ELi8ELi32ELi8ELi8ELi32ELc78ELc78EKdS1_dEEvlllT_PT11_llS4_llS2_PT12_llPT13_lli.private_seg_size, 0
	.set _ZN12_GLOBAL__N_135rocblas_gemm_batched_general_kernelIdLi16ELi16ELi32ELi32ELi8ELi32ELi8ELi8ELi32ELc78ELc78EKdS1_dEEvlllT_PT11_llS4_llS2_PT12_llPT13_lli.uses_vcc, 1
	.set _ZN12_GLOBAL__N_135rocblas_gemm_batched_general_kernelIdLi16ELi16ELi32ELi32ELi8ELi32ELi8ELi8ELi32ELc78ELc78EKdS1_dEEvlllT_PT11_llS4_llS2_PT12_llPT13_lli.uses_flat_scratch, 0
	.set _ZN12_GLOBAL__N_135rocblas_gemm_batched_general_kernelIdLi16ELi16ELi32ELi32ELi8ELi32ELi8ELi8ELi32ELc78ELc78EKdS1_dEEvlllT_PT11_llS4_llS2_PT12_llPT13_lli.has_dyn_sized_stack, 0
	.set _ZN12_GLOBAL__N_135rocblas_gemm_batched_general_kernelIdLi16ELi16ELi32ELi32ELi8ELi32ELi8ELi8ELi32ELc78ELc78EKdS1_dEEvlllT_PT11_llS4_llS2_PT12_llPT13_lli.has_recursion, 0
	.set _ZN12_GLOBAL__N_135rocblas_gemm_batched_general_kernelIdLi16ELi16ELi32ELi32ELi8ELi32ELi8ELi8ELi32ELc78ELc78EKdS1_dEEvlllT_PT11_llS4_llS2_PT12_llPT13_lli.has_indirect_call, 0
	.section	.AMDGPU.csdata,"",@progbits
; Kernel info:
; codeLenInByte = 1676
; TotalNumSgprs: 54
; NumVgprs: 52
; ScratchSize: 0
; MemoryBound: 0
; FloatMode: 240
; IeeeMode: 1
; LDSByteSize: 4096 bytes/workgroup (compile time only)
; SGPRBlocks: 0
; VGPRBlocks: 3
; NumSGPRsForWavesPerEU: 54
; NumVGPRsForWavesPerEU: 52
; NamedBarCnt: 0
; Occupancy: 16
; WaveLimiterHint : 0
; COMPUTE_PGM_RSRC2:SCRATCH_EN: 0
; COMPUTE_PGM_RSRC2:USER_SGPR: 2
; COMPUTE_PGM_RSRC2:TRAP_HANDLER: 0
; COMPUTE_PGM_RSRC2:TGID_X_EN: 1
; COMPUTE_PGM_RSRC2:TGID_Y_EN: 1
; COMPUTE_PGM_RSRC2:TGID_Z_EN: 1
; COMPUTE_PGM_RSRC2:TIDIG_COMP_CNT: 1
	.section	.text._ZN12_GLOBAL__N_135rocblas_gemm_batched_general_kernelIdLi16ELi16ELi32ELi32ELi8ELi32ELi8ELi8ELi32ELc84ELc78EKdS1_dEEvlllT_PT11_llS4_llS2_PT12_llPT13_lli,"axG",@progbits,_ZN12_GLOBAL__N_135rocblas_gemm_batched_general_kernelIdLi16ELi16ELi32ELi32ELi8ELi32ELi8ELi8ELi32ELc84ELc78EKdS1_dEEvlllT_PT11_llS4_llS2_PT12_llPT13_lli,comdat
	.globl	_ZN12_GLOBAL__N_135rocblas_gemm_batched_general_kernelIdLi16ELi16ELi32ELi32ELi8ELi32ELi8ELi8ELi32ELc84ELc78EKdS1_dEEvlllT_PT11_llS4_llS2_PT12_llPT13_lli ; -- Begin function _ZN12_GLOBAL__N_135rocblas_gemm_batched_general_kernelIdLi16ELi16ELi32ELi32ELi8ELi32ELi8ELi8ELi32ELc84ELc78EKdS1_dEEvlllT_PT11_llS4_llS2_PT12_llPT13_lli
	.p2align	8
	.type	_ZN12_GLOBAL__N_135rocblas_gemm_batched_general_kernelIdLi16ELi16ELi32ELi32ELi8ELi32ELi8ELi8ELi32ELc84ELc78EKdS1_dEEvlllT_PT11_llS4_llS2_PT12_llPT13_lli,@function
_ZN12_GLOBAL__N_135rocblas_gemm_batched_general_kernelIdLi16ELi16ELi32ELi32ELi8ELi32ELi8ELi8ELi32ELc84ELc78EKdS1_dEEvlllT_PT11_llS4_llS2_PT12_llPT13_lli: ; @_ZN12_GLOBAL__N_135rocblas_gemm_batched_general_kernelIdLi16ELi16ELi32ELi32ELi8ELi32ELi8ELi8ELi32ELc84ELc78EKdS1_dEEvlllT_PT11_llS4_llS2_PT12_llPT13_lli
; %bb.0:
	s_load_b32 s24, s[0:1], 0x88
	s_bfe_u32 s2, ttmp6, 0x40014
	s_lshr_b32 s3, ttmp7, 16
	s_add_co_i32 s2, s2, 1
	s_bfe_u32 s5, ttmp6, 0x40008
	s_mul_i32 s4, s3, s2
	s_getreg_b32 s2, hwreg(HW_REG_IB_STS2, 6, 4)
	s_add_co_i32 s5, s5, s4
	s_cmp_eq_u32 s2, 0
	s_mov_b32 s21, 0
	s_cselect_b32 s20, s3, s5
	s_wait_kmcnt 0x0
	s_cmp_ge_i32 s20, s24
	s_cbranch_scc1 .LBB298_35
; %bb.1:
	v_bfe_u32 v8, v0, 10, 10
	v_and_b32_e32 v10, 0x3ff, v0
	s_clause 0x1
	s_load_b512 s[4:19], s[0:1], 0x0
	s_load_b512 s[36:51], s[0:1], 0x40
	s_bfe_u32 s3, ttmp6, 0x4000c
	s_bfe_u32 s23, ttmp6, 0x40010
	s_add_co_i32 s3, s3, 1
	s_and_b32 s25, ttmp7, 0xffff
	s_add_co_i32 s23, s23, 1
	v_lshl_add_u32 v1, v8, 4, v10
	v_mov_b32_e32 v9, 0
	s_and_b32 s22, ttmp6, 15
	s_mul_i32 s3, ttmp9, s3
	s_mul_i32 s23, s25, s23
	s_bfe_u32 s26, ttmp6, 0x40004
	s_add_co_i32 s22, s22, s3
	s_add_co_i32 s26, s26, s23
	s_cmp_eq_u32 s2, 0
	v_dual_lshrrev_b32 v6, 3, v1 :: v_dual_bitop2_b32 v25, 31, v1 bitop3:0x40
	v_mov_b32_e32 v7, v9
	s_cselect_b32 s2, ttmp9, s22
	s_cselect_b32 s22, s25, s26
	s_ashr_i32 s3, s2, 31
	s_lshl_b32 s22, s22, 5
	s_mov_b32 s23, s21
	s_lshl_b64 s[2:3], s[2:3], 5
	v_add_nc_u64_e32 v[12:13], s[22:23], v[6:7]
	v_dual_mov_b32 v15, s3 :: v_dual_bitop2_b32 v14, s2, v25 bitop3:0x54
	v_add_nc_u64_e32 v[16:17], s[22:23], v[8:9]
	v_dual_mov_b32 v11, v9 :: v_dual_bitop2_b32 v0, 7, v0 bitop3:0x40
	s_wait_kmcnt 0x0
	v_cmp_eq_f64_e64 s25, s[40:41], 0
	v_mul_u64_e32 v[18:19], s[36:37], v[12:13]
	v_mul_u64_e32 v[20:21], s[14:15], v[14:15]
	v_dual_lshrrev_b32 v2, 5, v1 :: v_dual_lshlrev_b32 v24, 3, v0
	v_mul_u64_e32 v[22:23], s[44:45], v[16:17]
	v_mul_u64_e32 v[4:5], s[50:51], v[16:17]
	v_dual_mov_b32 v3, v9 :: v_dual_lshlrev_b32 v25, 3, v25
	s_delay_alu instid0(VALU_DEP_4)
	v_lshl_or_b32 v26, v6, 6, v24
	v_add_nc_u64_e32 v[6:7], s[2:3], v[10:11]
	s_load_b64 s[14:15], s[0:1], 0x80
	v_dual_mov_b32 v1, v9 :: v_dual_lshlrev_b32 v34, 3, v10
	v_lshl_or_b32 v32, v2, 8, v25
	v_lshl_add_u32 v35, v8, 6, 0x800
	v_dual_mov_b32 v25, v9 :: v_dual_lshlrev_b32 v8, 3, v2
	v_add_nc_u64_e32 v[10:11], 16, v[6:7]
	s_wait_xcnt 0x0
	v_cmp_gt_i64_e64 s1, s[6:7], v[12:13]
	v_add_nc_u64_e32 v[12:13], 16, v[16:17]
	v_cmp_gt_i64_e64 s0, s[4:5], v[14:15]
	v_cmp_gt_i64_e64 s3, s[4:5], v[6:7]
	;; [unrolled: 1-line block ×5, first 2 shown]
	v_add_nc_u32_e32 v33, 0x800, v26
	v_cmp_gt_i64_e64 s5, s[6:7], v[12:13]
	s_lshl_b64 s[6:7], s[50:51], 4
	s_lshl_b64 s[16:17], s[16:17], 3
	v_lshl_add_u64 v[10:11], v[18:19], 3, v[24:25]
	v_lshl_add_u64 v[14:15], v[20:21], 3, v[8:9]
	;; [unrolled: 1-line block ×3, first 2 shown]
	s_delay_alu instid0(VALU_DEP_3) | instskip(NEXT) | instid1(VALU_DEP_3)
	v_add_nc_u64_e32 v[10:11], s[18:19], v[10:11]
	v_add_nc_u64_e32 v[12:13], s[12:13], v[14:15]
	s_lshl_b64 s[12:13], s[44:45], 4
	s_lshl_b64 s[18:19], s[38:39], 3
	s_branch .LBB298_4
.LBB298_2:                              ;   in Loop: Header=BB298_4 Depth=1
	s_wait_xcnt 0x0
	s_or_b32 exec_lo, exec_lo, s27
.LBB298_3:                              ;   in Loop: Header=BB298_4 Depth=1
	s_add_co_i32 s20, s20, 0x10000
	s_delay_alu instid0(SALU_CYCLE_1)
	s_cmp_lt_i32 s20, s24
	s_cbranch_scc0 .LBB298_35
.LBB298_4:                              ; =>This Loop Header: Depth=1
                                        ;     Child Loop BB298_7 Depth 2
	s_and_not1_b32 vcc_lo, exec_lo, s26
	s_cbranch_vccnz .LBB298_11
; %bb.5:                                ;   in Loop: Header=BB298_4 Depth=1
	v_mad_nc_u64_u32 v[22:23], s18, s20, v[10:11]
	v_mad_nc_u64_u32 v[24:25], s16, s20, v[12:13]
	v_mov_b64_e32 v[14:15], 0
	v_mov_b64_e32 v[16:17], 0
	;; [unrolled: 1-line block ×4, first 2 shown]
	s_mov_b64 s[22:23], 0
	v_mad_u32 v23, s19, s20, v23
	v_mad_u32 v25, s17, s20, v25
	s_branch .LBB298_7
.LBB298_6:                              ;   in Loop: Header=BB298_7 Depth=2
	s_wait_xcnt 0x0
	s_or_b32 exec_lo, exec_lo, s27
	s_wait_loadcnt 0x0
	ds_store_b64 v33, v[28:29]
	s_wait_dscnt 0x0
	s_barrier_signal -1
	s_barrier_wait -1
	ds_load_b128 v[26:29], v35
	ds_load_2addr_b64 v[36:39], v34 offset1:16
	ds_load_b128 v[40:43], v35 offset:1024
	ds_load_b128 v[44:47], v35 offset:16
	;; [unrolled: 1-line block ×3, first 2 shown]
	s_add_nc_u64 s[22:23], s[22:23], 8
	v_add_nc_u64_e32 v[22:23], 64, v[22:23]
	v_cmp_lt_i64_e64 s27, s[22:23], s[8:9]
	v_add_nc_u64_e32 v[24:25], 64, v[24:25]
	s_and_b32 vcc_lo, exec_lo, s27
	s_wait_dscnt 0x3
	v_fmac_f64_e32 v[20:21], v[36:37], v[26:27]
	v_fmac_f64_e32 v[18:19], v[38:39], v[26:27]
	s_wait_dscnt 0x2
	v_fmac_f64_e32 v[16:17], v[36:37], v[40:41]
	v_fmac_f64_e32 v[14:15], v[38:39], v[40:41]
	ds_load_2addr_b64 v[36:39], v34 offset0:32 offset1:48
	s_wait_dscnt 0x0
	v_fmac_f64_e32 v[20:21], v[36:37], v[28:29]
	v_fmac_f64_e32 v[18:19], v[38:39], v[28:29]
	v_fmac_f64_e32 v[16:17], v[36:37], v[42:43]
	v_fmac_f64_e32 v[14:15], v[38:39], v[42:43]
	ds_load_2addr_b64 v[26:29], v34 offset0:64 offset1:80
	s_wait_dscnt 0x0
	v_fmac_f64_e32 v[20:21], v[26:27], v[44:45]
	v_fmac_f64_e32 v[18:19], v[28:29], v[44:45]
	;; [unrolled: 6-line block ×3, first 2 shown]
	v_fmac_f64_e32 v[16:17], v[26:27], v[50:51]
	v_fmac_f64_e32 v[14:15], v[28:29], v[50:51]
	ds_load_b128 v[26:29], v35 offset:32
	ds_load_2addr_b64 v[36:39], v34 offset0:128 offset1:144
	ds_load_b128 v[40:43], v35 offset:1056
	ds_load_b128 v[44:47], v35 offset:48
	ds_load_b128 v[48:51], v35 offset:1072
	s_wait_dscnt 0x3
	v_fmac_f64_e32 v[20:21], v[36:37], v[26:27]
	v_fmac_f64_e32 v[18:19], v[38:39], v[26:27]
	s_wait_dscnt 0x2
	v_fmac_f64_e32 v[16:17], v[36:37], v[40:41]
	v_fmac_f64_e32 v[14:15], v[38:39], v[40:41]
	ds_load_2addr_b64 v[36:39], v34 offset0:160 offset1:176
	s_wait_dscnt 0x0
	v_fmac_f64_e32 v[20:21], v[36:37], v[28:29]
	v_fmac_f64_e32 v[18:19], v[38:39], v[28:29]
	;; [unrolled: 1-line block ×4, first 2 shown]
	ds_load_2addr_b64 v[26:29], v34 offset0:192 offset1:208
	s_wait_dscnt 0x0
	v_fmac_f64_e32 v[20:21], v[26:27], v[44:45]
	v_fmac_f64_e32 v[18:19], v[28:29], v[44:45]
	;; [unrolled: 1-line block ×4, first 2 shown]
	ds_load_2addr_b64 v[26:29], v34 offset0:224 offset1:240
	s_wait_dscnt 0x0
	s_barrier_signal -1
	s_barrier_wait -1
	v_fmac_f64_e32 v[20:21], v[26:27], v[46:47]
	v_fmac_f64_e32 v[18:19], v[28:29], v[46:47]
	;; [unrolled: 1-line block ×4, first 2 shown]
	s_cbranch_vccz .LBB298_12
.LBB298_7:                              ;   Parent Loop BB298_4 Depth=1
                                        ; =>  This Inner Loop Header: Depth=2
	v_add_nc_u64_e32 v[26:27], s[22:23], v[2:3]
	s_delay_alu instid0(VALU_DEP_1) | instskip(SKIP_2) | instid1(SALU_CYCLE_1)
	v_cmp_gt_i64_e32 vcc_lo, s[8:9], v[26:27]
	v_mov_b64_e32 v[26:27], 0
	s_and_b32 s28, s0, vcc_lo
	s_and_saveexec_b32 s27, s28
	s_cbranch_execz .LBB298_9
; %bb.8:                                ;   in Loop: Header=BB298_7 Depth=2
	global_load_b64 v[26:27], v[24:25], off
.LBB298_9:                              ;   in Loop: Header=BB298_7 Depth=2
	s_wait_xcnt 0x0
	s_or_b32 exec_lo, exec_lo, s27
	v_add_nc_u64_e32 v[28:29], s[22:23], v[0:1]
	s_wait_loadcnt 0x0
	ds_store_b64 v32, v[26:27]
	v_cmp_gt_i64_e32 vcc_lo, s[8:9], v[28:29]
	v_mov_b64_e32 v[28:29], 0
	s_and_b32 s28, vcc_lo, s1
	s_delay_alu instid0(SALU_CYCLE_1)
	s_and_saveexec_b32 s27, s28
	s_cbranch_execz .LBB298_6
; %bb.10:                               ;   in Loop: Header=BB298_7 Depth=2
	global_load_b64 v[28:29], v[22:23], off
	s_branch .LBB298_6
.LBB298_11:                             ;   in Loop: Header=BB298_4 Depth=1
	v_mov_b64_e32 v[20:21], 0
	v_mov_b64_e32 v[18:19], 0
	;; [unrolled: 1-line block ×4, first 2 shown]
.LBB298_12:                             ;   in Loop: Header=BB298_4 Depth=1
	s_wait_kmcnt 0x0
	s_mul_u64 s[22:23], s[14:15], s[20:21]
	s_and_not1_b32 vcc_lo, exec_lo, s25
	s_lshl_b64 s[22:23], s[22:23], 3
	s_delay_alu instid0(SALU_CYCLE_1)
	s_add_nc_u64 s[22:23], s[48:49], s[22:23]
	s_cbranch_vccnz .LBB298_17
; %bb.13:                               ;   in Loop: Header=BB298_4 Depth=1
	s_and_saveexec_b32 s27, s2
	s_cbranch_execz .LBB298_24
; %bb.14:                               ;   in Loop: Header=BB298_4 Depth=1
	v_lshl_add_u64 v[22:23], v[4:5], 3, s[22:23]
	s_delay_alu instid0(VALU_DEP_1)
	v_lshl_add_u64 v[24:25], v[6:7], 3, v[22:23]
	s_and_saveexec_b32 s28, s3
	s_cbranch_execnz .LBB298_18
; %bb.15:                               ;   in Loop: Header=BB298_4 Depth=1
	s_or_b32 exec_lo, exec_lo, s28
	s_and_saveexec_b32 s28, s4
	s_cbranch_execnz .LBB298_19
.LBB298_16:                             ;   in Loop: Header=BB298_4 Depth=1
	s_or_b32 exec_lo, exec_lo, s28
	s_delay_alu instid0(SALU_CYCLE_1)
	s_and_b32 exec_lo, exec_lo, s5
	s_cbranch_execnz .LBB298_20
	s_branch .LBB298_24
.LBB298_17:                             ;   in Loop: Header=BB298_4 Depth=1
	s_branch .LBB298_25
.LBB298_18:                             ;   in Loop: Header=BB298_4 Depth=1
	v_mul_f64_e32 v[26:27], s[10:11], v[20:21]
	global_store_b64 v[24:25], v[26:27], off
	s_wait_xcnt 0x0
	s_or_b32 exec_lo, exec_lo, s28
	s_and_saveexec_b32 s28, s4
	s_cbranch_execz .LBB298_16
.LBB298_19:                             ;   in Loop: Header=BB298_4 Depth=1
	v_mul_f64_e32 v[26:27], s[10:11], v[18:19]
	global_store_b64 v[24:25], v[26:27], off offset:128
	s_wait_xcnt 0x0
	s_or_b32 exec_lo, exec_lo, s28
	s_delay_alu instid0(SALU_CYCLE_1)
	s_and_b32 exec_lo, exec_lo, s5
	s_cbranch_execz .LBB298_24
.LBB298_20:                             ;   in Loop: Header=BB298_4 Depth=1
	v_lshl_add_u64 v[22:23], s[6:7], 3, v[22:23]
	s_delay_alu instid0(VALU_DEP_1)
	v_lshl_add_u64 v[22:23], v[6:7], 3, v[22:23]
	s_and_saveexec_b32 s28, s3
	s_cbranch_execz .LBB298_22
; %bb.21:                               ;   in Loop: Header=BB298_4 Depth=1
	v_mul_f64_e32 v[24:25], s[10:11], v[16:17]
	global_store_b64 v[22:23], v[24:25], off
.LBB298_22:                             ;   in Loop: Header=BB298_4 Depth=1
	s_wait_xcnt 0x0
	s_or_b32 exec_lo, exec_lo, s28
	s_delay_alu instid0(SALU_CYCLE_1)
	s_and_b32 exec_lo, exec_lo, s4
	s_cbranch_execz .LBB298_24
; %bb.23:                               ;   in Loop: Header=BB298_4 Depth=1
	v_mul_f64_e32 v[24:25], s[10:11], v[14:15]
	global_store_b64 v[22:23], v[24:25], off offset:128
.LBB298_24:                             ;   in Loop: Header=BB298_4 Depth=1
	s_wait_xcnt 0x0
	s_or_b32 exec_lo, exec_lo, s27
	s_cbranch_execnz .LBB298_3
.LBB298_25:                             ;   in Loop: Header=BB298_4 Depth=1
	s_and_saveexec_b32 s27, s2
	s_cbranch_execz .LBB298_2
; %bb.26:                               ;   in Loop: Header=BB298_4 Depth=1
	s_mul_u64 s[28:29], s[46:47], s[20:21]
	v_lshlrev_b64_e32 v[22:23], 3, v[6:7]
	v_lshl_add_u64 v[24:25], s[28:29], 3, v[8:9]
	v_lshl_add_u64 v[26:27], v[4:5], 3, s[22:23]
	s_delay_alu instid0(VALU_DEP_2) | instskip(NEXT) | instid1(VALU_DEP_2)
	v_add_nc_u64_e32 v[30:31], v[24:25], v[22:23]
	v_add_nc_u64_e32 v[28:29], v[26:27], v[22:23]
	s_and_saveexec_b32 s22, s3
	s_cbranch_execnz .LBB298_29
; %bb.27:                               ;   in Loop: Header=BB298_4 Depth=1
	s_or_b32 exec_lo, exec_lo, s22
	s_and_saveexec_b32 s22, s4
	s_cbranch_execnz .LBB298_30
.LBB298_28:                             ;   in Loop: Header=BB298_4 Depth=1
	s_or_b32 exec_lo, exec_lo, s22
	s_delay_alu instid0(SALU_CYCLE_1)
	s_and_b32 exec_lo, exec_lo, s5
	s_cbranch_execz .LBB298_2
	s_branch .LBB298_31
.LBB298_29:                             ;   in Loop: Header=BB298_4 Depth=1
	global_load_b64 v[36:37], v[30:31], off
	s_wait_loadcnt 0x0
	v_mul_f64_e32 v[36:37], s[40:41], v[36:37]
	s_delay_alu instid0(VALU_DEP_1)
	v_fmac_f64_e32 v[36:37], s[10:11], v[20:21]
	global_store_b64 v[28:29], v[36:37], off
	s_wait_xcnt 0x0
	s_or_b32 exec_lo, exec_lo, s22
	s_and_saveexec_b32 s22, s4
	s_cbranch_execz .LBB298_28
.LBB298_30:                             ;   in Loop: Header=BB298_4 Depth=1
	global_load_b64 v[20:21], v[30:31], off offset:128
	s_wait_loadcnt 0x0
	v_mul_f64_e32 v[20:21], s[40:41], v[20:21]
	s_delay_alu instid0(VALU_DEP_1) | instskip(SKIP_3) | instid1(SALU_CYCLE_1)
	v_fmac_f64_e32 v[20:21], s[10:11], v[18:19]
	global_store_b64 v[28:29], v[20:21], off offset:128
	s_wait_xcnt 0x0
	s_or_b32 exec_lo, exec_lo, s22
	s_and_b32 exec_lo, exec_lo, s5
	s_cbranch_execz .LBB298_2
.LBB298_31:                             ;   in Loop: Header=BB298_4 Depth=1
	v_lshl_add_u64 v[18:19], s[12:13], 3, v[24:25]
	v_lshl_add_u64 v[24:25], s[6:7], 3, v[26:27]
	s_delay_alu instid0(VALU_DEP_2) | instskip(NEXT) | instid1(VALU_DEP_2)
	v_add_nc_u64_e32 v[20:21], v[18:19], v[22:23]
	v_add_nc_u64_e32 v[18:19], v[24:25], v[22:23]
	s_and_saveexec_b32 s22, s3
	s_cbranch_execz .LBB298_33
; %bb.32:                               ;   in Loop: Header=BB298_4 Depth=1
	global_load_b64 v[22:23], v[20:21], off
	s_wait_loadcnt 0x0
	v_mul_f64_e32 v[22:23], s[40:41], v[22:23]
	s_delay_alu instid0(VALU_DEP_1)
	v_fmac_f64_e32 v[22:23], s[10:11], v[16:17]
	global_store_b64 v[18:19], v[22:23], off
.LBB298_33:                             ;   in Loop: Header=BB298_4 Depth=1
	s_wait_xcnt 0x0
	s_or_b32 exec_lo, exec_lo, s22
	s_delay_alu instid0(SALU_CYCLE_1)
	s_and_b32 exec_lo, exec_lo, s4
	s_cbranch_execz .LBB298_2
; %bb.34:                               ;   in Loop: Header=BB298_4 Depth=1
	global_load_b64 v[16:17], v[20:21], off offset:128
	s_wait_loadcnt 0x0
	v_mul_f64_e32 v[16:17], s[40:41], v[16:17]
	s_delay_alu instid0(VALU_DEP_1)
	v_fmac_f64_e32 v[16:17], s[10:11], v[14:15]
	global_store_b64 v[18:19], v[16:17], off offset:128
	s_branch .LBB298_2
.LBB298_35:
	s_endpgm
	.section	.rodata,"a",@progbits
	.p2align	6, 0x0
	.amdhsa_kernel _ZN12_GLOBAL__N_135rocblas_gemm_batched_general_kernelIdLi16ELi16ELi32ELi32ELi8ELi32ELi8ELi8ELi32ELc84ELc78EKdS1_dEEvlllT_PT11_llS4_llS2_PT12_llPT13_lli
		.amdhsa_group_segment_fixed_size 4096
		.amdhsa_private_segment_fixed_size 0
		.amdhsa_kernarg_size 140
		.amdhsa_user_sgpr_count 2
		.amdhsa_user_sgpr_dispatch_ptr 0
		.amdhsa_user_sgpr_queue_ptr 0
		.amdhsa_user_sgpr_kernarg_segment_ptr 1
		.amdhsa_user_sgpr_dispatch_id 0
		.amdhsa_user_sgpr_kernarg_preload_length 0
		.amdhsa_user_sgpr_kernarg_preload_offset 0
		.amdhsa_user_sgpr_private_segment_size 0
		.amdhsa_wavefront_size32 1
		.amdhsa_uses_dynamic_stack 0
		.amdhsa_enable_private_segment 0
		.amdhsa_system_sgpr_workgroup_id_x 1
		.amdhsa_system_sgpr_workgroup_id_y 1
		.amdhsa_system_sgpr_workgroup_id_z 1
		.amdhsa_system_sgpr_workgroup_info 0
		.amdhsa_system_vgpr_workitem_id 1
		.amdhsa_next_free_vgpr 52
		.amdhsa_next_free_sgpr 52
		.amdhsa_named_barrier_count 0
		.amdhsa_reserve_vcc 1
		.amdhsa_float_round_mode_32 0
		.amdhsa_float_round_mode_16_64 0
		.amdhsa_float_denorm_mode_32 3
		.amdhsa_float_denorm_mode_16_64 3
		.amdhsa_fp16_overflow 0
		.amdhsa_memory_ordered 1
		.amdhsa_forward_progress 1
		.amdhsa_inst_pref_size 14
		.amdhsa_round_robin_scheduling 0
		.amdhsa_exception_fp_ieee_invalid_op 0
		.amdhsa_exception_fp_denorm_src 0
		.amdhsa_exception_fp_ieee_div_zero 0
		.amdhsa_exception_fp_ieee_overflow 0
		.amdhsa_exception_fp_ieee_underflow 0
		.amdhsa_exception_fp_ieee_inexact 0
		.amdhsa_exception_int_div_zero 0
	.end_amdhsa_kernel
	.section	.text._ZN12_GLOBAL__N_135rocblas_gemm_batched_general_kernelIdLi16ELi16ELi32ELi32ELi8ELi32ELi8ELi8ELi32ELc84ELc78EKdS1_dEEvlllT_PT11_llS4_llS2_PT12_llPT13_lli,"axG",@progbits,_ZN12_GLOBAL__N_135rocblas_gemm_batched_general_kernelIdLi16ELi16ELi32ELi32ELi8ELi32ELi8ELi8ELi32ELc84ELc78EKdS1_dEEvlllT_PT11_llS4_llS2_PT12_llPT13_lli,comdat
.Lfunc_end298:
	.size	_ZN12_GLOBAL__N_135rocblas_gemm_batched_general_kernelIdLi16ELi16ELi32ELi32ELi8ELi32ELi8ELi8ELi32ELc84ELc78EKdS1_dEEvlllT_PT11_llS4_llS2_PT12_llPT13_lli, .Lfunc_end298-_ZN12_GLOBAL__N_135rocblas_gemm_batched_general_kernelIdLi16ELi16ELi32ELi32ELi8ELi32ELi8ELi8ELi32ELc84ELc78EKdS1_dEEvlllT_PT11_llS4_llS2_PT12_llPT13_lli
                                        ; -- End function
	.set _ZN12_GLOBAL__N_135rocblas_gemm_batched_general_kernelIdLi16ELi16ELi32ELi32ELi8ELi32ELi8ELi8ELi32ELc84ELc78EKdS1_dEEvlllT_PT11_llS4_llS2_PT12_llPT13_lli.num_vgpr, 52
	.set _ZN12_GLOBAL__N_135rocblas_gemm_batched_general_kernelIdLi16ELi16ELi32ELi32ELi8ELi32ELi8ELi8ELi32ELc84ELc78EKdS1_dEEvlllT_PT11_llS4_llS2_PT12_llPT13_lli.num_agpr, 0
	.set _ZN12_GLOBAL__N_135rocblas_gemm_batched_general_kernelIdLi16ELi16ELi32ELi32ELi8ELi32ELi8ELi8ELi32ELc84ELc78EKdS1_dEEvlllT_PT11_llS4_llS2_PT12_llPT13_lli.numbered_sgpr, 52
	.set _ZN12_GLOBAL__N_135rocblas_gemm_batched_general_kernelIdLi16ELi16ELi32ELi32ELi8ELi32ELi8ELi8ELi32ELc84ELc78EKdS1_dEEvlllT_PT11_llS4_llS2_PT12_llPT13_lli.num_named_barrier, 0
	.set _ZN12_GLOBAL__N_135rocblas_gemm_batched_general_kernelIdLi16ELi16ELi32ELi32ELi8ELi32ELi8ELi8ELi32ELc84ELc78EKdS1_dEEvlllT_PT11_llS4_llS2_PT12_llPT13_lli.private_seg_size, 0
	.set _ZN12_GLOBAL__N_135rocblas_gemm_batched_general_kernelIdLi16ELi16ELi32ELi32ELi8ELi32ELi8ELi8ELi32ELc84ELc78EKdS1_dEEvlllT_PT11_llS4_llS2_PT12_llPT13_lli.uses_vcc, 1
	.set _ZN12_GLOBAL__N_135rocblas_gemm_batched_general_kernelIdLi16ELi16ELi32ELi32ELi8ELi32ELi8ELi8ELi32ELc84ELc78EKdS1_dEEvlllT_PT11_llS4_llS2_PT12_llPT13_lli.uses_flat_scratch, 0
	.set _ZN12_GLOBAL__N_135rocblas_gemm_batched_general_kernelIdLi16ELi16ELi32ELi32ELi8ELi32ELi8ELi8ELi32ELc84ELc78EKdS1_dEEvlllT_PT11_llS4_llS2_PT12_llPT13_lli.has_dyn_sized_stack, 0
	.set _ZN12_GLOBAL__N_135rocblas_gemm_batched_general_kernelIdLi16ELi16ELi32ELi32ELi8ELi32ELi8ELi8ELi32ELc84ELc78EKdS1_dEEvlllT_PT11_llS4_llS2_PT12_llPT13_lli.has_recursion, 0
	.set _ZN12_GLOBAL__N_135rocblas_gemm_batched_general_kernelIdLi16ELi16ELi32ELi32ELi8ELi32ELi8ELi8ELi32ELc84ELc78EKdS1_dEEvlllT_PT11_llS4_llS2_PT12_llPT13_lli.has_indirect_call, 0
	.section	.AMDGPU.csdata,"",@progbits
; Kernel info:
; codeLenInByte = 1672
; TotalNumSgprs: 54
; NumVgprs: 52
; ScratchSize: 0
; MemoryBound: 0
; FloatMode: 240
; IeeeMode: 1
; LDSByteSize: 4096 bytes/workgroup (compile time only)
; SGPRBlocks: 0
; VGPRBlocks: 3
; NumSGPRsForWavesPerEU: 54
; NumVGPRsForWavesPerEU: 52
; NamedBarCnt: 0
; Occupancy: 16
; WaveLimiterHint : 0
; COMPUTE_PGM_RSRC2:SCRATCH_EN: 0
; COMPUTE_PGM_RSRC2:USER_SGPR: 2
; COMPUTE_PGM_RSRC2:TRAP_HANDLER: 0
; COMPUTE_PGM_RSRC2:TGID_X_EN: 1
; COMPUTE_PGM_RSRC2:TGID_Y_EN: 1
; COMPUTE_PGM_RSRC2:TGID_Z_EN: 1
; COMPUTE_PGM_RSRC2:TIDIG_COMP_CNT: 1
	.section	.text._ZN12_GLOBAL__N_135rocblas_gemm_batched_general_kernelIdLi16ELi16ELi32ELi32ELi8ELi32ELi8ELi8ELi32ELc78ELc84EKdS1_dEEvlllT_PT11_llS4_llS2_PT12_llPT13_lli,"axG",@progbits,_ZN12_GLOBAL__N_135rocblas_gemm_batched_general_kernelIdLi16ELi16ELi32ELi32ELi8ELi32ELi8ELi8ELi32ELc78ELc84EKdS1_dEEvlllT_PT11_llS4_llS2_PT12_llPT13_lli,comdat
	.globl	_ZN12_GLOBAL__N_135rocblas_gemm_batched_general_kernelIdLi16ELi16ELi32ELi32ELi8ELi32ELi8ELi8ELi32ELc78ELc84EKdS1_dEEvlllT_PT11_llS4_llS2_PT12_llPT13_lli ; -- Begin function _ZN12_GLOBAL__N_135rocblas_gemm_batched_general_kernelIdLi16ELi16ELi32ELi32ELi8ELi32ELi8ELi8ELi32ELc78ELc84EKdS1_dEEvlllT_PT11_llS4_llS2_PT12_llPT13_lli
	.p2align	8
	.type	_ZN12_GLOBAL__N_135rocblas_gemm_batched_general_kernelIdLi16ELi16ELi32ELi32ELi8ELi32ELi8ELi8ELi32ELc78ELc84EKdS1_dEEvlllT_PT11_llS4_llS2_PT12_llPT13_lli,@function
_ZN12_GLOBAL__N_135rocblas_gemm_batched_general_kernelIdLi16ELi16ELi32ELi32ELi8ELi32ELi8ELi8ELi32ELc78ELc84EKdS1_dEEvlllT_PT11_llS4_llS2_PT12_llPT13_lli: ; @_ZN12_GLOBAL__N_135rocblas_gemm_batched_general_kernelIdLi16ELi16ELi32ELi32ELi8ELi32ELi8ELi8ELi32ELc78ELc84EKdS1_dEEvlllT_PT11_llS4_llS2_PT12_llPT13_lli
; %bb.0:
	s_load_b32 s28, s[0:1], 0x88
	s_bfe_u32 s2, ttmp6, 0x40014
	s_lshr_b32 s3, ttmp7, 16
	s_add_co_i32 s2, s2, 1
	s_bfe_u32 s5, ttmp6, 0x40008
	s_mul_i32 s4, s3, s2
	s_getreg_b32 s2, hwreg(HW_REG_IB_STS2, 6, 4)
	s_add_co_i32 s5, s5, s4
	s_cmp_eq_u32 s2, 0
	s_mov_b32 s21, 0
	s_cselect_b32 s20, s3, s5
	s_wait_kmcnt 0x0
	s_cmp_ge_i32 s20, s28
	s_cbranch_scc1 .LBB299_35
; %bb.1:
	s_clause 0x2
	s_load_b512 s[4:19], s[0:1], 0x0
	s_load_b512 s[36:51], s[0:1], 0x40
	s_load_b64 s[22:23], s[0:1], 0x80
	v_bfe_u32 v8, v0, 10, 10
	v_and_b32_e32 v10, 0x3ff, v0
	v_dual_mov_b32 v9, 0 :: v_dual_bitop2_b32 v0, 7, v0 bitop3:0x40
	s_wait_xcnt 0x0
	s_bfe_u32 s0, ttmp6, 0x4000c
	s_bfe_u32 s3, ttmp6, 0x40010
	v_lshl_add_u32 v21, v8, 4, v10
	s_add_co_i32 s0, s0, 1
	v_dual_mov_b32 v3, v9 :: v_dual_mov_b32 v1, v9
	s_and_b32 s1, ttmp6, 15
	s_delay_alu instid0(VALU_DEP_2)
	v_lshrrev_b32_e32 v2, 5, v21
	s_mul_i32 s0, ttmp9, s0
	s_and_b32 s24, ttmp7, 0xffff
	s_add_co_i32 s3, s3, 1
	s_add_co_i32 s1, s1, s0
	s_mul_i32 s0, s24, s3
	s_bfe_u32 s3, ttmp6, 0x40004
	s_wait_kmcnt 0x0
	v_mul_u64_e32 v[12:13], s[36:37], v[0:1]
	s_add_co_i32 s3, s3, s0
	v_and_b32_e32 v11, 31, v21
	v_mul_u64_e32 v[14:15], s[14:15], v[2:3]
	s_cmp_eq_u32 s2, 0
	v_dual_mov_b32 v5, v9 :: v_dual_lshrrev_b32 v4, 3, v21
	s_cselect_b32 s26, s24, s3
	s_cselect_b32 s2, ttmp9, s1
	s_lshl_b32 s0, s26, 5
	s_mov_b32 s1, s21
	s_ashr_i32 s3, s2, 31
	v_add_nc_u64_e32 v[16:17], s[0:1], v[8:9]
	s_lshl_b64 s[24:25], s[2:3], 5
	v_add_nc_u64_e32 v[22:23], s[0:1], v[4:5]
	v_dual_mov_b32 v7, s25 :: v_dual_bitop2_b32 v6, s24, v11 bitop3:0x54
	v_cmp_eq_f64_e64 s29, s[40:41], 0
	v_dual_lshlrev_b32 v20, 3, v11 :: v_dual_lshlrev_b32 v24, 3, v0
	v_mul_u64_e32 v[18:19], s[44:45], v[16:17]
	s_delay_alu instid0(VALU_DEP_4)
	v_cmp_gt_i64_e64 s0, s[4:5], v[6:7]
	v_mul_u64_e32 v[6:7], s[50:51], v[16:17]
	v_dual_mov_b32 v11, v9 :: v_dual_lshlrev_b32 v34, 3, v10
	v_lshl_or_b32 v24, v4, 6, v24
	s_lshl_b64 s[2:3], s[2:3], 8
	v_lshl_add_u32 v35, v8, 6, 0x800
	s_delay_alu instid0(VALU_DEP_3)
	v_add_nc_u64_e32 v[4:5], s[24:25], v[10:11]
	s_lshl_b32 s24, s26, 8
	s_mov_b32 s25, s21
	v_and_b32_e32 v8, 0x1ff8, v21
	v_lshl_add_u64 v[12:13], v[12:13], 3, s[24:25]
	v_mov_b32_e32 v21, v9
	v_cmp_gt_i64_e64 s1, s[6:7], v[22:23]
	v_lshl_add_u64 v[14:15], v[14:15], 3, s[2:3]
	v_add_nc_u64_e32 v[10:11], 16, v[4:5]
	v_add_nc_u64_e32 v[22:23], 16, v[16:17]
	;; [unrolled: 1-line block ×3, first 2 shown]
	v_cmp_gt_i64_e64 s2, s[6:7], v[16:17]
	v_add_nc_u64_e32 v[14:15], v[14:15], v[20:21]
	v_cmp_gt_i64_e64 s3, s[4:5], v[4:5]
	v_cmp_gt_i64_e64 s30, s[8:9], 0
	;; [unrolled: 1-line block ×4, first 2 shown]
	v_add_nc_u64_e32 v[10:11], s[18:19], v[12:13]
	v_lshl_or_b32 v32, v2, 8, v20
	v_add_nc_u64_e32 v[12:13], s[12:13], v[14:15]
	v_add_nc_u32_e32 v33, 0x800, v24
	s_lshl_b64 s[6:7], s[50:51], 4
	s_lshl_b64 s[24:25], s[44:45], 4
	;; [unrolled: 1-line block ×3, first 2 shown]
	v_lshl_add_u64 v[8:9], v[18:19], 3, s[42:43]
	s_lshl_b64 s[12:13], s[36:37], 6
	s_lshl_b64 s[16:17], s[16:17], 3
	;; [unrolled: 1-line block ×3, first 2 shown]
	s_branch .LBB299_4
.LBB299_2:                              ;   in Loop: Header=BB299_4 Depth=1
	s_wait_xcnt 0x0
	s_or_b32 exec_lo, exec_lo, s31
.LBB299_3:                              ;   in Loop: Header=BB299_4 Depth=1
	s_add_co_i32 s20, s20, 0x10000
	s_delay_alu instid0(SALU_CYCLE_1)
	s_cmp_lt_i32 s20, s28
	s_cbranch_scc0 .LBB299_35
.LBB299_4:                              ; =>This Loop Header: Depth=1
                                        ;     Child Loop BB299_7 Depth 2
	s_and_not1_b32 vcc_lo, exec_lo, s30
	s_cbranch_vccnz .LBB299_11
; %bb.5:                                ;   in Loop: Header=BB299_4 Depth=1
	v_mad_nc_u64_u32 v[22:23], s18, s20, v[10:11]
	v_mad_nc_u64_u32 v[24:25], s16, s20, v[12:13]
	v_mov_b64_e32 v[14:15], 0
	v_mov_b64_e32 v[16:17], 0
	;; [unrolled: 1-line block ×4, first 2 shown]
	s_mov_b64 s[26:27], 0
	v_mad_u32 v23, s19, s20, v23
	v_mad_u32 v25, s17, s20, v25
	s_branch .LBB299_7
.LBB299_6:                              ;   in Loop: Header=BB299_7 Depth=2
	s_wait_xcnt 0x0
	s_or_b32 exec_lo, exec_lo, s31
	s_wait_loadcnt 0x0
	ds_store_b64 v33, v[28:29]
	s_wait_dscnt 0x0
	s_barrier_signal -1
	s_barrier_wait -1
	ds_load_b128 v[26:29], v35
	ds_load_2addr_b64 v[36:39], v34 offset1:16
	ds_load_b128 v[40:43], v35 offset:1024
	ds_load_b128 v[44:47], v35 offset:16
	;; [unrolled: 1-line block ×3, first 2 shown]
	s_add_nc_u64 s[26:27], s[26:27], 8
	v_add_nc_u64_e32 v[22:23], s[12:13], v[22:23]
	v_cmp_lt_i64_e64 s31, s[26:27], s[8:9]
	v_add_nc_u64_e32 v[24:25], s[14:15], v[24:25]
	s_and_b32 vcc_lo, exec_lo, s31
	s_wait_dscnt 0x3
	v_fmac_f64_e32 v[20:21], v[36:37], v[26:27]
	v_fmac_f64_e32 v[18:19], v[38:39], v[26:27]
	s_wait_dscnt 0x2
	v_fmac_f64_e32 v[16:17], v[36:37], v[40:41]
	v_fmac_f64_e32 v[14:15], v[38:39], v[40:41]
	ds_load_2addr_b64 v[36:39], v34 offset0:32 offset1:48
	s_wait_dscnt 0x0
	v_fmac_f64_e32 v[20:21], v[36:37], v[28:29]
	v_fmac_f64_e32 v[18:19], v[38:39], v[28:29]
	v_fmac_f64_e32 v[16:17], v[36:37], v[42:43]
	v_fmac_f64_e32 v[14:15], v[38:39], v[42:43]
	ds_load_2addr_b64 v[26:29], v34 offset0:64 offset1:80
	s_wait_dscnt 0x0
	v_fmac_f64_e32 v[20:21], v[26:27], v[44:45]
	v_fmac_f64_e32 v[18:19], v[28:29], v[44:45]
	;; [unrolled: 6-line block ×3, first 2 shown]
	v_fmac_f64_e32 v[16:17], v[26:27], v[50:51]
	v_fmac_f64_e32 v[14:15], v[28:29], v[50:51]
	ds_load_b128 v[26:29], v35 offset:32
	ds_load_2addr_b64 v[36:39], v34 offset0:128 offset1:144
	ds_load_b128 v[40:43], v35 offset:1056
	ds_load_b128 v[44:47], v35 offset:48
	ds_load_b128 v[48:51], v35 offset:1072
	s_wait_dscnt 0x3
	v_fmac_f64_e32 v[20:21], v[36:37], v[26:27]
	v_fmac_f64_e32 v[18:19], v[38:39], v[26:27]
	s_wait_dscnt 0x2
	v_fmac_f64_e32 v[16:17], v[36:37], v[40:41]
	v_fmac_f64_e32 v[14:15], v[38:39], v[40:41]
	ds_load_2addr_b64 v[36:39], v34 offset0:160 offset1:176
	s_wait_dscnt 0x0
	v_fmac_f64_e32 v[20:21], v[36:37], v[28:29]
	v_fmac_f64_e32 v[18:19], v[38:39], v[28:29]
	;; [unrolled: 1-line block ×4, first 2 shown]
	ds_load_2addr_b64 v[26:29], v34 offset0:192 offset1:208
	s_wait_dscnt 0x0
	v_fmac_f64_e32 v[20:21], v[26:27], v[44:45]
	v_fmac_f64_e32 v[18:19], v[28:29], v[44:45]
	;; [unrolled: 1-line block ×4, first 2 shown]
	ds_load_2addr_b64 v[26:29], v34 offset0:224 offset1:240
	s_wait_dscnt 0x0
	s_barrier_signal -1
	s_barrier_wait -1
	v_fmac_f64_e32 v[20:21], v[26:27], v[46:47]
	v_fmac_f64_e32 v[18:19], v[28:29], v[46:47]
	;; [unrolled: 1-line block ×4, first 2 shown]
	s_cbranch_vccz .LBB299_12
.LBB299_7:                              ;   Parent Loop BB299_4 Depth=1
                                        ; =>  This Inner Loop Header: Depth=2
	v_add_nc_u64_e32 v[26:27], s[26:27], v[2:3]
	s_delay_alu instid0(VALU_DEP_1) | instskip(SKIP_2) | instid1(SALU_CYCLE_1)
	v_cmp_gt_i64_e32 vcc_lo, s[8:9], v[26:27]
	v_mov_b64_e32 v[26:27], 0
	s_and_b32 s33, s0, vcc_lo
	s_and_saveexec_b32 s31, s33
	s_cbranch_execz .LBB299_9
; %bb.8:                                ;   in Loop: Header=BB299_7 Depth=2
	global_load_b64 v[26:27], v[24:25], off
.LBB299_9:                              ;   in Loop: Header=BB299_7 Depth=2
	s_wait_xcnt 0x0
	s_or_b32 exec_lo, exec_lo, s31
	v_add_nc_u64_e32 v[28:29], s[26:27], v[0:1]
	s_wait_loadcnt 0x0
	ds_store_b64 v32, v[26:27]
	v_cmp_gt_i64_e32 vcc_lo, s[8:9], v[28:29]
	v_mov_b64_e32 v[28:29], 0
	s_and_b32 s33, vcc_lo, s1
	s_delay_alu instid0(SALU_CYCLE_1)
	s_and_saveexec_b32 s31, s33
	s_cbranch_execz .LBB299_6
; %bb.10:                               ;   in Loop: Header=BB299_7 Depth=2
	global_load_b64 v[28:29], v[22:23], off
	s_branch .LBB299_6
.LBB299_11:                             ;   in Loop: Header=BB299_4 Depth=1
	v_mov_b64_e32 v[20:21], 0
	v_mov_b64_e32 v[18:19], 0
	;; [unrolled: 1-line block ×4, first 2 shown]
.LBB299_12:                             ;   in Loop: Header=BB299_4 Depth=1
	s_mul_u64 s[26:27], s[22:23], s[20:21]
	s_and_not1_b32 vcc_lo, exec_lo, s29
	s_lshl_b64 s[26:27], s[26:27], 3
	s_delay_alu instid0(SALU_CYCLE_1)
	s_add_nc_u64 s[26:27], s[48:49], s[26:27]
	s_cbranch_vccnz .LBB299_17
; %bb.13:                               ;   in Loop: Header=BB299_4 Depth=1
	s_and_saveexec_b32 s31, s2
	s_cbranch_execz .LBB299_24
; %bb.14:                               ;   in Loop: Header=BB299_4 Depth=1
	v_lshl_add_u64 v[22:23], v[6:7], 3, s[26:27]
	s_delay_alu instid0(VALU_DEP_1)
	v_lshl_add_u64 v[24:25], v[4:5], 3, v[22:23]
	s_and_saveexec_b32 s33, s3
	s_cbranch_execnz .LBB299_18
; %bb.15:                               ;   in Loop: Header=BB299_4 Depth=1
	s_or_b32 exec_lo, exec_lo, s33
	s_and_saveexec_b32 s33, s4
	s_cbranch_execnz .LBB299_19
.LBB299_16:                             ;   in Loop: Header=BB299_4 Depth=1
	s_or_b32 exec_lo, exec_lo, s33
	s_delay_alu instid0(SALU_CYCLE_1)
	s_and_b32 exec_lo, exec_lo, s5
	s_cbranch_execnz .LBB299_20
	s_branch .LBB299_24
.LBB299_17:                             ;   in Loop: Header=BB299_4 Depth=1
	s_branch .LBB299_25
.LBB299_18:                             ;   in Loop: Header=BB299_4 Depth=1
	v_mul_f64_e32 v[26:27], s[10:11], v[20:21]
	global_store_b64 v[24:25], v[26:27], off
	s_wait_xcnt 0x0
	s_or_b32 exec_lo, exec_lo, s33
	s_and_saveexec_b32 s33, s4
	s_cbranch_execz .LBB299_16
.LBB299_19:                             ;   in Loop: Header=BB299_4 Depth=1
	v_mul_f64_e32 v[26:27], s[10:11], v[18:19]
	global_store_b64 v[24:25], v[26:27], off offset:128
	s_wait_xcnt 0x0
	s_or_b32 exec_lo, exec_lo, s33
	s_delay_alu instid0(SALU_CYCLE_1)
	s_and_b32 exec_lo, exec_lo, s5
	s_cbranch_execz .LBB299_24
.LBB299_20:                             ;   in Loop: Header=BB299_4 Depth=1
	v_lshl_add_u64 v[22:23], s[6:7], 3, v[22:23]
	s_delay_alu instid0(VALU_DEP_1)
	v_lshl_add_u64 v[22:23], v[4:5], 3, v[22:23]
	s_and_saveexec_b32 s33, s3
	s_cbranch_execz .LBB299_22
; %bb.21:                               ;   in Loop: Header=BB299_4 Depth=1
	v_mul_f64_e32 v[24:25], s[10:11], v[16:17]
	global_store_b64 v[22:23], v[24:25], off
.LBB299_22:                             ;   in Loop: Header=BB299_4 Depth=1
	s_wait_xcnt 0x0
	s_or_b32 exec_lo, exec_lo, s33
	s_delay_alu instid0(SALU_CYCLE_1)
	s_and_b32 exec_lo, exec_lo, s4
	s_cbranch_execz .LBB299_24
; %bb.23:                               ;   in Loop: Header=BB299_4 Depth=1
	v_mul_f64_e32 v[24:25], s[10:11], v[14:15]
	global_store_b64 v[22:23], v[24:25], off offset:128
.LBB299_24:                             ;   in Loop: Header=BB299_4 Depth=1
	s_wait_xcnt 0x0
	s_or_b32 exec_lo, exec_lo, s31
	s_cbranch_execnz .LBB299_3
.LBB299_25:                             ;   in Loop: Header=BB299_4 Depth=1
	s_and_saveexec_b32 s31, s2
	s_cbranch_execz .LBB299_2
; %bb.26:                               ;   in Loop: Header=BB299_4 Depth=1
	s_mul_u64 s[34:35], s[46:47], s[20:21]
	v_lshlrev_b64_e32 v[22:23], 3, v[4:5]
	v_lshl_add_u64 v[24:25], s[34:35], 3, v[8:9]
	v_lshl_add_u64 v[26:27], v[6:7], 3, s[26:27]
	s_delay_alu instid0(VALU_DEP_2) | instskip(NEXT) | instid1(VALU_DEP_2)
	v_add_nc_u64_e32 v[30:31], v[24:25], v[22:23]
	v_add_nc_u64_e32 v[28:29], v[26:27], v[22:23]
	s_and_saveexec_b32 s26, s3
	s_cbranch_execnz .LBB299_29
; %bb.27:                               ;   in Loop: Header=BB299_4 Depth=1
	s_or_b32 exec_lo, exec_lo, s26
	s_and_saveexec_b32 s26, s4
	s_cbranch_execnz .LBB299_30
.LBB299_28:                             ;   in Loop: Header=BB299_4 Depth=1
	s_or_b32 exec_lo, exec_lo, s26
	s_delay_alu instid0(SALU_CYCLE_1)
	s_and_b32 exec_lo, exec_lo, s5
	s_cbranch_execz .LBB299_2
	s_branch .LBB299_31
.LBB299_29:                             ;   in Loop: Header=BB299_4 Depth=1
	global_load_b64 v[36:37], v[30:31], off
	s_wait_loadcnt 0x0
	v_mul_f64_e32 v[36:37], s[40:41], v[36:37]
	s_delay_alu instid0(VALU_DEP_1)
	v_fmac_f64_e32 v[36:37], s[10:11], v[20:21]
	global_store_b64 v[28:29], v[36:37], off
	s_wait_xcnt 0x0
	s_or_b32 exec_lo, exec_lo, s26
	s_and_saveexec_b32 s26, s4
	s_cbranch_execz .LBB299_28
.LBB299_30:                             ;   in Loop: Header=BB299_4 Depth=1
	global_load_b64 v[20:21], v[30:31], off offset:128
	s_wait_loadcnt 0x0
	v_mul_f64_e32 v[20:21], s[40:41], v[20:21]
	s_delay_alu instid0(VALU_DEP_1) | instskip(SKIP_3) | instid1(SALU_CYCLE_1)
	v_fmac_f64_e32 v[20:21], s[10:11], v[18:19]
	global_store_b64 v[28:29], v[20:21], off offset:128
	s_wait_xcnt 0x0
	s_or_b32 exec_lo, exec_lo, s26
	s_and_b32 exec_lo, exec_lo, s5
	s_cbranch_execz .LBB299_2
.LBB299_31:                             ;   in Loop: Header=BB299_4 Depth=1
	v_lshl_add_u64 v[18:19], s[24:25], 3, v[24:25]
	v_lshl_add_u64 v[24:25], s[6:7], 3, v[26:27]
	s_delay_alu instid0(VALU_DEP_2) | instskip(NEXT) | instid1(VALU_DEP_2)
	v_add_nc_u64_e32 v[20:21], v[18:19], v[22:23]
	v_add_nc_u64_e32 v[18:19], v[24:25], v[22:23]
	s_and_saveexec_b32 s26, s3
	s_cbranch_execz .LBB299_33
; %bb.32:                               ;   in Loop: Header=BB299_4 Depth=1
	global_load_b64 v[22:23], v[20:21], off
	s_wait_loadcnt 0x0
	v_mul_f64_e32 v[22:23], s[40:41], v[22:23]
	s_delay_alu instid0(VALU_DEP_1)
	v_fmac_f64_e32 v[22:23], s[10:11], v[16:17]
	global_store_b64 v[18:19], v[22:23], off
.LBB299_33:                             ;   in Loop: Header=BB299_4 Depth=1
	s_wait_xcnt 0x0
	s_or_b32 exec_lo, exec_lo, s26
	s_delay_alu instid0(SALU_CYCLE_1)
	s_and_b32 exec_lo, exec_lo, s4
	s_cbranch_execz .LBB299_2
; %bb.34:                               ;   in Loop: Header=BB299_4 Depth=1
	global_load_b64 v[16:17], v[20:21], off offset:128
	s_wait_loadcnt 0x0
	v_mul_f64_e32 v[16:17], s[40:41], v[16:17]
	s_delay_alu instid0(VALU_DEP_1)
	v_fmac_f64_e32 v[16:17], s[10:11], v[14:15]
	global_store_b64 v[18:19], v[16:17], off offset:128
	s_branch .LBB299_2
.LBB299_35:
	s_endpgm
	.section	.rodata,"a",@progbits
	.p2align	6, 0x0
	.amdhsa_kernel _ZN12_GLOBAL__N_135rocblas_gemm_batched_general_kernelIdLi16ELi16ELi32ELi32ELi8ELi32ELi8ELi8ELi32ELc78ELc84EKdS1_dEEvlllT_PT11_llS4_llS2_PT12_llPT13_lli
		.amdhsa_group_segment_fixed_size 4096
		.amdhsa_private_segment_fixed_size 0
		.amdhsa_kernarg_size 140
		.amdhsa_user_sgpr_count 2
		.amdhsa_user_sgpr_dispatch_ptr 0
		.amdhsa_user_sgpr_queue_ptr 0
		.amdhsa_user_sgpr_kernarg_segment_ptr 1
		.amdhsa_user_sgpr_dispatch_id 0
		.amdhsa_user_sgpr_kernarg_preload_length 0
		.amdhsa_user_sgpr_kernarg_preload_offset 0
		.amdhsa_user_sgpr_private_segment_size 0
		.amdhsa_wavefront_size32 1
		.amdhsa_uses_dynamic_stack 0
		.amdhsa_enable_private_segment 0
		.amdhsa_system_sgpr_workgroup_id_x 1
		.amdhsa_system_sgpr_workgroup_id_y 1
		.amdhsa_system_sgpr_workgroup_id_z 1
		.amdhsa_system_sgpr_workgroup_info 0
		.amdhsa_system_vgpr_workitem_id 1
		.amdhsa_next_free_vgpr 52
		.amdhsa_next_free_sgpr 52
		.amdhsa_named_barrier_count 0
		.amdhsa_reserve_vcc 1
		.amdhsa_float_round_mode_32 0
		.amdhsa_float_round_mode_16_64 0
		.amdhsa_float_denorm_mode_32 3
		.amdhsa_float_denorm_mode_16_64 3
		.amdhsa_fp16_overflow 0
		.amdhsa_memory_ordered 1
		.amdhsa_forward_progress 1
		.amdhsa_inst_pref_size 14
		.amdhsa_round_robin_scheduling 0
		.amdhsa_exception_fp_ieee_invalid_op 0
		.amdhsa_exception_fp_denorm_src 0
		.amdhsa_exception_fp_ieee_div_zero 0
		.amdhsa_exception_fp_ieee_overflow 0
		.amdhsa_exception_fp_ieee_underflow 0
		.amdhsa_exception_fp_ieee_inexact 0
		.amdhsa_exception_int_div_zero 0
	.end_amdhsa_kernel
	.section	.text._ZN12_GLOBAL__N_135rocblas_gemm_batched_general_kernelIdLi16ELi16ELi32ELi32ELi8ELi32ELi8ELi8ELi32ELc78ELc84EKdS1_dEEvlllT_PT11_llS4_llS2_PT12_llPT13_lli,"axG",@progbits,_ZN12_GLOBAL__N_135rocblas_gemm_batched_general_kernelIdLi16ELi16ELi32ELi32ELi8ELi32ELi8ELi8ELi32ELc78ELc84EKdS1_dEEvlllT_PT11_llS4_llS2_PT12_llPT13_lli,comdat
.Lfunc_end299:
	.size	_ZN12_GLOBAL__N_135rocblas_gemm_batched_general_kernelIdLi16ELi16ELi32ELi32ELi8ELi32ELi8ELi8ELi32ELc78ELc84EKdS1_dEEvlllT_PT11_llS4_llS2_PT12_llPT13_lli, .Lfunc_end299-_ZN12_GLOBAL__N_135rocblas_gemm_batched_general_kernelIdLi16ELi16ELi32ELi32ELi8ELi32ELi8ELi8ELi32ELc78ELc84EKdS1_dEEvlllT_PT11_llS4_llS2_PT12_llPT13_lli
                                        ; -- End function
	.set _ZN12_GLOBAL__N_135rocblas_gemm_batched_general_kernelIdLi16ELi16ELi32ELi32ELi8ELi32ELi8ELi8ELi32ELc78ELc84EKdS1_dEEvlllT_PT11_llS4_llS2_PT12_llPT13_lli.num_vgpr, 52
	.set _ZN12_GLOBAL__N_135rocblas_gemm_batched_general_kernelIdLi16ELi16ELi32ELi32ELi8ELi32ELi8ELi8ELi32ELc78ELc84EKdS1_dEEvlllT_PT11_llS4_llS2_PT12_llPT13_lli.num_agpr, 0
	.set _ZN12_GLOBAL__N_135rocblas_gemm_batched_general_kernelIdLi16ELi16ELi32ELi32ELi8ELi32ELi8ELi8ELi32ELc78ELc84EKdS1_dEEvlllT_PT11_llS4_llS2_PT12_llPT13_lli.numbered_sgpr, 52
	.set _ZN12_GLOBAL__N_135rocblas_gemm_batched_general_kernelIdLi16ELi16ELi32ELi32ELi8ELi32ELi8ELi8ELi32ELc78ELc84EKdS1_dEEvlllT_PT11_llS4_llS2_PT12_llPT13_lli.num_named_barrier, 0
	.set _ZN12_GLOBAL__N_135rocblas_gemm_batched_general_kernelIdLi16ELi16ELi32ELi32ELi8ELi32ELi8ELi8ELi32ELc78ELc84EKdS1_dEEvlllT_PT11_llS4_llS2_PT12_llPT13_lli.private_seg_size, 0
	.set _ZN12_GLOBAL__N_135rocblas_gemm_batched_general_kernelIdLi16ELi16ELi32ELi32ELi8ELi32ELi8ELi8ELi32ELc78ELc84EKdS1_dEEvlllT_PT11_llS4_llS2_PT12_llPT13_lli.uses_vcc, 1
	.set _ZN12_GLOBAL__N_135rocblas_gemm_batched_general_kernelIdLi16ELi16ELi32ELi32ELi8ELi32ELi8ELi8ELi32ELc78ELc84EKdS1_dEEvlllT_PT11_llS4_llS2_PT12_llPT13_lli.uses_flat_scratch, 0
	.set _ZN12_GLOBAL__N_135rocblas_gemm_batched_general_kernelIdLi16ELi16ELi32ELi32ELi8ELi32ELi8ELi8ELi32ELc78ELc84EKdS1_dEEvlllT_PT11_llS4_llS2_PT12_llPT13_lli.has_dyn_sized_stack, 0
	.set _ZN12_GLOBAL__N_135rocblas_gemm_batched_general_kernelIdLi16ELi16ELi32ELi32ELi8ELi32ELi8ELi8ELi32ELc78ELc84EKdS1_dEEvlllT_PT11_llS4_llS2_PT12_llPT13_lli.has_recursion, 0
	.set _ZN12_GLOBAL__N_135rocblas_gemm_batched_general_kernelIdLi16ELi16ELi32ELi32ELi8ELi32ELi8ELi8ELi32ELc78ELc84EKdS1_dEEvlllT_PT11_llS4_llS2_PT12_llPT13_lli.has_indirect_call, 0
	.section	.AMDGPU.csdata,"",@progbits
; Kernel info:
; codeLenInByte = 1700
; TotalNumSgprs: 54
; NumVgprs: 52
; ScratchSize: 0
; MemoryBound: 0
; FloatMode: 240
; IeeeMode: 1
; LDSByteSize: 4096 bytes/workgroup (compile time only)
; SGPRBlocks: 0
; VGPRBlocks: 3
; NumSGPRsForWavesPerEU: 54
; NumVGPRsForWavesPerEU: 52
; NamedBarCnt: 0
; Occupancy: 16
; WaveLimiterHint : 0
; COMPUTE_PGM_RSRC2:SCRATCH_EN: 0
; COMPUTE_PGM_RSRC2:USER_SGPR: 2
; COMPUTE_PGM_RSRC2:TRAP_HANDLER: 0
; COMPUTE_PGM_RSRC2:TGID_X_EN: 1
; COMPUTE_PGM_RSRC2:TGID_Y_EN: 1
; COMPUTE_PGM_RSRC2:TGID_Z_EN: 1
; COMPUTE_PGM_RSRC2:TIDIG_COMP_CNT: 1
	.section	.text._ZN12_GLOBAL__N_135rocblas_gemm_batched_general_kernelIdLi16ELi16ELi32ELi32ELi8ELi32ELi8ELi8ELi32ELc84ELc84EKdS1_dEEvlllT_PT11_llS4_llS2_PT12_llPT13_lli,"axG",@progbits,_ZN12_GLOBAL__N_135rocblas_gemm_batched_general_kernelIdLi16ELi16ELi32ELi32ELi8ELi32ELi8ELi8ELi32ELc84ELc84EKdS1_dEEvlllT_PT11_llS4_llS2_PT12_llPT13_lli,comdat
	.globl	_ZN12_GLOBAL__N_135rocblas_gemm_batched_general_kernelIdLi16ELi16ELi32ELi32ELi8ELi32ELi8ELi8ELi32ELc84ELc84EKdS1_dEEvlllT_PT11_llS4_llS2_PT12_llPT13_lli ; -- Begin function _ZN12_GLOBAL__N_135rocblas_gemm_batched_general_kernelIdLi16ELi16ELi32ELi32ELi8ELi32ELi8ELi8ELi32ELc84ELc84EKdS1_dEEvlllT_PT11_llS4_llS2_PT12_llPT13_lli
	.p2align	8
	.type	_ZN12_GLOBAL__N_135rocblas_gemm_batched_general_kernelIdLi16ELi16ELi32ELi32ELi8ELi32ELi8ELi8ELi32ELc84ELc84EKdS1_dEEvlllT_PT11_llS4_llS2_PT12_llPT13_lli,@function
_ZN12_GLOBAL__N_135rocblas_gemm_batched_general_kernelIdLi16ELi16ELi32ELi32ELi8ELi32ELi8ELi8ELi32ELc84ELc84EKdS1_dEEvlllT_PT11_llS4_llS2_PT12_llPT13_lli: ; @_ZN12_GLOBAL__N_135rocblas_gemm_batched_general_kernelIdLi16ELi16ELi32ELi32ELi8ELi32ELi8ELi8ELi32ELc84ELc84EKdS1_dEEvlllT_PT11_llS4_llS2_PT12_llPT13_lli
; %bb.0:
	s_load_b32 s26, s[0:1], 0x88
	s_bfe_u32 s2, ttmp6, 0x40014
	s_lshr_b32 s3, ttmp7, 16
	s_add_co_i32 s2, s2, 1
	s_bfe_u32 s5, ttmp6, 0x40008
	s_mul_i32 s4, s3, s2
	s_getreg_b32 s2, hwreg(HW_REG_IB_STS2, 6, 4)
	s_add_co_i32 s5, s5, s4
	s_cmp_eq_u32 s2, 0
	s_mov_b32 s21, 0
	s_cselect_b32 s20, s3, s5
	s_wait_kmcnt 0x0
	s_cmp_ge_i32 s20, s26
	s_cbranch_scc1 .LBB300_35
; %bb.1:
	s_clause 0x1
	s_load_b512 s[4:19], s[0:1], 0x0
	s_load_b512 s[36:51], s[0:1], 0x40
	v_bfe_u32 v8, v0, 10, 10
	v_and_b32_e32 v10, 0x3ff, v0
	v_dual_mov_b32 v9, 0 :: v_dual_bitop2_b32 v0, 7, v0 bitop3:0x40
	s_bfe_u32 s3, ttmp6, 0x4000c
	s_bfe_u32 s23, ttmp6, 0x40010
	s_add_co_i32 s3, s3, 1
	s_and_b32 s24, ttmp7, 0xffff
	s_add_co_i32 s23, s23, 1
	s_and_b32 s22, ttmp6, 15
	s_mul_i32 s3, ttmp9, s3
	s_mul_i32 s23, s24, s23
	s_bfe_u32 s25, ttmp6, 0x40004
	v_lshl_add_u32 v24, v8, 4, v10
	v_mov_b32_e32 v1, v9
	s_add_co_i32 s22, s22, s3
	s_add_co_i32 s25, s25, s23
	s_cmp_eq_u32 s2, 0
	v_and_b32_e32 v25, 31, v24
	s_cselect_b32 s2, ttmp9, s22
	s_wait_kmcnt 0x0
	v_mul_u64_e32 v[12:13], s[36:37], v[0:1]
	s_cselect_b32 s28, s24, s25
	s_ashr_i32 s3, s2, 31
	s_lshl_b32 s24, s28, 5
	s_lshl_b64 s[2:3], s[2:3], 5
	s_mov_b32 s25, s21
	v_dual_mov_b32 v15, s3 :: v_dual_bitop2_b32 v14, s2, v25 bitop3:0x54
	v_add_nc_u64_e32 v[16:17], s[24:25], v[8:9]
	v_cmp_eq_f64_e64 s27, s[40:41], 0
	v_lshlrev_b32_e32 v26, 3, v0
	v_lshl_add_u32 v32, v8, 6, 0x800
	v_mul_u64_e32 v[18:19], s[14:15], v[14:15]
	v_dual_lshrrev_b32 v2, 5, v24 :: v_dual_lshlrev_b32 v35, 3, v10
	v_mul_u64_e32 v[20:21], s[44:45], v[16:17]
	v_mul_u64_e32 v[4:5], s[50:51], v[16:17]
	v_dual_mov_b32 v11, v9 :: v_dual_lshlrev_b32 v8, 3, v25
	v_dual_mov_b32 v7, v9 :: v_dual_lshrrev_b32 v6, 3, v24
	v_mov_b32_e32 v3, v9
	s_mov_b32 s15, s21
	s_lshl_b32 s14, s28, 8
	v_lshl_or_b32 v33, v2, 8, v8
	v_and_b32_e32 v8, 0x1ff8, v24
	v_add_nc_u64_e32 v[22:23], s[24:25], v[6:7]
	v_lshl_or_b32 v25, v6, 6, v26
	v_add_nc_u64_e32 v[6:7], s[2:3], v[10:11]
	s_load_b64 s[22:23], s[0:1], 0x80
	s_wait_xcnt 0x0
	v_cmp_gt_i64_e64 s0, s[4:5], v[14:15]
	v_cmp_gt_i64_e64 s2, s[6:7], v[16:17]
	v_lshl_add_u64 v[12:13], v[12:13], 3, s[14:15]
	v_cmp_gt_i64_e64 s1, s[6:7], v[22:23]
	v_add_nc_u64_e32 v[22:23], 16, v[16:17]
	v_add_nc_u64_e32 v[14:15], 16, v[6:7]
	v_cmp_gt_i64_e64 s3, s[4:5], v[6:7]
	v_add_nc_u64_e32 v[10:11], v[12:13], v[8:9]
	v_lshlrev_b32_e32 v8, 3, v2
	v_cmp_gt_i64_e64 s28, s[8:9], 0
	v_add_nc_u32_e32 v34, 0x800, v25
	s_lshl_b64 s[14:15], s[44:45], 4
	v_cmp_gt_i64_e64 s4, s[4:5], v[14:15]
	v_cmp_gt_i64_e64 s5, s[6:7], v[22:23]
	v_lshl_add_u64 v[12:13], v[18:19], 3, v[8:9]
	v_add_nc_u64_e32 v[10:11], s[18:19], v[10:11]
	s_lshl_b64 s[6:7], s[50:51], 4
	v_lshl_add_u64 v[8:9], v[20:21], 3, s[42:43]
	s_lshl_b64 s[18:19], s[36:37], 6
	v_add_nc_u64_e32 v[12:13], s[12:13], v[12:13]
	s_lshl_b64 s[12:13], s[38:39], 3
	s_lshl_b64 s[16:17], s[16:17], 3
	s_branch .LBB300_4
.LBB300_2:                              ;   in Loop: Header=BB300_4 Depth=1
	s_wait_xcnt 0x0
	s_or_b32 exec_lo, exec_lo, s29
.LBB300_3:                              ;   in Loop: Header=BB300_4 Depth=1
	s_add_co_i32 s20, s20, 0x10000
	s_delay_alu instid0(SALU_CYCLE_1)
	s_cmp_lt_i32 s20, s26
	s_cbranch_scc0 .LBB300_35
.LBB300_4:                              ; =>This Loop Header: Depth=1
                                        ;     Child Loop BB300_7 Depth 2
	s_and_not1_b32 vcc_lo, exec_lo, s28
	s_cbranch_vccnz .LBB300_11
; %bb.5:                                ;   in Loop: Header=BB300_4 Depth=1
	v_mad_nc_u64_u32 v[22:23], s12, s20, v[10:11]
	v_mad_nc_u64_u32 v[24:25], s16, s20, v[12:13]
	v_mov_b64_e32 v[14:15], 0
	v_mov_b64_e32 v[16:17], 0
	;; [unrolled: 1-line block ×4, first 2 shown]
	s_mov_b64 s[24:25], 0
	v_mad_u32 v23, s13, s20, v23
	v_mad_u32 v25, s17, s20, v25
	s_branch .LBB300_7
.LBB300_6:                              ;   in Loop: Header=BB300_7 Depth=2
	s_wait_xcnt 0x0
	s_or_b32 exec_lo, exec_lo, s29
	s_wait_loadcnt 0x0
	ds_store_b64 v34, v[28:29]
	s_wait_dscnt 0x0
	s_barrier_signal -1
	s_barrier_wait -1
	ds_load_b128 v[26:29], v32
	ds_load_2addr_b64 v[36:39], v35 offset1:16
	ds_load_b128 v[40:43], v32 offset:1024
	ds_load_b128 v[44:47], v32 offset:16
	;; [unrolled: 1-line block ×3, first 2 shown]
	s_add_nc_u64 s[24:25], s[24:25], 8
	v_add_nc_u64_e32 v[22:23], s[18:19], v[22:23]
	v_cmp_lt_i64_e64 s29, s[24:25], s[8:9]
	v_add_nc_u64_e32 v[24:25], 64, v[24:25]
	s_and_b32 vcc_lo, exec_lo, s29
	s_wait_dscnt 0x3
	v_fmac_f64_e32 v[20:21], v[36:37], v[26:27]
	v_fmac_f64_e32 v[18:19], v[38:39], v[26:27]
	s_wait_dscnt 0x2
	v_fmac_f64_e32 v[16:17], v[36:37], v[40:41]
	v_fmac_f64_e32 v[14:15], v[38:39], v[40:41]
	ds_load_2addr_b64 v[36:39], v35 offset0:32 offset1:48
	s_wait_dscnt 0x0
	v_fmac_f64_e32 v[20:21], v[36:37], v[28:29]
	v_fmac_f64_e32 v[18:19], v[38:39], v[28:29]
	v_fmac_f64_e32 v[16:17], v[36:37], v[42:43]
	v_fmac_f64_e32 v[14:15], v[38:39], v[42:43]
	ds_load_2addr_b64 v[26:29], v35 offset0:64 offset1:80
	s_wait_dscnt 0x0
	v_fmac_f64_e32 v[20:21], v[26:27], v[44:45]
	v_fmac_f64_e32 v[18:19], v[28:29], v[44:45]
	;; [unrolled: 6-line block ×3, first 2 shown]
	v_fmac_f64_e32 v[16:17], v[26:27], v[50:51]
	v_fmac_f64_e32 v[14:15], v[28:29], v[50:51]
	ds_load_b128 v[26:29], v32 offset:32
	ds_load_2addr_b64 v[36:39], v35 offset0:128 offset1:144
	ds_load_b128 v[40:43], v32 offset:1056
	ds_load_b128 v[44:47], v32 offset:48
	;; [unrolled: 1-line block ×3, first 2 shown]
	s_wait_dscnt 0x3
	v_fmac_f64_e32 v[20:21], v[36:37], v[26:27]
	v_fmac_f64_e32 v[18:19], v[38:39], v[26:27]
	s_wait_dscnt 0x2
	v_fmac_f64_e32 v[16:17], v[36:37], v[40:41]
	v_fmac_f64_e32 v[14:15], v[38:39], v[40:41]
	ds_load_2addr_b64 v[36:39], v35 offset0:160 offset1:176
	s_wait_dscnt 0x0
	v_fmac_f64_e32 v[20:21], v[36:37], v[28:29]
	v_fmac_f64_e32 v[18:19], v[38:39], v[28:29]
	;; [unrolled: 1-line block ×4, first 2 shown]
	ds_load_2addr_b64 v[26:29], v35 offset0:192 offset1:208
	s_wait_dscnt 0x0
	v_fmac_f64_e32 v[20:21], v[26:27], v[44:45]
	v_fmac_f64_e32 v[18:19], v[28:29], v[44:45]
	;; [unrolled: 1-line block ×4, first 2 shown]
	ds_load_2addr_b64 v[26:29], v35 offset0:224 offset1:240
	s_wait_dscnt 0x0
	s_barrier_signal -1
	s_barrier_wait -1
	v_fmac_f64_e32 v[20:21], v[26:27], v[46:47]
	v_fmac_f64_e32 v[18:19], v[28:29], v[46:47]
	;; [unrolled: 1-line block ×4, first 2 shown]
	s_cbranch_vccz .LBB300_12
.LBB300_7:                              ;   Parent Loop BB300_4 Depth=1
                                        ; =>  This Inner Loop Header: Depth=2
	v_add_nc_u64_e32 v[26:27], s[24:25], v[2:3]
	s_delay_alu instid0(VALU_DEP_1) | instskip(SKIP_2) | instid1(SALU_CYCLE_1)
	v_cmp_gt_i64_e32 vcc_lo, s[8:9], v[26:27]
	v_mov_b64_e32 v[26:27], 0
	s_and_b32 s30, s0, vcc_lo
	s_and_saveexec_b32 s29, s30
	s_cbranch_execz .LBB300_9
; %bb.8:                                ;   in Loop: Header=BB300_7 Depth=2
	global_load_b64 v[26:27], v[24:25], off
.LBB300_9:                              ;   in Loop: Header=BB300_7 Depth=2
	s_wait_xcnt 0x0
	s_or_b32 exec_lo, exec_lo, s29
	v_add_nc_u64_e32 v[28:29], s[24:25], v[0:1]
	s_wait_loadcnt 0x0
	ds_store_b64 v33, v[26:27]
	v_cmp_gt_i64_e32 vcc_lo, s[8:9], v[28:29]
	v_mov_b64_e32 v[28:29], 0
	s_and_b32 s30, vcc_lo, s1
	s_delay_alu instid0(SALU_CYCLE_1)
	s_and_saveexec_b32 s29, s30
	s_cbranch_execz .LBB300_6
; %bb.10:                               ;   in Loop: Header=BB300_7 Depth=2
	global_load_b64 v[28:29], v[22:23], off
	s_branch .LBB300_6
.LBB300_11:                             ;   in Loop: Header=BB300_4 Depth=1
	v_mov_b64_e32 v[20:21], 0
	v_mov_b64_e32 v[18:19], 0
	;; [unrolled: 1-line block ×4, first 2 shown]
.LBB300_12:                             ;   in Loop: Header=BB300_4 Depth=1
	s_wait_kmcnt 0x0
	s_mul_u64 s[24:25], s[22:23], s[20:21]
	s_and_not1_b32 vcc_lo, exec_lo, s27
	s_lshl_b64 s[24:25], s[24:25], 3
	s_delay_alu instid0(SALU_CYCLE_1)
	s_add_nc_u64 s[24:25], s[48:49], s[24:25]
	s_cbranch_vccnz .LBB300_17
; %bb.13:                               ;   in Loop: Header=BB300_4 Depth=1
	s_and_saveexec_b32 s29, s2
	s_cbranch_execz .LBB300_24
; %bb.14:                               ;   in Loop: Header=BB300_4 Depth=1
	v_lshl_add_u64 v[22:23], v[4:5], 3, s[24:25]
	s_delay_alu instid0(VALU_DEP_1)
	v_lshl_add_u64 v[24:25], v[6:7], 3, v[22:23]
	s_and_saveexec_b32 s30, s3
	s_cbranch_execnz .LBB300_18
; %bb.15:                               ;   in Loop: Header=BB300_4 Depth=1
	s_or_b32 exec_lo, exec_lo, s30
	s_and_saveexec_b32 s30, s4
	s_cbranch_execnz .LBB300_19
.LBB300_16:                             ;   in Loop: Header=BB300_4 Depth=1
	s_or_b32 exec_lo, exec_lo, s30
	s_delay_alu instid0(SALU_CYCLE_1)
	s_and_b32 exec_lo, exec_lo, s5
	s_cbranch_execnz .LBB300_20
	s_branch .LBB300_24
.LBB300_17:                             ;   in Loop: Header=BB300_4 Depth=1
	s_branch .LBB300_25
.LBB300_18:                             ;   in Loop: Header=BB300_4 Depth=1
	v_mul_f64_e32 v[26:27], s[10:11], v[20:21]
	global_store_b64 v[24:25], v[26:27], off
	s_wait_xcnt 0x0
	s_or_b32 exec_lo, exec_lo, s30
	s_and_saveexec_b32 s30, s4
	s_cbranch_execz .LBB300_16
.LBB300_19:                             ;   in Loop: Header=BB300_4 Depth=1
	v_mul_f64_e32 v[26:27], s[10:11], v[18:19]
	global_store_b64 v[24:25], v[26:27], off offset:128
	s_wait_xcnt 0x0
	s_or_b32 exec_lo, exec_lo, s30
	s_delay_alu instid0(SALU_CYCLE_1)
	s_and_b32 exec_lo, exec_lo, s5
	s_cbranch_execz .LBB300_24
.LBB300_20:                             ;   in Loop: Header=BB300_4 Depth=1
	v_lshl_add_u64 v[22:23], s[6:7], 3, v[22:23]
	s_delay_alu instid0(VALU_DEP_1)
	v_lshl_add_u64 v[22:23], v[6:7], 3, v[22:23]
	s_and_saveexec_b32 s30, s3
	s_cbranch_execz .LBB300_22
; %bb.21:                               ;   in Loop: Header=BB300_4 Depth=1
	v_mul_f64_e32 v[24:25], s[10:11], v[16:17]
	global_store_b64 v[22:23], v[24:25], off
.LBB300_22:                             ;   in Loop: Header=BB300_4 Depth=1
	s_wait_xcnt 0x0
	s_or_b32 exec_lo, exec_lo, s30
	s_delay_alu instid0(SALU_CYCLE_1)
	s_and_b32 exec_lo, exec_lo, s4
	s_cbranch_execz .LBB300_24
; %bb.23:                               ;   in Loop: Header=BB300_4 Depth=1
	v_mul_f64_e32 v[24:25], s[10:11], v[14:15]
	global_store_b64 v[22:23], v[24:25], off offset:128
.LBB300_24:                             ;   in Loop: Header=BB300_4 Depth=1
	s_wait_xcnt 0x0
	s_or_b32 exec_lo, exec_lo, s29
	s_cbranch_execnz .LBB300_3
.LBB300_25:                             ;   in Loop: Header=BB300_4 Depth=1
	s_and_saveexec_b32 s29, s2
	s_cbranch_execz .LBB300_2
; %bb.26:                               ;   in Loop: Header=BB300_4 Depth=1
	s_mul_u64 s[30:31], s[46:47], s[20:21]
	v_lshlrev_b64_e32 v[22:23], 3, v[6:7]
	v_lshl_add_u64 v[24:25], s[30:31], 3, v[8:9]
	v_lshl_add_u64 v[26:27], v[4:5], 3, s[24:25]
	s_delay_alu instid0(VALU_DEP_2) | instskip(NEXT) | instid1(VALU_DEP_2)
	v_add_nc_u64_e32 v[30:31], v[24:25], v[22:23]
	v_add_nc_u64_e32 v[28:29], v[26:27], v[22:23]
	s_and_saveexec_b32 s24, s3
	s_cbranch_execnz .LBB300_29
; %bb.27:                               ;   in Loop: Header=BB300_4 Depth=1
	s_or_b32 exec_lo, exec_lo, s24
	s_and_saveexec_b32 s24, s4
	s_cbranch_execnz .LBB300_30
.LBB300_28:                             ;   in Loop: Header=BB300_4 Depth=1
	s_or_b32 exec_lo, exec_lo, s24
	s_delay_alu instid0(SALU_CYCLE_1)
	s_and_b32 exec_lo, exec_lo, s5
	s_cbranch_execz .LBB300_2
	s_branch .LBB300_31
.LBB300_29:                             ;   in Loop: Header=BB300_4 Depth=1
	global_load_b64 v[36:37], v[30:31], off
	s_wait_loadcnt 0x0
	v_mul_f64_e32 v[36:37], s[40:41], v[36:37]
	s_delay_alu instid0(VALU_DEP_1)
	v_fmac_f64_e32 v[36:37], s[10:11], v[20:21]
	global_store_b64 v[28:29], v[36:37], off
	s_wait_xcnt 0x0
	s_or_b32 exec_lo, exec_lo, s24
	s_and_saveexec_b32 s24, s4
	s_cbranch_execz .LBB300_28
.LBB300_30:                             ;   in Loop: Header=BB300_4 Depth=1
	global_load_b64 v[20:21], v[30:31], off offset:128
	s_wait_loadcnt 0x0
	v_mul_f64_e32 v[20:21], s[40:41], v[20:21]
	s_delay_alu instid0(VALU_DEP_1) | instskip(SKIP_3) | instid1(SALU_CYCLE_1)
	v_fmac_f64_e32 v[20:21], s[10:11], v[18:19]
	global_store_b64 v[28:29], v[20:21], off offset:128
	s_wait_xcnt 0x0
	s_or_b32 exec_lo, exec_lo, s24
	s_and_b32 exec_lo, exec_lo, s5
	s_cbranch_execz .LBB300_2
.LBB300_31:                             ;   in Loop: Header=BB300_4 Depth=1
	v_lshl_add_u64 v[18:19], s[14:15], 3, v[24:25]
	v_lshl_add_u64 v[24:25], s[6:7], 3, v[26:27]
	s_delay_alu instid0(VALU_DEP_2) | instskip(NEXT) | instid1(VALU_DEP_2)
	v_add_nc_u64_e32 v[20:21], v[18:19], v[22:23]
	v_add_nc_u64_e32 v[18:19], v[24:25], v[22:23]
	s_and_saveexec_b32 s24, s3
	s_cbranch_execz .LBB300_33
; %bb.32:                               ;   in Loop: Header=BB300_4 Depth=1
	global_load_b64 v[22:23], v[20:21], off
	s_wait_loadcnt 0x0
	v_mul_f64_e32 v[22:23], s[40:41], v[22:23]
	s_delay_alu instid0(VALU_DEP_1)
	v_fmac_f64_e32 v[22:23], s[10:11], v[16:17]
	global_store_b64 v[18:19], v[22:23], off
.LBB300_33:                             ;   in Loop: Header=BB300_4 Depth=1
	s_wait_xcnt 0x0
	s_or_b32 exec_lo, exec_lo, s24
	s_delay_alu instid0(SALU_CYCLE_1)
	s_and_b32 exec_lo, exec_lo, s4
	s_cbranch_execz .LBB300_2
; %bb.34:                               ;   in Loop: Header=BB300_4 Depth=1
	global_load_b64 v[16:17], v[20:21], off offset:128
	s_wait_loadcnt 0x0
	v_mul_f64_e32 v[16:17], s[40:41], v[16:17]
	s_delay_alu instid0(VALU_DEP_1)
	v_fmac_f64_e32 v[16:17], s[10:11], v[14:15]
	global_store_b64 v[18:19], v[16:17], off offset:128
	s_branch .LBB300_2
.LBB300_35:
	s_endpgm
	.section	.rodata,"a",@progbits
	.p2align	6, 0x0
	.amdhsa_kernel _ZN12_GLOBAL__N_135rocblas_gemm_batched_general_kernelIdLi16ELi16ELi32ELi32ELi8ELi32ELi8ELi8ELi32ELc84ELc84EKdS1_dEEvlllT_PT11_llS4_llS2_PT12_llPT13_lli
		.amdhsa_group_segment_fixed_size 4096
		.amdhsa_private_segment_fixed_size 0
		.amdhsa_kernarg_size 140
		.amdhsa_user_sgpr_count 2
		.amdhsa_user_sgpr_dispatch_ptr 0
		.amdhsa_user_sgpr_queue_ptr 0
		.amdhsa_user_sgpr_kernarg_segment_ptr 1
		.amdhsa_user_sgpr_dispatch_id 0
		.amdhsa_user_sgpr_kernarg_preload_length 0
		.amdhsa_user_sgpr_kernarg_preload_offset 0
		.amdhsa_user_sgpr_private_segment_size 0
		.amdhsa_wavefront_size32 1
		.amdhsa_uses_dynamic_stack 0
		.amdhsa_enable_private_segment 0
		.amdhsa_system_sgpr_workgroup_id_x 1
		.amdhsa_system_sgpr_workgroup_id_y 1
		.amdhsa_system_sgpr_workgroup_id_z 1
		.amdhsa_system_sgpr_workgroup_info 0
		.amdhsa_system_vgpr_workitem_id 1
		.amdhsa_next_free_vgpr 52
		.amdhsa_next_free_sgpr 52
		.amdhsa_named_barrier_count 0
		.amdhsa_reserve_vcc 1
		.amdhsa_float_round_mode_32 0
		.amdhsa_float_round_mode_16_64 0
		.amdhsa_float_denorm_mode_32 3
		.amdhsa_float_denorm_mode_16_64 3
		.amdhsa_fp16_overflow 0
		.amdhsa_memory_ordered 1
		.amdhsa_forward_progress 1
		.amdhsa_inst_pref_size 14
		.amdhsa_round_robin_scheduling 0
		.amdhsa_exception_fp_ieee_invalid_op 0
		.amdhsa_exception_fp_denorm_src 0
		.amdhsa_exception_fp_ieee_div_zero 0
		.amdhsa_exception_fp_ieee_overflow 0
		.amdhsa_exception_fp_ieee_underflow 0
		.amdhsa_exception_fp_ieee_inexact 0
		.amdhsa_exception_int_div_zero 0
	.end_amdhsa_kernel
	.section	.text._ZN12_GLOBAL__N_135rocblas_gemm_batched_general_kernelIdLi16ELi16ELi32ELi32ELi8ELi32ELi8ELi8ELi32ELc84ELc84EKdS1_dEEvlllT_PT11_llS4_llS2_PT12_llPT13_lli,"axG",@progbits,_ZN12_GLOBAL__N_135rocblas_gemm_batched_general_kernelIdLi16ELi16ELi32ELi32ELi8ELi32ELi8ELi8ELi32ELc84ELc84EKdS1_dEEvlllT_PT11_llS4_llS2_PT12_llPT13_lli,comdat
.Lfunc_end300:
	.size	_ZN12_GLOBAL__N_135rocblas_gemm_batched_general_kernelIdLi16ELi16ELi32ELi32ELi8ELi32ELi8ELi8ELi32ELc84ELc84EKdS1_dEEvlllT_PT11_llS4_llS2_PT12_llPT13_lli, .Lfunc_end300-_ZN12_GLOBAL__N_135rocblas_gemm_batched_general_kernelIdLi16ELi16ELi32ELi32ELi8ELi32ELi8ELi8ELi32ELc84ELc84EKdS1_dEEvlllT_PT11_llS4_llS2_PT12_llPT13_lli
                                        ; -- End function
	.set _ZN12_GLOBAL__N_135rocblas_gemm_batched_general_kernelIdLi16ELi16ELi32ELi32ELi8ELi32ELi8ELi8ELi32ELc84ELc84EKdS1_dEEvlllT_PT11_llS4_llS2_PT12_llPT13_lli.num_vgpr, 52
	.set _ZN12_GLOBAL__N_135rocblas_gemm_batched_general_kernelIdLi16ELi16ELi32ELi32ELi8ELi32ELi8ELi8ELi32ELc84ELc84EKdS1_dEEvlllT_PT11_llS4_llS2_PT12_llPT13_lli.num_agpr, 0
	.set _ZN12_GLOBAL__N_135rocblas_gemm_batched_general_kernelIdLi16ELi16ELi32ELi32ELi8ELi32ELi8ELi8ELi32ELc84ELc84EKdS1_dEEvlllT_PT11_llS4_llS2_PT12_llPT13_lli.numbered_sgpr, 52
	.set _ZN12_GLOBAL__N_135rocblas_gemm_batched_general_kernelIdLi16ELi16ELi32ELi32ELi8ELi32ELi8ELi8ELi32ELc84ELc84EKdS1_dEEvlllT_PT11_llS4_llS2_PT12_llPT13_lli.num_named_barrier, 0
	.set _ZN12_GLOBAL__N_135rocblas_gemm_batched_general_kernelIdLi16ELi16ELi32ELi32ELi8ELi32ELi8ELi8ELi32ELc84ELc84EKdS1_dEEvlllT_PT11_llS4_llS2_PT12_llPT13_lli.private_seg_size, 0
	.set _ZN12_GLOBAL__N_135rocblas_gemm_batched_general_kernelIdLi16ELi16ELi32ELi32ELi8ELi32ELi8ELi8ELi32ELc84ELc84EKdS1_dEEvlllT_PT11_llS4_llS2_PT12_llPT13_lli.uses_vcc, 1
	.set _ZN12_GLOBAL__N_135rocblas_gemm_batched_general_kernelIdLi16ELi16ELi32ELi32ELi8ELi32ELi8ELi8ELi32ELc84ELc84EKdS1_dEEvlllT_PT11_llS4_llS2_PT12_llPT13_lli.uses_flat_scratch, 0
	.set _ZN12_GLOBAL__N_135rocblas_gemm_batched_general_kernelIdLi16ELi16ELi32ELi32ELi8ELi32ELi8ELi8ELi32ELc84ELc84EKdS1_dEEvlllT_PT11_llS4_llS2_PT12_llPT13_lli.has_dyn_sized_stack, 0
	.set _ZN12_GLOBAL__N_135rocblas_gemm_batched_general_kernelIdLi16ELi16ELi32ELi32ELi8ELi32ELi8ELi8ELi32ELc84ELc84EKdS1_dEEvlllT_PT11_llS4_llS2_PT12_llPT13_lli.has_recursion, 0
	.set _ZN12_GLOBAL__N_135rocblas_gemm_batched_general_kernelIdLi16ELi16ELi32ELi32ELi8ELi32ELi8ELi8ELi32ELc84ELc84EKdS1_dEEvlllT_PT11_llS4_llS2_PT12_llPT13_lli.has_indirect_call, 0
	.section	.AMDGPU.csdata,"",@progbits
; Kernel info:
; codeLenInByte = 1676
; TotalNumSgprs: 54
; NumVgprs: 52
; ScratchSize: 0
; MemoryBound: 0
; FloatMode: 240
; IeeeMode: 1
; LDSByteSize: 4096 bytes/workgroup (compile time only)
; SGPRBlocks: 0
; VGPRBlocks: 3
; NumSGPRsForWavesPerEU: 54
; NumVGPRsForWavesPerEU: 52
; NamedBarCnt: 0
; Occupancy: 16
; WaveLimiterHint : 0
; COMPUTE_PGM_RSRC2:SCRATCH_EN: 0
; COMPUTE_PGM_RSRC2:USER_SGPR: 2
; COMPUTE_PGM_RSRC2:TRAP_HANDLER: 0
; COMPUTE_PGM_RSRC2:TGID_X_EN: 1
; COMPUTE_PGM_RSRC2:TGID_Y_EN: 1
; COMPUTE_PGM_RSRC2:TGID_Z_EN: 1
; COMPUTE_PGM_RSRC2:TIDIG_COMP_CNT: 1
	.section	.text._ZN12_GLOBAL__N_135rocblas_gemm_batched_general_kernelIdLi16ELi16ELi32ELi32ELi8ELi32ELi8ELi8ELi32ELc67ELc67EKdS1_dEEvlllT_PT11_llS4_llS2_PT12_llPT13_lli,"axG",@progbits,_ZN12_GLOBAL__N_135rocblas_gemm_batched_general_kernelIdLi16ELi16ELi32ELi32ELi8ELi32ELi8ELi8ELi32ELc67ELc67EKdS1_dEEvlllT_PT11_llS4_llS2_PT12_llPT13_lli,comdat
	.globl	_ZN12_GLOBAL__N_135rocblas_gemm_batched_general_kernelIdLi16ELi16ELi32ELi32ELi8ELi32ELi8ELi8ELi32ELc67ELc67EKdS1_dEEvlllT_PT11_llS4_llS2_PT12_llPT13_lli ; -- Begin function _ZN12_GLOBAL__N_135rocblas_gemm_batched_general_kernelIdLi16ELi16ELi32ELi32ELi8ELi32ELi8ELi8ELi32ELc67ELc67EKdS1_dEEvlllT_PT11_llS4_llS2_PT12_llPT13_lli
	.p2align	8
	.type	_ZN12_GLOBAL__N_135rocblas_gemm_batched_general_kernelIdLi16ELi16ELi32ELi32ELi8ELi32ELi8ELi8ELi32ELc67ELc67EKdS1_dEEvlllT_PT11_llS4_llS2_PT12_llPT13_lli,@function
_ZN12_GLOBAL__N_135rocblas_gemm_batched_general_kernelIdLi16ELi16ELi32ELi32ELi8ELi32ELi8ELi8ELi32ELc67ELc67EKdS1_dEEvlllT_PT11_llS4_llS2_PT12_llPT13_lli: ; @_ZN12_GLOBAL__N_135rocblas_gemm_batched_general_kernelIdLi16ELi16ELi32ELi32ELi8ELi32ELi8ELi8ELi32ELc67ELc67EKdS1_dEEvlllT_PT11_llS4_llS2_PT12_llPT13_lli
; %bb.0:
	s_load_b32 s26, s[0:1], 0x88
	s_bfe_u32 s2, ttmp6, 0x40014
	s_lshr_b32 s3, ttmp7, 16
	s_add_co_i32 s2, s2, 1
	s_bfe_u32 s5, ttmp6, 0x40008
	s_mul_i32 s4, s3, s2
	s_getreg_b32 s2, hwreg(HW_REG_IB_STS2, 6, 4)
	s_add_co_i32 s5, s5, s4
	s_cmp_eq_u32 s2, 0
	s_mov_b32 s21, 0
	s_cselect_b32 s20, s3, s5
	s_wait_kmcnt 0x0
	s_cmp_ge_i32 s20, s26
	s_cbranch_scc1 .LBB301_35
; %bb.1:
	s_clause 0x1
	s_load_b512 s[4:19], s[0:1], 0x0
	s_load_b512 s[36:51], s[0:1], 0x40
	v_bfe_u32 v8, v0, 10, 10
	v_and_b32_e32 v10, 0x3ff, v0
	v_dual_mov_b32 v9, 0 :: v_dual_bitop2_b32 v0, 7, v0 bitop3:0x40
	s_bfe_u32 s3, ttmp6, 0x4000c
	s_bfe_u32 s23, ttmp6, 0x40010
	s_add_co_i32 s3, s3, 1
	s_and_b32 s24, ttmp7, 0xffff
	s_add_co_i32 s23, s23, 1
	s_and_b32 s22, ttmp6, 15
	s_mul_i32 s3, ttmp9, s3
	s_mul_i32 s23, s24, s23
	s_bfe_u32 s25, ttmp6, 0x40004
	v_lshl_add_u32 v24, v8, 4, v10
	v_mov_b32_e32 v1, v9
	s_add_co_i32 s22, s22, s3
	s_add_co_i32 s25, s25, s23
	s_cmp_eq_u32 s2, 0
	v_and_b32_e32 v25, 31, v24
	s_cselect_b32 s2, ttmp9, s22
	s_wait_kmcnt 0x0
	v_mul_u64_e32 v[12:13], s[36:37], v[0:1]
	s_cselect_b32 s28, s24, s25
	s_ashr_i32 s3, s2, 31
	s_lshl_b32 s24, s28, 5
	s_lshl_b64 s[2:3], s[2:3], 5
	s_mov_b32 s25, s21
	v_dual_mov_b32 v15, s3 :: v_dual_bitop2_b32 v14, s2, v25 bitop3:0x54
	v_add_nc_u64_e32 v[16:17], s[24:25], v[8:9]
	v_cmp_eq_f64_e64 s27, s[40:41], 0
	v_lshlrev_b32_e32 v26, 3, v0
	v_lshl_add_u32 v32, v8, 6, 0x800
	v_mul_u64_e32 v[18:19], s[14:15], v[14:15]
	v_dual_lshrrev_b32 v2, 5, v24 :: v_dual_lshlrev_b32 v35, 3, v10
	v_mul_u64_e32 v[20:21], s[44:45], v[16:17]
	v_mul_u64_e32 v[4:5], s[50:51], v[16:17]
	v_dual_mov_b32 v11, v9 :: v_dual_lshlrev_b32 v8, 3, v25
	v_dual_mov_b32 v7, v9 :: v_dual_lshrrev_b32 v6, 3, v24
	v_mov_b32_e32 v3, v9
	s_mov_b32 s15, s21
	s_lshl_b32 s14, s28, 8
	v_lshl_or_b32 v33, v2, 8, v8
	v_and_b32_e32 v8, 0x1ff8, v24
	v_add_nc_u64_e32 v[22:23], s[24:25], v[6:7]
	v_lshl_or_b32 v25, v6, 6, v26
	v_add_nc_u64_e32 v[6:7], s[2:3], v[10:11]
	s_load_b64 s[22:23], s[0:1], 0x80
	s_wait_xcnt 0x0
	v_cmp_gt_i64_e64 s0, s[4:5], v[14:15]
	v_cmp_gt_i64_e64 s2, s[6:7], v[16:17]
	v_lshl_add_u64 v[12:13], v[12:13], 3, s[14:15]
	v_cmp_gt_i64_e64 s1, s[6:7], v[22:23]
	v_add_nc_u64_e32 v[22:23], 16, v[16:17]
	v_add_nc_u64_e32 v[14:15], 16, v[6:7]
	v_cmp_gt_i64_e64 s3, s[4:5], v[6:7]
	v_add_nc_u64_e32 v[10:11], v[12:13], v[8:9]
	v_lshlrev_b32_e32 v8, 3, v2
	v_cmp_gt_i64_e64 s28, s[8:9], 0
	v_add_nc_u32_e32 v34, 0x800, v25
	s_lshl_b64 s[14:15], s[44:45], 4
	v_cmp_gt_i64_e64 s4, s[4:5], v[14:15]
	v_cmp_gt_i64_e64 s5, s[6:7], v[22:23]
	v_lshl_add_u64 v[12:13], v[18:19], 3, v[8:9]
	v_add_nc_u64_e32 v[10:11], s[18:19], v[10:11]
	s_lshl_b64 s[6:7], s[50:51], 4
	v_lshl_add_u64 v[8:9], v[20:21], 3, s[42:43]
	s_lshl_b64 s[18:19], s[36:37], 6
	v_add_nc_u64_e32 v[12:13], s[12:13], v[12:13]
	s_lshl_b64 s[12:13], s[38:39], 3
	s_lshl_b64 s[16:17], s[16:17], 3
	s_branch .LBB301_4
.LBB301_2:                              ;   in Loop: Header=BB301_4 Depth=1
	s_wait_xcnt 0x0
	s_or_b32 exec_lo, exec_lo, s29
.LBB301_3:                              ;   in Loop: Header=BB301_4 Depth=1
	s_add_co_i32 s20, s20, 0x10000
	s_delay_alu instid0(SALU_CYCLE_1)
	s_cmp_lt_i32 s20, s26
	s_cbranch_scc0 .LBB301_35
.LBB301_4:                              ; =>This Loop Header: Depth=1
                                        ;     Child Loop BB301_7 Depth 2
	s_and_not1_b32 vcc_lo, exec_lo, s28
	s_cbranch_vccnz .LBB301_11
; %bb.5:                                ;   in Loop: Header=BB301_4 Depth=1
	v_mad_nc_u64_u32 v[22:23], s12, s20, v[10:11]
	v_mad_nc_u64_u32 v[24:25], s16, s20, v[12:13]
	v_mov_b64_e32 v[14:15], 0
	v_mov_b64_e32 v[16:17], 0
	;; [unrolled: 1-line block ×4, first 2 shown]
	s_mov_b64 s[24:25], 0
	v_mad_u32 v23, s13, s20, v23
	v_mad_u32 v25, s17, s20, v25
	s_branch .LBB301_7
.LBB301_6:                              ;   in Loop: Header=BB301_7 Depth=2
	s_wait_xcnt 0x0
	s_or_b32 exec_lo, exec_lo, s29
	s_wait_loadcnt 0x0
	ds_store_b64 v34, v[28:29]
	s_wait_dscnt 0x0
	s_barrier_signal -1
	s_barrier_wait -1
	ds_load_b128 v[26:29], v32
	ds_load_2addr_b64 v[36:39], v35 offset1:16
	ds_load_b128 v[40:43], v32 offset:1024
	ds_load_b128 v[44:47], v32 offset:16
	;; [unrolled: 1-line block ×3, first 2 shown]
	s_add_nc_u64 s[24:25], s[24:25], 8
	v_add_nc_u64_e32 v[22:23], s[18:19], v[22:23]
	v_cmp_lt_i64_e64 s29, s[24:25], s[8:9]
	v_add_nc_u64_e32 v[24:25], 64, v[24:25]
	s_and_b32 vcc_lo, exec_lo, s29
	s_wait_dscnt 0x3
	v_fmac_f64_e32 v[20:21], v[36:37], v[26:27]
	v_fmac_f64_e32 v[18:19], v[38:39], v[26:27]
	s_wait_dscnt 0x2
	v_fmac_f64_e32 v[16:17], v[36:37], v[40:41]
	v_fmac_f64_e32 v[14:15], v[38:39], v[40:41]
	ds_load_2addr_b64 v[36:39], v35 offset0:32 offset1:48
	s_wait_dscnt 0x0
	v_fmac_f64_e32 v[20:21], v[36:37], v[28:29]
	v_fmac_f64_e32 v[18:19], v[38:39], v[28:29]
	v_fmac_f64_e32 v[16:17], v[36:37], v[42:43]
	v_fmac_f64_e32 v[14:15], v[38:39], v[42:43]
	ds_load_2addr_b64 v[26:29], v35 offset0:64 offset1:80
	s_wait_dscnt 0x0
	v_fmac_f64_e32 v[20:21], v[26:27], v[44:45]
	v_fmac_f64_e32 v[18:19], v[28:29], v[44:45]
	;; [unrolled: 6-line block ×3, first 2 shown]
	v_fmac_f64_e32 v[16:17], v[26:27], v[50:51]
	v_fmac_f64_e32 v[14:15], v[28:29], v[50:51]
	ds_load_b128 v[26:29], v32 offset:32
	ds_load_2addr_b64 v[36:39], v35 offset0:128 offset1:144
	ds_load_b128 v[40:43], v32 offset:1056
	ds_load_b128 v[44:47], v32 offset:48
	;; [unrolled: 1-line block ×3, first 2 shown]
	s_wait_dscnt 0x3
	v_fmac_f64_e32 v[20:21], v[36:37], v[26:27]
	v_fmac_f64_e32 v[18:19], v[38:39], v[26:27]
	s_wait_dscnt 0x2
	v_fmac_f64_e32 v[16:17], v[36:37], v[40:41]
	v_fmac_f64_e32 v[14:15], v[38:39], v[40:41]
	ds_load_2addr_b64 v[36:39], v35 offset0:160 offset1:176
	s_wait_dscnt 0x0
	v_fmac_f64_e32 v[20:21], v[36:37], v[28:29]
	v_fmac_f64_e32 v[18:19], v[38:39], v[28:29]
	;; [unrolled: 1-line block ×4, first 2 shown]
	ds_load_2addr_b64 v[26:29], v35 offset0:192 offset1:208
	s_wait_dscnt 0x0
	v_fmac_f64_e32 v[20:21], v[26:27], v[44:45]
	v_fmac_f64_e32 v[18:19], v[28:29], v[44:45]
	;; [unrolled: 1-line block ×4, first 2 shown]
	ds_load_2addr_b64 v[26:29], v35 offset0:224 offset1:240
	s_wait_dscnt 0x0
	s_barrier_signal -1
	s_barrier_wait -1
	v_fmac_f64_e32 v[20:21], v[26:27], v[46:47]
	v_fmac_f64_e32 v[18:19], v[28:29], v[46:47]
	;; [unrolled: 1-line block ×4, first 2 shown]
	s_cbranch_vccz .LBB301_12
.LBB301_7:                              ;   Parent Loop BB301_4 Depth=1
                                        ; =>  This Inner Loop Header: Depth=2
	v_add_nc_u64_e32 v[26:27], s[24:25], v[2:3]
	s_delay_alu instid0(VALU_DEP_1) | instskip(SKIP_2) | instid1(SALU_CYCLE_1)
	v_cmp_gt_i64_e32 vcc_lo, s[8:9], v[26:27]
	v_mov_b64_e32 v[26:27], 0
	s_and_b32 s30, s0, vcc_lo
	s_and_saveexec_b32 s29, s30
	s_cbranch_execz .LBB301_9
; %bb.8:                                ;   in Loop: Header=BB301_7 Depth=2
	global_load_b64 v[26:27], v[24:25], off
.LBB301_9:                              ;   in Loop: Header=BB301_7 Depth=2
	s_wait_xcnt 0x0
	s_or_b32 exec_lo, exec_lo, s29
	v_add_nc_u64_e32 v[28:29], s[24:25], v[0:1]
	s_wait_loadcnt 0x0
	ds_store_b64 v33, v[26:27]
	v_cmp_gt_i64_e32 vcc_lo, s[8:9], v[28:29]
	v_mov_b64_e32 v[28:29], 0
	s_and_b32 s30, vcc_lo, s1
	s_delay_alu instid0(SALU_CYCLE_1)
	s_and_saveexec_b32 s29, s30
	s_cbranch_execz .LBB301_6
; %bb.10:                               ;   in Loop: Header=BB301_7 Depth=2
	global_load_b64 v[28:29], v[22:23], off
	s_branch .LBB301_6
.LBB301_11:                             ;   in Loop: Header=BB301_4 Depth=1
	v_mov_b64_e32 v[20:21], 0
	v_mov_b64_e32 v[18:19], 0
	;; [unrolled: 1-line block ×4, first 2 shown]
.LBB301_12:                             ;   in Loop: Header=BB301_4 Depth=1
	s_wait_kmcnt 0x0
	s_mul_u64 s[24:25], s[22:23], s[20:21]
	s_and_not1_b32 vcc_lo, exec_lo, s27
	s_lshl_b64 s[24:25], s[24:25], 3
	s_delay_alu instid0(SALU_CYCLE_1)
	s_add_nc_u64 s[24:25], s[48:49], s[24:25]
	s_cbranch_vccnz .LBB301_17
; %bb.13:                               ;   in Loop: Header=BB301_4 Depth=1
	s_and_saveexec_b32 s29, s2
	s_cbranch_execz .LBB301_24
; %bb.14:                               ;   in Loop: Header=BB301_4 Depth=1
	v_lshl_add_u64 v[22:23], v[4:5], 3, s[24:25]
	s_delay_alu instid0(VALU_DEP_1)
	v_lshl_add_u64 v[24:25], v[6:7], 3, v[22:23]
	s_and_saveexec_b32 s30, s3
	s_cbranch_execnz .LBB301_18
; %bb.15:                               ;   in Loop: Header=BB301_4 Depth=1
	s_or_b32 exec_lo, exec_lo, s30
	s_and_saveexec_b32 s30, s4
	s_cbranch_execnz .LBB301_19
.LBB301_16:                             ;   in Loop: Header=BB301_4 Depth=1
	s_or_b32 exec_lo, exec_lo, s30
	s_delay_alu instid0(SALU_CYCLE_1)
	s_and_b32 exec_lo, exec_lo, s5
	s_cbranch_execnz .LBB301_20
	s_branch .LBB301_24
.LBB301_17:                             ;   in Loop: Header=BB301_4 Depth=1
	s_branch .LBB301_25
.LBB301_18:                             ;   in Loop: Header=BB301_4 Depth=1
	v_mul_f64_e32 v[26:27], s[10:11], v[20:21]
	global_store_b64 v[24:25], v[26:27], off
	s_wait_xcnt 0x0
	s_or_b32 exec_lo, exec_lo, s30
	s_and_saveexec_b32 s30, s4
	s_cbranch_execz .LBB301_16
.LBB301_19:                             ;   in Loop: Header=BB301_4 Depth=1
	v_mul_f64_e32 v[26:27], s[10:11], v[18:19]
	global_store_b64 v[24:25], v[26:27], off offset:128
	s_wait_xcnt 0x0
	s_or_b32 exec_lo, exec_lo, s30
	s_delay_alu instid0(SALU_CYCLE_1)
	s_and_b32 exec_lo, exec_lo, s5
	s_cbranch_execz .LBB301_24
.LBB301_20:                             ;   in Loop: Header=BB301_4 Depth=1
	v_lshl_add_u64 v[22:23], s[6:7], 3, v[22:23]
	s_delay_alu instid0(VALU_DEP_1)
	v_lshl_add_u64 v[22:23], v[6:7], 3, v[22:23]
	s_and_saveexec_b32 s30, s3
	s_cbranch_execz .LBB301_22
; %bb.21:                               ;   in Loop: Header=BB301_4 Depth=1
	v_mul_f64_e32 v[24:25], s[10:11], v[16:17]
	global_store_b64 v[22:23], v[24:25], off
.LBB301_22:                             ;   in Loop: Header=BB301_4 Depth=1
	s_wait_xcnt 0x0
	s_or_b32 exec_lo, exec_lo, s30
	s_delay_alu instid0(SALU_CYCLE_1)
	s_and_b32 exec_lo, exec_lo, s4
	s_cbranch_execz .LBB301_24
; %bb.23:                               ;   in Loop: Header=BB301_4 Depth=1
	v_mul_f64_e32 v[24:25], s[10:11], v[14:15]
	global_store_b64 v[22:23], v[24:25], off offset:128
.LBB301_24:                             ;   in Loop: Header=BB301_4 Depth=1
	s_wait_xcnt 0x0
	s_or_b32 exec_lo, exec_lo, s29
	s_cbranch_execnz .LBB301_3
.LBB301_25:                             ;   in Loop: Header=BB301_4 Depth=1
	s_and_saveexec_b32 s29, s2
	s_cbranch_execz .LBB301_2
; %bb.26:                               ;   in Loop: Header=BB301_4 Depth=1
	s_mul_u64 s[30:31], s[46:47], s[20:21]
	v_lshlrev_b64_e32 v[22:23], 3, v[6:7]
	v_lshl_add_u64 v[24:25], s[30:31], 3, v[8:9]
	v_lshl_add_u64 v[26:27], v[4:5], 3, s[24:25]
	s_delay_alu instid0(VALU_DEP_2) | instskip(NEXT) | instid1(VALU_DEP_2)
	v_add_nc_u64_e32 v[30:31], v[24:25], v[22:23]
	v_add_nc_u64_e32 v[28:29], v[26:27], v[22:23]
	s_and_saveexec_b32 s24, s3
	s_cbranch_execnz .LBB301_29
; %bb.27:                               ;   in Loop: Header=BB301_4 Depth=1
	s_or_b32 exec_lo, exec_lo, s24
	s_and_saveexec_b32 s24, s4
	s_cbranch_execnz .LBB301_30
.LBB301_28:                             ;   in Loop: Header=BB301_4 Depth=1
	s_or_b32 exec_lo, exec_lo, s24
	s_delay_alu instid0(SALU_CYCLE_1)
	s_and_b32 exec_lo, exec_lo, s5
	s_cbranch_execz .LBB301_2
	s_branch .LBB301_31
.LBB301_29:                             ;   in Loop: Header=BB301_4 Depth=1
	global_load_b64 v[36:37], v[30:31], off
	s_wait_loadcnt 0x0
	v_mul_f64_e32 v[36:37], s[40:41], v[36:37]
	s_delay_alu instid0(VALU_DEP_1)
	v_fmac_f64_e32 v[36:37], s[10:11], v[20:21]
	global_store_b64 v[28:29], v[36:37], off
	s_wait_xcnt 0x0
	s_or_b32 exec_lo, exec_lo, s24
	s_and_saveexec_b32 s24, s4
	s_cbranch_execz .LBB301_28
.LBB301_30:                             ;   in Loop: Header=BB301_4 Depth=1
	global_load_b64 v[20:21], v[30:31], off offset:128
	s_wait_loadcnt 0x0
	v_mul_f64_e32 v[20:21], s[40:41], v[20:21]
	s_delay_alu instid0(VALU_DEP_1) | instskip(SKIP_3) | instid1(SALU_CYCLE_1)
	v_fmac_f64_e32 v[20:21], s[10:11], v[18:19]
	global_store_b64 v[28:29], v[20:21], off offset:128
	s_wait_xcnt 0x0
	s_or_b32 exec_lo, exec_lo, s24
	s_and_b32 exec_lo, exec_lo, s5
	s_cbranch_execz .LBB301_2
.LBB301_31:                             ;   in Loop: Header=BB301_4 Depth=1
	v_lshl_add_u64 v[18:19], s[14:15], 3, v[24:25]
	v_lshl_add_u64 v[24:25], s[6:7], 3, v[26:27]
	s_delay_alu instid0(VALU_DEP_2) | instskip(NEXT) | instid1(VALU_DEP_2)
	v_add_nc_u64_e32 v[20:21], v[18:19], v[22:23]
	v_add_nc_u64_e32 v[18:19], v[24:25], v[22:23]
	s_and_saveexec_b32 s24, s3
	s_cbranch_execz .LBB301_33
; %bb.32:                               ;   in Loop: Header=BB301_4 Depth=1
	global_load_b64 v[22:23], v[20:21], off
	s_wait_loadcnt 0x0
	v_mul_f64_e32 v[22:23], s[40:41], v[22:23]
	s_delay_alu instid0(VALU_DEP_1)
	v_fmac_f64_e32 v[22:23], s[10:11], v[16:17]
	global_store_b64 v[18:19], v[22:23], off
.LBB301_33:                             ;   in Loop: Header=BB301_4 Depth=1
	s_wait_xcnt 0x0
	s_or_b32 exec_lo, exec_lo, s24
	s_delay_alu instid0(SALU_CYCLE_1)
	s_and_b32 exec_lo, exec_lo, s4
	s_cbranch_execz .LBB301_2
; %bb.34:                               ;   in Loop: Header=BB301_4 Depth=1
	global_load_b64 v[16:17], v[20:21], off offset:128
	s_wait_loadcnt 0x0
	v_mul_f64_e32 v[16:17], s[40:41], v[16:17]
	s_delay_alu instid0(VALU_DEP_1)
	v_fmac_f64_e32 v[16:17], s[10:11], v[14:15]
	global_store_b64 v[18:19], v[16:17], off offset:128
	s_branch .LBB301_2
.LBB301_35:
	s_endpgm
	.section	.rodata,"a",@progbits
	.p2align	6, 0x0
	.amdhsa_kernel _ZN12_GLOBAL__N_135rocblas_gemm_batched_general_kernelIdLi16ELi16ELi32ELi32ELi8ELi32ELi8ELi8ELi32ELc67ELc67EKdS1_dEEvlllT_PT11_llS4_llS2_PT12_llPT13_lli
		.amdhsa_group_segment_fixed_size 4096
		.amdhsa_private_segment_fixed_size 0
		.amdhsa_kernarg_size 140
		.amdhsa_user_sgpr_count 2
		.amdhsa_user_sgpr_dispatch_ptr 0
		.amdhsa_user_sgpr_queue_ptr 0
		.amdhsa_user_sgpr_kernarg_segment_ptr 1
		.amdhsa_user_sgpr_dispatch_id 0
		.amdhsa_user_sgpr_kernarg_preload_length 0
		.amdhsa_user_sgpr_kernarg_preload_offset 0
		.amdhsa_user_sgpr_private_segment_size 0
		.amdhsa_wavefront_size32 1
		.amdhsa_uses_dynamic_stack 0
		.amdhsa_enable_private_segment 0
		.amdhsa_system_sgpr_workgroup_id_x 1
		.amdhsa_system_sgpr_workgroup_id_y 1
		.amdhsa_system_sgpr_workgroup_id_z 1
		.amdhsa_system_sgpr_workgroup_info 0
		.amdhsa_system_vgpr_workitem_id 1
		.amdhsa_next_free_vgpr 52
		.amdhsa_next_free_sgpr 52
		.amdhsa_named_barrier_count 0
		.amdhsa_reserve_vcc 1
		.amdhsa_float_round_mode_32 0
		.amdhsa_float_round_mode_16_64 0
		.amdhsa_float_denorm_mode_32 3
		.amdhsa_float_denorm_mode_16_64 3
		.amdhsa_fp16_overflow 0
		.amdhsa_memory_ordered 1
		.amdhsa_forward_progress 1
		.amdhsa_inst_pref_size 14
		.amdhsa_round_robin_scheduling 0
		.amdhsa_exception_fp_ieee_invalid_op 0
		.amdhsa_exception_fp_denorm_src 0
		.amdhsa_exception_fp_ieee_div_zero 0
		.amdhsa_exception_fp_ieee_overflow 0
		.amdhsa_exception_fp_ieee_underflow 0
		.amdhsa_exception_fp_ieee_inexact 0
		.amdhsa_exception_int_div_zero 0
	.end_amdhsa_kernel
	.section	.text._ZN12_GLOBAL__N_135rocblas_gemm_batched_general_kernelIdLi16ELi16ELi32ELi32ELi8ELi32ELi8ELi8ELi32ELc67ELc67EKdS1_dEEvlllT_PT11_llS4_llS2_PT12_llPT13_lli,"axG",@progbits,_ZN12_GLOBAL__N_135rocblas_gemm_batched_general_kernelIdLi16ELi16ELi32ELi32ELi8ELi32ELi8ELi8ELi32ELc67ELc67EKdS1_dEEvlllT_PT11_llS4_llS2_PT12_llPT13_lli,comdat
.Lfunc_end301:
	.size	_ZN12_GLOBAL__N_135rocblas_gemm_batched_general_kernelIdLi16ELi16ELi32ELi32ELi8ELi32ELi8ELi8ELi32ELc67ELc67EKdS1_dEEvlllT_PT11_llS4_llS2_PT12_llPT13_lli, .Lfunc_end301-_ZN12_GLOBAL__N_135rocblas_gemm_batched_general_kernelIdLi16ELi16ELi32ELi32ELi8ELi32ELi8ELi8ELi32ELc67ELc67EKdS1_dEEvlllT_PT11_llS4_llS2_PT12_llPT13_lli
                                        ; -- End function
	.set _ZN12_GLOBAL__N_135rocblas_gemm_batched_general_kernelIdLi16ELi16ELi32ELi32ELi8ELi32ELi8ELi8ELi32ELc67ELc67EKdS1_dEEvlllT_PT11_llS4_llS2_PT12_llPT13_lli.num_vgpr, 52
	.set _ZN12_GLOBAL__N_135rocblas_gemm_batched_general_kernelIdLi16ELi16ELi32ELi32ELi8ELi32ELi8ELi8ELi32ELc67ELc67EKdS1_dEEvlllT_PT11_llS4_llS2_PT12_llPT13_lli.num_agpr, 0
	.set _ZN12_GLOBAL__N_135rocblas_gemm_batched_general_kernelIdLi16ELi16ELi32ELi32ELi8ELi32ELi8ELi8ELi32ELc67ELc67EKdS1_dEEvlllT_PT11_llS4_llS2_PT12_llPT13_lli.numbered_sgpr, 52
	.set _ZN12_GLOBAL__N_135rocblas_gemm_batched_general_kernelIdLi16ELi16ELi32ELi32ELi8ELi32ELi8ELi8ELi32ELc67ELc67EKdS1_dEEvlllT_PT11_llS4_llS2_PT12_llPT13_lli.num_named_barrier, 0
	.set _ZN12_GLOBAL__N_135rocblas_gemm_batched_general_kernelIdLi16ELi16ELi32ELi32ELi8ELi32ELi8ELi8ELi32ELc67ELc67EKdS1_dEEvlllT_PT11_llS4_llS2_PT12_llPT13_lli.private_seg_size, 0
	.set _ZN12_GLOBAL__N_135rocblas_gemm_batched_general_kernelIdLi16ELi16ELi32ELi32ELi8ELi32ELi8ELi8ELi32ELc67ELc67EKdS1_dEEvlllT_PT11_llS4_llS2_PT12_llPT13_lli.uses_vcc, 1
	.set _ZN12_GLOBAL__N_135rocblas_gemm_batched_general_kernelIdLi16ELi16ELi32ELi32ELi8ELi32ELi8ELi8ELi32ELc67ELc67EKdS1_dEEvlllT_PT11_llS4_llS2_PT12_llPT13_lli.uses_flat_scratch, 0
	.set _ZN12_GLOBAL__N_135rocblas_gemm_batched_general_kernelIdLi16ELi16ELi32ELi32ELi8ELi32ELi8ELi8ELi32ELc67ELc67EKdS1_dEEvlllT_PT11_llS4_llS2_PT12_llPT13_lli.has_dyn_sized_stack, 0
	.set _ZN12_GLOBAL__N_135rocblas_gemm_batched_general_kernelIdLi16ELi16ELi32ELi32ELi8ELi32ELi8ELi8ELi32ELc67ELc67EKdS1_dEEvlllT_PT11_llS4_llS2_PT12_llPT13_lli.has_recursion, 0
	.set _ZN12_GLOBAL__N_135rocblas_gemm_batched_general_kernelIdLi16ELi16ELi32ELi32ELi8ELi32ELi8ELi8ELi32ELc67ELc67EKdS1_dEEvlllT_PT11_llS4_llS2_PT12_llPT13_lli.has_indirect_call, 0
	.section	.AMDGPU.csdata,"",@progbits
; Kernel info:
; codeLenInByte = 1676
; TotalNumSgprs: 54
; NumVgprs: 52
; ScratchSize: 0
; MemoryBound: 0
; FloatMode: 240
; IeeeMode: 1
; LDSByteSize: 4096 bytes/workgroup (compile time only)
; SGPRBlocks: 0
; VGPRBlocks: 3
; NumSGPRsForWavesPerEU: 54
; NumVGPRsForWavesPerEU: 52
; NamedBarCnt: 0
; Occupancy: 16
; WaveLimiterHint : 0
; COMPUTE_PGM_RSRC2:SCRATCH_EN: 0
; COMPUTE_PGM_RSRC2:USER_SGPR: 2
; COMPUTE_PGM_RSRC2:TRAP_HANDLER: 0
; COMPUTE_PGM_RSRC2:TGID_X_EN: 1
; COMPUTE_PGM_RSRC2:TGID_Y_EN: 1
; COMPUTE_PGM_RSRC2:TGID_Z_EN: 1
; COMPUTE_PGM_RSRC2:TIDIG_COMP_CNT: 1
	.section	.text._ZN12_GLOBAL__N_135rocblas_gemm_batched_general_kernelIdLi16ELi16ELi32ELi32ELi8ELi32ELi8ELi8ELi32ELc67ELc78EKdS1_dEEvlllT_PT11_llS4_llS2_PT12_llPT13_lli,"axG",@progbits,_ZN12_GLOBAL__N_135rocblas_gemm_batched_general_kernelIdLi16ELi16ELi32ELi32ELi8ELi32ELi8ELi8ELi32ELc67ELc78EKdS1_dEEvlllT_PT11_llS4_llS2_PT12_llPT13_lli,comdat
	.globl	_ZN12_GLOBAL__N_135rocblas_gemm_batched_general_kernelIdLi16ELi16ELi32ELi32ELi8ELi32ELi8ELi8ELi32ELc67ELc78EKdS1_dEEvlllT_PT11_llS4_llS2_PT12_llPT13_lli ; -- Begin function _ZN12_GLOBAL__N_135rocblas_gemm_batched_general_kernelIdLi16ELi16ELi32ELi32ELi8ELi32ELi8ELi8ELi32ELc67ELc78EKdS1_dEEvlllT_PT11_llS4_llS2_PT12_llPT13_lli
	.p2align	8
	.type	_ZN12_GLOBAL__N_135rocblas_gemm_batched_general_kernelIdLi16ELi16ELi32ELi32ELi8ELi32ELi8ELi8ELi32ELc67ELc78EKdS1_dEEvlllT_PT11_llS4_llS2_PT12_llPT13_lli,@function
_ZN12_GLOBAL__N_135rocblas_gemm_batched_general_kernelIdLi16ELi16ELi32ELi32ELi8ELi32ELi8ELi8ELi32ELc67ELc78EKdS1_dEEvlllT_PT11_llS4_llS2_PT12_llPT13_lli: ; @_ZN12_GLOBAL__N_135rocblas_gemm_batched_general_kernelIdLi16ELi16ELi32ELi32ELi8ELi32ELi8ELi8ELi32ELc67ELc78EKdS1_dEEvlllT_PT11_llS4_llS2_PT12_llPT13_lli
; %bb.0:
	s_load_b32 s24, s[0:1], 0x88
	s_bfe_u32 s2, ttmp6, 0x40014
	s_lshr_b32 s3, ttmp7, 16
	s_add_co_i32 s2, s2, 1
	s_bfe_u32 s5, ttmp6, 0x40008
	s_mul_i32 s4, s3, s2
	s_getreg_b32 s2, hwreg(HW_REG_IB_STS2, 6, 4)
	s_add_co_i32 s5, s5, s4
	s_cmp_eq_u32 s2, 0
	s_mov_b32 s21, 0
	s_cselect_b32 s20, s3, s5
	s_wait_kmcnt 0x0
	s_cmp_ge_i32 s20, s24
	s_cbranch_scc1 .LBB302_35
; %bb.1:
	v_bfe_u32 v8, v0, 10, 10
	v_and_b32_e32 v10, 0x3ff, v0
	s_clause 0x1
	s_load_b512 s[4:19], s[0:1], 0x0
	s_load_b512 s[36:51], s[0:1], 0x40
	s_bfe_u32 s3, ttmp6, 0x4000c
	s_bfe_u32 s23, ttmp6, 0x40010
	s_add_co_i32 s3, s3, 1
	s_and_b32 s25, ttmp7, 0xffff
	s_add_co_i32 s23, s23, 1
	v_lshl_add_u32 v1, v8, 4, v10
	v_mov_b32_e32 v9, 0
	s_and_b32 s22, ttmp6, 15
	s_mul_i32 s3, ttmp9, s3
	s_mul_i32 s23, s25, s23
	s_bfe_u32 s26, ttmp6, 0x40004
	s_add_co_i32 s22, s22, s3
	s_add_co_i32 s26, s26, s23
	s_cmp_eq_u32 s2, 0
	v_dual_lshrrev_b32 v6, 3, v1 :: v_dual_bitop2_b32 v25, 31, v1 bitop3:0x40
	v_mov_b32_e32 v7, v9
	s_cselect_b32 s2, ttmp9, s22
	s_cselect_b32 s22, s25, s26
	s_ashr_i32 s3, s2, 31
	s_lshl_b32 s22, s22, 5
	s_mov_b32 s23, s21
	s_lshl_b64 s[2:3], s[2:3], 5
	v_add_nc_u64_e32 v[12:13], s[22:23], v[6:7]
	v_dual_mov_b32 v15, s3 :: v_dual_bitop2_b32 v14, s2, v25 bitop3:0x54
	v_add_nc_u64_e32 v[16:17], s[22:23], v[8:9]
	v_dual_mov_b32 v11, v9 :: v_dual_bitop2_b32 v0, 7, v0 bitop3:0x40
	s_wait_kmcnt 0x0
	v_cmp_eq_f64_e64 s25, s[40:41], 0
	v_mul_u64_e32 v[18:19], s[36:37], v[12:13]
	v_mul_u64_e32 v[20:21], s[14:15], v[14:15]
	v_dual_lshrrev_b32 v2, 5, v1 :: v_dual_lshlrev_b32 v24, 3, v0
	v_mul_u64_e32 v[22:23], s[44:45], v[16:17]
	v_mul_u64_e32 v[4:5], s[50:51], v[16:17]
	v_dual_mov_b32 v3, v9 :: v_dual_lshlrev_b32 v25, 3, v25
	s_delay_alu instid0(VALU_DEP_4)
	v_lshl_or_b32 v26, v6, 6, v24
	v_add_nc_u64_e32 v[6:7], s[2:3], v[10:11]
	s_load_b64 s[14:15], s[0:1], 0x80
	v_dual_mov_b32 v1, v9 :: v_dual_lshlrev_b32 v34, 3, v10
	v_lshl_or_b32 v32, v2, 8, v25
	v_lshl_add_u32 v35, v8, 6, 0x800
	v_dual_mov_b32 v25, v9 :: v_dual_lshlrev_b32 v8, 3, v2
	v_add_nc_u64_e32 v[10:11], 16, v[6:7]
	s_wait_xcnt 0x0
	v_cmp_gt_i64_e64 s1, s[6:7], v[12:13]
	v_add_nc_u64_e32 v[12:13], 16, v[16:17]
	v_cmp_gt_i64_e64 s0, s[4:5], v[14:15]
	v_cmp_gt_i64_e64 s3, s[4:5], v[6:7]
	;; [unrolled: 1-line block ×5, first 2 shown]
	v_add_nc_u32_e32 v33, 0x800, v26
	v_cmp_gt_i64_e64 s5, s[6:7], v[12:13]
	s_lshl_b64 s[6:7], s[50:51], 4
	s_lshl_b64 s[16:17], s[16:17], 3
	v_lshl_add_u64 v[10:11], v[18:19], 3, v[24:25]
	v_lshl_add_u64 v[14:15], v[20:21], 3, v[8:9]
	;; [unrolled: 1-line block ×3, first 2 shown]
	s_delay_alu instid0(VALU_DEP_3) | instskip(NEXT) | instid1(VALU_DEP_3)
	v_add_nc_u64_e32 v[10:11], s[18:19], v[10:11]
	v_add_nc_u64_e32 v[12:13], s[12:13], v[14:15]
	s_lshl_b64 s[12:13], s[44:45], 4
	s_lshl_b64 s[18:19], s[38:39], 3
	s_branch .LBB302_4
.LBB302_2:                              ;   in Loop: Header=BB302_4 Depth=1
	s_wait_xcnt 0x0
	s_or_b32 exec_lo, exec_lo, s27
.LBB302_3:                              ;   in Loop: Header=BB302_4 Depth=1
	s_add_co_i32 s20, s20, 0x10000
	s_delay_alu instid0(SALU_CYCLE_1)
	s_cmp_lt_i32 s20, s24
	s_cbranch_scc0 .LBB302_35
.LBB302_4:                              ; =>This Loop Header: Depth=1
                                        ;     Child Loop BB302_7 Depth 2
	s_and_not1_b32 vcc_lo, exec_lo, s26
	s_cbranch_vccnz .LBB302_11
; %bb.5:                                ;   in Loop: Header=BB302_4 Depth=1
	v_mad_nc_u64_u32 v[22:23], s18, s20, v[10:11]
	v_mad_nc_u64_u32 v[24:25], s16, s20, v[12:13]
	v_mov_b64_e32 v[14:15], 0
	v_mov_b64_e32 v[16:17], 0
	;; [unrolled: 1-line block ×4, first 2 shown]
	s_mov_b64 s[22:23], 0
	v_mad_u32 v23, s19, s20, v23
	v_mad_u32 v25, s17, s20, v25
	s_branch .LBB302_7
.LBB302_6:                              ;   in Loop: Header=BB302_7 Depth=2
	s_wait_xcnt 0x0
	s_or_b32 exec_lo, exec_lo, s27
	s_wait_loadcnt 0x0
	ds_store_b64 v33, v[28:29]
	s_wait_dscnt 0x0
	s_barrier_signal -1
	s_barrier_wait -1
	ds_load_b128 v[26:29], v35
	ds_load_2addr_b64 v[36:39], v34 offset1:16
	ds_load_b128 v[40:43], v35 offset:1024
	ds_load_b128 v[44:47], v35 offset:16
	;; [unrolled: 1-line block ×3, first 2 shown]
	s_add_nc_u64 s[22:23], s[22:23], 8
	v_add_nc_u64_e32 v[22:23], 64, v[22:23]
	v_cmp_lt_i64_e64 s27, s[22:23], s[8:9]
	v_add_nc_u64_e32 v[24:25], 64, v[24:25]
	s_and_b32 vcc_lo, exec_lo, s27
	s_wait_dscnt 0x3
	v_fmac_f64_e32 v[20:21], v[36:37], v[26:27]
	v_fmac_f64_e32 v[18:19], v[38:39], v[26:27]
	s_wait_dscnt 0x2
	v_fmac_f64_e32 v[16:17], v[36:37], v[40:41]
	v_fmac_f64_e32 v[14:15], v[38:39], v[40:41]
	ds_load_2addr_b64 v[36:39], v34 offset0:32 offset1:48
	s_wait_dscnt 0x0
	v_fmac_f64_e32 v[20:21], v[36:37], v[28:29]
	v_fmac_f64_e32 v[18:19], v[38:39], v[28:29]
	v_fmac_f64_e32 v[16:17], v[36:37], v[42:43]
	v_fmac_f64_e32 v[14:15], v[38:39], v[42:43]
	ds_load_2addr_b64 v[26:29], v34 offset0:64 offset1:80
	s_wait_dscnt 0x0
	v_fmac_f64_e32 v[20:21], v[26:27], v[44:45]
	v_fmac_f64_e32 v[18:19], v[28:29], v[44:45]
	;; [unrolled: 6-line block ×3, first 2 shown]
	v_fmac_f64_e32 v[16:17], v[26:27], v[50:51]
	v_fmac_f64_e32 v[14:15], v[28:29], v[50:51]
	ds_load_b128 v[26:29], v35 offset:32
	ds_load_2addr_b64 v[36:39], v34 offset0:128 offset1:144
	ds_load_b128 v[40:43], v35 offset:1056
	ds_load_b128 v[44:47], v35 offset:48
	ds_load_b128 v[48:51], v35 offset:1072
	s_wait_dscnt 0x3
	v_fmac_f64_e32 v[20:21], v[36:37], v[26:27]
	v_fmac_f64_e32 v[18:19], v[38:39], v[26:27]
	s_wait_dscnt 0x2
	v_fmac_f64_e32 v[16:17], v[36:37], v[40:41]
	v_fmac_f64_e32 v[14:15], v[38:39], v[40:41]
	ds_load_2addr_b64 v[36:39], v34 offset0:160 offset1:176
	s_wait_dscnt 0x0
	v_fmac_f64_e32 v[20:21], v[36:37], v[28:29]
	v_fmac_f64_e32 v[18:19], v[38:39], v[28:29]
	;; [unrolled: 1-line block ×4, first 2 shown]
	ds_load_2addr_b64 v[26:29], v34 offset0:192 offset1:208
	s_wait_dscnt 0x0
	v_fmac_f64_e32 v[20:21], v[26:27], v[44:45]
	v_fmac_f64_e32 v[18:19], v[28:29], v[44:45]
	;; [unrolled: 1-line block ×4, first 2 shown]
	ds_load_2addr_b64 v[26:29], v34 offset0:224 offset1:240
	s_wait_dscnt 0x0
	s_barrier_signal -1
	s_barrier_wait -1
	v_fmac_f64_e32 v[20:21], v[26:27], v[46:47]
	v_fmac_f64_e32 v[18:19], v[28:29], v[46:47]
	;; [unrolled: 1-line block ×4, first 2 shown]
	s_cbranch_vccz .LBB302_12
.LBB302_7:                              ;   Parent Loop BB302_4 Depth=1
                                        ; =>  This Inner Loop Header: Depth=2
	v_add_nc_u64_e32 v[26:27], s[22:23], v[2:3]
	s_delay_alu instid0(VALU_DEP_1) | instskip(SKIP_2) | instid1(SALU_CYCLE_1)
	v_cmp_gt_i64_e32 vcc_lo, s[8:9], v[26:27]
	v_mov_b64_e32 v[26:27], 0
	s_and_b32 s28, s0, vcc_lo
	s_and_saveexec_b32 s27, s28
	s_cbranch_execz .LBB302_9
; %bb.8:                                ;   in Loop: Header=BB302_7 Depth=2
	global_load_b64 v[26:27], v[24:25], off
.LBB302_9:                              ;   in Loop: Header=BB302_7 Depth=2
	s_wait_xcnt 0x0
	s_or_b32 exec_lo, exec_lo, s27
	v_add_nc_u64_e32 v[28:29], s[22:23], v[0:1]
	s_wait_loadcnt 0x0
	ds_store_b64 v32, v[26:27]
	v_cmp_gt_i64_e32 vcc_lo, s[8:9], v[28:29]
	v_mov_b64_e32 v[28:29], 0
	s_and_b32 s28, vcc_lo, s1
	s_delay_alu instid0(SALU_CYCLE_1)
	s_and_saveexec_b32 s27, s28
	s_cbranch_execz .LBB302_6
; %bb.10:                               ;   in Loop: Header=BB302_7 Depth=2
	global_load_b64 v[28:29], v[22:23], off
	s_branch .LBB302_6
.LBB302_11:                             ;   in Loop: Header=BB302_4 Depth=1
	v_mov_b64_e32 v[20:21], 0
	v_mov_b64_e32 v[18:19], 0
	;; [unrolled: 1-line block ×4, first 2 shown]
.LBB302_12:                             ;   in Loop: Header=BB302_4 Depth=1
	s_wait_kmcnt 0x0
	s_mul_u64 s[22:23], s[14:15], s[20:21]
	s_and_not1_b32 vcc_lo, exec_lo, s25
	s_lshl_b64 s[22:23], s[22:23], 3
	s_delay_alu instid0(SALU_CYCLE_1)
	s_add_nc_u64 s[22:23], s[48:49], s[22:23]
	s_cbranch_vccnz .LBB302_17
; %bb.13:                               ;   in Loop: Header=BB302_4 Depth=1
	s_and_saveexec_b32 s27, s2
	s_cbranch_execz .LBB302_24
; %bb.14:                               ;   in Loop: Header=BB302_4 Depth=1
	v_lshl_add_u64 v[22:23], v[4:5], 3, s[22:23]
	s_delay_alu instid0(VALU_DEP_1)
	v_lshl_add_u64 v[24:25], v[6:7], 3, v[22:23]
	s_and_saveexec_b32 s28, s3
	s_cbranch_execnz .LBB302_18
; %bb.15:                               ;   in Loop: Header=BB302_4 Depth=1
	s_or_b32 exec_lo, exec_lo, s28
	s_and_saveexec_b32 s28, s4
	s_cbranch_execnz .LBB302_19
.LBB302_16:                             ;   in Loop: Header=BB302_4 Depth=1
	s_or_b32 exec_lo, exec_lo, s28
	s_delay_alu instid0(SALU_CYCLE_1)
	s_and_b32 exec_lo, exec_lo, s5
	s_cbranch_execnz .LBB302_20
	s_branch .LBB302_24
.LBB302_17:                             ;   in Loop: Header=BB302_4 Depth=1
	s_branch .LBB302_25
.LBB302_18:                             ;   in Loop: Header=BB302_4 Depth=1
	v_mul_f64_e32 v[26:27], s[10:11], v[20:21]
	global_store_b64 v[24:25], v[26:27], off
	s_wait_xcnt 0x0
	s_or_b32 exec_lo, exec_lo, s28
	s_and_saveexec_b32 s28, s4
	s_cbranch_execz .LBB302_16
.LBB302_19:                             ;   in Loop: Header=BB302_4 Depth=1
	v_mul_f64_e32 v[26:27], s[10:11], v[18:19]
	global_store_b64 v[24:25], v[26:27], off offset:128
	s_wait_xcnt 0x0
	s_or_b32 exec_lo, exec_lo, s28
	s_delay_alu instid0(SALU_CYCLE_1)
	s_and_b32 exec_lo, exec_lo, s5
	s_cbranch_execz .LBB302_24
.LBB302_20:                             ;   in Loop: Header=BB302_4 Depth=1
	v_lshl_add_u64 v[22:23], s[6:7], 3, v[22:23]
	s_delay_alu instid0(VALU_DEP_1)
	v_lshl_add_u64 v[22:23], v[6:7], 3, v[22:23]
	s_and_saveexec_b32 s28, s3
	s_cbranch_execz .LBB302_22
; %bb.21:                               ;   in Loop: Header=BB302_4 Depth=1
	v_mul_f64_e32 v[24:25], s[10:11], v[16:17]
	global_store_b64 v[22:23], v[24:25], off
.LBB302_22:                             ;   in Loop: Header=BB302_4 Depth=1
	s_wait_xcnt 0x0
	s_or_b32 exec_lo, exec_lo, s28
	s_delay_alu instid0(SALU_CYCLE_1)
	s_and_b32 exec_lo, exec_lo, s4
	s_cbranch_execz .LBB302_24
; %bb.23:                               ;   in Loop: Header=BB302_4 Depth=1
	v_mul_f64_e32 v[24:25], s[10:11], v[14:15]
	global_store_b64 v[22:23], v[24:25], off offset:128
.LBB302_24:                             ;   in Loop: Header=BB302_4 Depth=1
	s_wait_xcnt 0x0
	s_or_b32 exec_lo, exec_lo, s27
	s_cbranch_execnz .LBB302_3
.LBB302_25:                             ;   in Loop: Header=BB302_4 Depth=1
	s_and_saveexec_b32 s27, s2
	s_cbranch_execz .LBB302_2
; %bb.26:                               ;   in Loop: Header=BB302_4 Depth=1
	s_mul_u64 s[28:29], s[46:47], s[20:21]
	v_lshlrev_b64_e32 v[22:23], 3, v[6:7]
	v_lshl_add_u64 v[24:25], s[28:29], 3, v[8:9]
	v_lshl_add_u64 v[26:27], v[4:5], 3, s[22:23]
	s_delay_alu instid0(VALU_DEP_2) | instskip(NEXT) | instid1(VALU_DEP_2)
	v_add_nc_u64_e32 v[30:31], v[24:25], v[22:23]
	v_add_nc_u64_e32 v[28:29], v[26:27], v[22:23]
	s_and_saveexec_b32 s22, s3
	s_cbranch_execnz .LBB302_29
; %bb.27:                               ;   in Loop: Header=BB302_4 Depth=1
	s_or_b32 exec_lo, exec_lo, s22
	s_and_saveexec_b32 s22, s4
	s_cbranch_execnz .LBB302_30
.LBB302_28:                             ;   in Loop: Header=BB302_4 Depth=1
	s_or_b32 exec_lo, exec_lo, s22
	s_delay_alu instid0(SALU_CYCLE_1)
	s_and_b32 exec_lo, exec_lo, s5
	s_cbranch_execz .LBB302_2
	s_branch .LBB302_31
.LBB302_29:                             ;   in Loop: Header=BB302_4 Depth=1
	global_load_b64 v[36:37], v[30:31], off
	s_wait_loadcnt 0x0
	v_mul_f64_e32 v[36:37], s[40:41], v[36:37]
	s_delay_alu instid0(VALU_DEP_1)
	v_fmac_f64_e32 v[36:37], s[10:11], v[20:21]
	global_store_b64 v[28:29], v[36:37], off
	s_wait_xcnt 0x0
	s_or_b32 exec_lo, exec_lo, s22
	s_and_saveexec_b32 s22, s4
	s_cbranch_execz .LBB302_28
.LBB302_30:                             ;   in Loop: Header=BB302_4 Depth=1
	global_load_b64 v[20:21], v[30:31], off offset:128
	s_wait_loadcnt 0x0
	v_mul_f64_e32 v[20:21], s[40:41], v[20:21]
	s_delay_alu instid0(VALU_DEP_1) | instskip(SKIP_3) | instid1(SALU_CYCLE_1)
	v_fmac_f64_e32 v[20:21], s[10:11], v[18:19]
	global_store_b64 v[28:29], v[20:21], off offset:128
	s_wait_xcnt 0x0
	s_or_b32 exec_lo, exec_lo, s22
	s_and_b32 exec_lo, exec_lo, s5
	s_cbranch_execz .LBB302_2
.LBB302_31:                             ;   in Loop: Header=BB302_4 Depth=1
	v_lshl_add_u64 v[18:19], s[12:13], 3, v[24:25]
	v_lshl_add_u64 v[24:25], s[6:7], 3, v[26:27]
	s_delay_alu instid0(VALU_DEP_2) | instskip(NEXT) | instid1(VALU_DEP_2)
	v_add_nc_u64_e32 v[20:21], v[18:19], v[22:23]
	v_add_nc_u64_e32 v[18:19], v[24:25], v[22:23]
	s_and_saveexec_b32 s22, s3
	s_cbranch_execz .LBB302_33
; %bb.32:                               ;   in Loop: Header=BB302_4 Depth=1
	global_load_b64 v[22:23], v[20:21], off
	s_wait_loadcnt 0x0
	v_mul_f64_e32 v[22:23], s[40:41], v[22:23]
	s_delay_alu instid0(VALU_DEP_1)
	v_fmac_f64_e32 v[22:23], s[10:11], v[16:17]
	global_store_b64 v[18:19], v[22:23], off
.LBB302_33:                             ;   in Loop: Header=BB302_4 Depth=1
	s_wait_xcnt 0x0
	s_or_b32 exec_lo, exec_lo, s22
	s_delay_alu instid0(SALU_CYCLE_1)
	s_and_b32 exec_lo, exec_lo, s4
	s_cbranch_execz .LBB302_2
; %bb.34:                               ;   in Loop: Header=BB302_4 Depth=1
	global_load_b64 v[16:17], v[20:21], off offset:128
	s_wait_loadcnt 0x0
	v_mul_f64_e32 v[16:17], s[40:41], v[16:17]
	s_delay_alu instid0(VALU_DEP_1)
	v_fmac_f64_e32 v[16:17], s[10:11], v[14:15]
	global_store_b64 v[18:19], v[16:17], off offset:128
	s_branch .LBB302_2
.LBB302_35:
	s_endpgm
	.section	.rodata,"a",@progbits
	.p2align	6, 0x0
	.amdhsa_kernel _ZN12_GLOBAL__N_135rocblas_gemm_batched_general_kernelIdLi16ELi16ELi32ELi32ELi8ELi32ELi8ELi8ELi32ELc67ELc78EKdS1_dEEvlllT_PT11_llS4_llS2_PT12_llPT13_lli
		.amdhsa_group_segment_fixed_size 4096
		.amdhsa_private_segment_fixed_size 0
		.amdhsa_kernarg_size 140
		.amdhsa_user_sgpr_count 2
		.amdhsa_user_sgpr_dispatch_ptr 0
		.amdhsa_user_sgpr_queue_ptr 0
		.amdhsa_user_sgpr_kernarg_segment_ptr 1
		.amdhsa_user_sgpr_dispatch_id 0
		.amdhsa_user_sgpr_kernarg_preload_length 0
		.amdhsa_user_sgpr_kernarg_preload_offset 0
		.amdhsa_user_sgpr_private_segment_size 0
		.amdhsa_wavefront_size32 1
		.amdhsa_uses_dynamic_stack 0
		.amdhsa_enable_private_segment 0
		.amdhsa_system_sgpr_workgroup_id_x 1
		.amdhsa_system_sgpr_workgroup_id_y 1
		.amdhsa_system_sgpr_workgroup_id_z 1
		.amdhsa_system_sgpr_workgroup_info 0
		.amdhsa_system_vgpr_workitem_id 1
		.amdhsa_next_free_vgpr 52
		.amdhsa_next_free_sgpr 52
		.amdhsa_named_barrier_count 0
		.amdhsa_reserve_vcc 1
		.amdhsa_float_round_mode_32 0
		.amdhsa_float_round_mode_16_64 0
		.amdhsa_float_denorm_mode_32 3
		.amdhsa_float_denorm_mode_16_64 3
		.amdhsa_fp16_overflow 0
		.amdhsa_memory_ordered 1
		.amdhsa_forward_progress 1
		.amdhsa_inst_pref_size 14
		.amdhsa_round_robin_scheduling 0
		.amdhsa_exception_fp_ieee_invalid_op 0
		.amdhsa_exception_fp_denorm_src 0
		.amdhsa_exception_fp_ieee_div_zero 0
		.amdhsa_exception_fp_ieee_overflow 0
		.amdhsa_exception_fp_ieee_underflow 0
		.amdhsa_exception_fp_ieee_inexact 0
		.amdhsa_exception_int_div_zero 0
	.end_amdhsa_kernel
	.section	.text._ZN12_GLOBAL__N_135rocblas_gemm_batched_general_kernelIdLi16ELi16ELi32ELi32ELi8ELi32ELi8ELi8ELi32ELc67ELc78EKdS1_dEEvlllT_PT11_llS4_llS2_PT12_llPT13_lli,"axG",@progbits,_ZN12_GLOBAL__N_135rocblas_gemm_batched_general_kernelIdLi16ELi16ELi32ELi32ELi8ELi32ELi8ELi8ELi32ELc67ELc78EKdS1_dEEvlllT_PT11_llS4_llS2_PT12_llPT13_lli,comdat
.Lfunc_end302:
	.size	_ZN12_GLOBAL__N_135rocblas_gemm_batched_general_kernelIdLi16ELi16ELi32ELi32ELi8ELi32ELi8ELi8ELi32ELc67ELc78EKdS1_dEEvlllT_PT11_llS4_llS2_PT12_llPT13_lli, .Lfunc_end302-_ZN12_GLOBAL__N_135rocblas_gemm_batched_general_kernelIdLi16ELi16ELi32ELi32ELi8ELi32ELi8ELi8ELi32ELc67ELc78EKdS1_dEEvlllT_PT11_llS4_llS2_PT12_llPT13_lli
                                        ; -- End function
	.set _ZN12_GLOBAL__N_135rocblas_gemm_batched_general_kernelIdLi16ELi16ELi32ELi32ELi8ELi32ELi8ELi8ELi32ELc67ELc78EKdS1_dEEvlllT_PT11_llS4_llS2_PT12_llPT13_lli.num_vgpr, 52
	.set _ZN12_GLOBAL__N_135rocblas_gemm_batched_general_kernelIdLi16ELi16ELi32ELi32ELi8ELi32ELi8ELi8ELi32ELc67ELc78EKdS1_dEEvlllT_PT11_llS4_llS2_PT12_llPT13_lli.num_agpr, 0
	.set _ZN12_GLOBAL__N_135rocblas_gemm_batched_general_kernelIdLi16ELi16ELi32ELi32ELi8ELi32ELi8ELi8ELi32ELc67ELc78EKdS1_dEEvlllT_PT11_llS4_llS2_PT12_llPT13_lli.numbered_sgpr, 52
	.set _ZN12_GLOBAL__N_135rocblas_gemm_batched_general_kernelIdLi16ELi16ELi32ELi32ELi8ELi32ELi8ELi8ELi32ELc67ELc78EKdS1_dEEvlllT_PT11_llS4_llS2_PT12_llPT13_lli.num_named_barrier, 0
	.set _ZN12_GLOBAL__N_135rocblas_gemm_batched_general_kernelIdLi16ELi16ELi32ELi32ELi8ELi32ELi8ELi8ELi32ELc67ELc78EKdS1_dEEvlllT_PT11_llS4_llS2_PT12_llPT13_lli.private_seg_size, 0
	.set _ZN12_GLOBAL__N_135rocblas_gemm_batched_general_kernelIdLi16ELi16ELi32ELi32ELi8ELi32ELi8ELi8ELi32ELc67ELc78EKdS1_dEEvlllT_PT11_llS4_llS2_PT12_llPT13_lli.uses_vcc, 1
	.set _ZN12_GLOBAL__N_135rocblas_gemm_batched_general_kernelIdLi16ELi16ELi32ELi32ELi8ELi32ELi8ELi8ELi32ELc67ELc78EKdS1_dEEvlllT_PT11_llS4_llS2_PT12_llPT13_lli.uses_flat_scratch, 0
	.set _ZN12_GLOBAL__N_135rocblas_gemm_batched_general_kernelIdLi16ELi16ELi32ELi32ELi8ELi32ELi8ELi8ELi32ELc67ELc78EKdS1_dEEvlllT_PT11_llS4_llS2_PT12_llPT13_lli.has_dyn_sized_stack, 0
	.set _ZN12_GLOBAL__N_135rocblas_gemm_batched_general_kernelIdLi16ELi16ELi32ELi32ELi8ELi32ELi8ELi8ELi32ELc67ELc78EKdS1_dEEvlllT_PT11_llS4_llS2_PT12_llPT13_lli.has_recursion, 0
	.set _ZN12_GLOBAL__N_135rocblas_gemm_batched_general_kernelIdLi16ELi16ELi32ELi32ELi8ELi32ELi8ELi8ELi32ELc67ELc78EKdS1_dEEvlllT_PT11_llS4_llS2_PT12_llPT13_lli.has_indirect_call, 0
	.section	.AMDGPU.csdata,"",@progbits
; Kernel info:
; codeLenInByte = 1672
; TotalNumSgprs: 54
; NumVgprs: 52
; ScratchSize: 0
; MemoryBound: 0
; FloatMode: 240
; IeeeMode: 1
; LDSByteSize: 4096 bytes/workgroup (compile time only)
; SGPRBlocks: 0
; VGPRBlocks: 3
; NumSGPRsForWavesPerEU: 54
; NumVGPRsForWavesPerEU: 52
; NamedBarCnt: 0
; Occupancy: 16
; WaveLimiterHint : 0
; COMPUTE_PGM_RSRC2:SCRATCH_EN: 0
; COMPUTE_PGM_RSRC2:USER_SGPR: 2
; COMPUTE_PGM_RSRC2:TRAP_HANDLER: 0
; COMPUTE_PGM_RSRC2:TGID_X_EN: 1
; COMPUTE_PGM_RSRC2:TGID_Y_EN: 1
; COMPUTE_PGM_RSRC2:TGID_Z_EN: 1
; COMPUTE_PGM_RSRC2:TIDIG_COMP_CNT: 1
	.section	.text._ZN12_GLOBAL__N_135rocblas_gemm_batched_general_kernelIdLi16ELi16ELi32ELi32ELi8ELi32ELi8ELi8ELi32ELc67ELc84EKdS1_dEEvlllT_PT11_llS4_llS2_PT12_llPT13_lli,"axG",@progbits,_ZN12_GLOBAL__N_135rocblas_gemm_batched_general_kernelIdLi16ELi16ELi32ELi32ELi8ELi32ELi8ELi8ELi32ELc67ELc84EKdS1_dEEvlllT_PT11_llS4_llS2_PT12_llPT13_lli,comdat
	.globl	_ZN12_GLOBAL__N_135rocblas_gemm_batched_general_kernelIdLi16ELi16ELi32ELi32ELi8ELi32ELi8ELi8ELi32ELc67ELc84EKdS1_dEEvlllT_PT11_llS4_llS2_PT12_llPT13_lli ; -- Begin function _ZN12_GLOBAL__N_135rocblas_gemm_batched_general_kernelIdLi16ELi16ELi32ELi32ELi8ELi32ELi8ELi8ELi32ELc67ELc84EKdS1_dEEvlllT_PT11_llS4_llS2_PT12_llPT13_lli
	.p2align	8
	.type	_ZN12_GLOBAL__N_135rocblas_gemm_batched_general_kernelIdLi16ELi16ELi32ELi32ELi8ELi32ELi8ELi8ELi32ELc67ELc84EKdS1_dEEvlllT_PT11_llS4_llS2_PT12_llPT13_lli,@function
_ZN12_GLOBAL__N_135rocblas_gemm_batched_general_kernelIdLi16ELi16ELi32ELi32ELi8ELi32ELi8ELi8ELi32ELc67ELc84EKdS1_dEEvlllT_PT11_llS4_llS2_PT12_llPT13_lli: ; @_ZN12_GLOBAL__N_135rocblas_gemm_batched_general_kernelIdLi16ELi16ELi32ELi32ELi8ELi32ELi8ELi8ELi32ELc67ELc84EKdS1_dEEvlllT_PT11_llS4_llS2_PT12_llPT13_lli
; %bb.0:
	s_load_b32 s26, s[0:1], 0x88
	s_bfe_u32 s2, ttmp6, 0x40014
	s_lshr_b32 s3, ttmp7, 16
	s_add_co_i32 s2, s2, 1
	s_bfe_u32 s5, ttmp6, 0x40008
	s_mul_i32 s4, s3, s2
	s_getreg_b32 s2, hwreg(HW_REG_IB_STS2, 6, 4)
	s_add_co_i32 s5, s5, s4
	s_cmp_eq_u32 s2, 0
	s_mov_b32 s21, 0
	s_cselect_b32 s20, s3, s5
	s_wait_kmcnt 0x0
	s_cmp_ge_i32 s20, s26
	s_cbranch_scc1 .LBB303_35
; %bb.1:
	s_clause 0x1
	s_load_b512 s[4:19], s[0:1], 0x0
	s_load_b512 s[36:51], s[0:1], 0x40
	v_bfe_u32 v8, v0, 10, 10
	v_and_b32_e32 v10, 0x3ff, v0
	v_dual_mov_b32 v9, 0 :: v_dual_bitop2_b32 v0, 7, v0 bitop3:0x40
	s_bfe_u32 s3, ttmp6, 0x4000c
	s_bfe_u32 s23, ttmp6, 0x40010
	s_add_co_i32 s3, s3, 1
	s_and_b32 s24, ttmp7, 0xffff
	s_add_co_i32 s23, s23, 1
	s_and_b32 s22, ttmp6, 15
	s_mul_i32 s3, ttmp9, s3
	s_mul_i32 s23, s24, s23
	s_bfe_u32 s25, ttmp6, 0x40004
	v_lshl_add_u32 v24, v8, 4, v10
	v_mov_b32_e32 v1, v9
	s_add_co_i32 s22, s22, s3
	s_add_co_i32 s25, s25, s23
	s_cmp_eq_u32 s2, 0
	v_and_b32_e32 v25, 31, v24
	s_cselect_b32 s2, ttmp9, s22
	s_wait_kmcnt 0x0
	v_mul_u64_e32 v[12:13], s[36:37], v[0:1]
	s_cselect_b32 s28, s24, s25
	s_ashr_i32 s3, s2, 31
	s_lshl_b32 s24, s28, 5
	s_lshl_b64 s[2:3], s[2:3], 5
	s_mov_b32 s25, s21
	v_dual_mov_b32 v15, s3 :: v_dual_bitop2_b32 v14, s2, v25 bitop3:0x54
	v_add_nc_u64_e32 v[16:17], s[24:25], v[8:9]
	v_cmp_eq_f64_e64 s27, s[40:41], 0
	v_lshlrev_b32_e32 v26, 3, v0
	v_lshl_add_u32 v32, v8, 6, 0x800
	v_mul_u64_e32 v[18:19], s[14:15], v[14:15]
	v_dual_lshrrev_b32 v2, 5, v24 :: v_dual_lshlrev_b32 v35, 3, v10
	v_mul_u64_e32 v[20:21], s[44:45], v[16:17]
	v_mul_u64_e32 v[4:5], s[50:51], v[16:17]
	v_dual_mov_b32 v11, v9 :: v_dual_lshlrev_b32 v8, 3, v25
	v_dual_mov_b32 v7, v9 :: v_dual_lshrrev_b32 v6, 3, v24
	v_mov_b32_e32 v3, v9
	s_mov_b32 s15, s21
	s_lshl_b32 s14, s28, 8
	v_lshl_or_b32 v33, v2, 8, v8
	v_and_b32_e32 v8, 0x1ff8, v24
	v_add_nc_u64_e32 v[22:23], s[24:25], v[6:7]
	v_lshl_or_b32 v25, v6, 6, v26
	v_add_nc_u64_e32 v[6:7], s[2:3], v[10:11]
	s_load_b64 s[22:23], s[0:1], 0x80
	s_wait_xcnt 0x0
	v_cmp_gt_i64_e64 s0, s[4:5], v[14:15]
	v_cmp_gt_i64_e64 s2, s[6:7], v[16:17]
	v_lshl_add_u64 v[12:13], v[12:13], 3, s[14:15]
	v_cmp_gt_i64_e64 s1, s[6:7], v[22:23]
	v_add_nc_u64_e32 v[22:23], 16, v[16:17]
	v_add_nc_u64_e32 v[14:15], 16, v[6:7]
	v_cmp_gt_i64_e64 s3, s[4:5], v[6:7]
	v_add_nc_u64_e32 v[10:11], v[12:13], v[8:9]
	v_lshlrev_b32_e32 v8, 3, v2
	v_cmp_gt_i64_e64 s28, s[8:9], 0
	v_add_nc_u32_e32 v34, 0x800, v25
	s_lshl_b64 s[14:15], s[44:45], 4
	v_cmp_gt_i64_e64 s4, s[4:5], v[14:15]
	v_cmp_gt_i64_e64 s5, s[6:7], v[22:23]
	v_lshl_add_u64 v[12:13], v[18:19], 3, v[8:9]
	v_add_nc_u64_e32 v[10:11], s[18:19], v[10:11]
	s_lshl_b64 s[6:7], s[50:51], 4
	v_lshl_add_u64 v[8:9], v[20:21], 3, s[42:43]
	s_lshl_b64 s[18:19], s[36:37], 6
	v_add_nc_u64_e32 v[12:13], s[12:13], v[12:13]
	s_lshl_b64 s[12:13], s[38:39], 3
	s_lshl_b64 s[16:17], s[16:17], 3
	s_branch .LBB303_4
.LBB303_2:                              ;   in Loop: Header=BB303_4 Depth=1
	s_wait_xcnt 0x0
	s_or_b32 exec_lo, exec_lo, s29
.LBB303_3:                              ;   in Loop: Header=BB303_4 Depth=1
	s_add_co_i32 s20, s20, 0x10000
	s_delay_alu instid0(SALU_CYCLE_1)
	s_cmp_lt_i32 s20, s26
	s_cbranch_scc0 .LBB303_35
.LBB303_4:                              ; =>This Loop Header: Depth=1
                                        ;     Child Loop BB303_7 Depth 2
	s_and_not1_b32 vcc_lo, exec_lo, s28
	s_cbranch_vccnz .LBB303_11
; %bb.5:                                ;   in Loop: Header=BB303_4 Depth=1
	v_mad_nc_u64_u32 v[22:23], s12, s20, v[10:11]
	v_mad_nc_u64_u32 v[24:25], s16, s20, v[12:13]
	v_mov_b64_e32 v[14:15], 0
	v_mov_b64_e32 v[16:17], 0
	;; [unrolled: 1-line block ×4, first 2 shown]
	s_mov_b64 s[24:25], 0
	v_mad_u32 v23, s13, s20, v23
	v_mad_u32 v25, s17, s20, v25
	s_branch .LBB303_7
.LBB303_6:                              ;   in Loop: Header=BB303_7 Depth=2
	s_wait_xcnt 0x0
	s_or_b32 exec_lo, exec_lo, s29
	s_wait_loadcnt 0x0
	ds_store_b64 v34, v[28:29]
	s_wait_dscnt 0x0
	s_barrier_signal -1
	s_barrier_wait -1
	ds_load_b128 v[26:29], v32
	ds_load_2addr_b64 v[36:39], v35 offset1:16
	ds_load_b128 v[40:43], v32 offset:1024
	ds_load_b128 v[44:47], v32 offset:16
	;; [unrolled: 1-line block ×3, first 2 shown]
	s_add_nc_u64 s[24:25], s[24:25], 8
	v_add_nc_u64_e32 v[22:23], s[18:19], v[22:23]
	v_cmp_lt_i64_e64 s29, s[24:25], s[8:9]
	v_add_nc_u64_e32 v[24:25], 64, v[24:25]
	s_and_b32 vcc_lo, exec_lo, s29
	s_wait_dscnt 0x3
	v_fmac_f64_e32 v[20:21], v[36:37], v[26:27]
	v_fmac_f64_e32 v[18:19], v[38:39], v[26:27]
	s_wait_dscnt 0x2
	v_fmac_f64_e32 v[16:17], v[36:37], v[40:41]
	v_fmac_f64_e32 v[14:15], v[38:39], v[40:41]
	ds_load_2addr_b64 v[36:39], v35 offset0:32 offset1:48
	s_wait_dscnt 0x0
	v_fmac_f64_e32 v[20:21], v[36:37], v[28:29]
	v_fmac_f64_e32 v[18:19], v[38:39], v[28:29]
	v_fmac_f64_e32 v[16:17], v[36:37], v[42:43]
	v_fmac_f64_e32 v[14:15], v[38:39], v[42:43]
	ds_load_2addr_b64 v[26:29], v35 offset0:64 offset1:80
	s_wait_dscnt 0x0
	v_fmac_f64_e32 v[20:21], v[26:27], v[44:45]
	v_fmac_f64_e32 v[18:19], v[28:29], v[44:45]
	;; [unrolled: 6-line block ×3, first 2 shown]
	v_fmac_f64_e32 v[16:17], v[26:27], v[50:51]
	v_fmac_f64_e32 v[14:15], v[28:29], v[50:51]
	ds_load_b128 v[26:29], v32 offset:32
	ds_load_2addr_b64 v[36:39], v35 offset0:128 offset1:144
	ds_load_b128 v[40:43], v32 offset:1056
	ds_load_b128 v[44:47], v32 offset:48
	;; [unrolled: 1-line block ×3, first 2 shown]
	s_wait_dscnt 0x3
	v_fmac_f64_e32 v[20:21], v[36:37], v[26:27]
	v_fmac_f64_e32 v[18:19], v[38:39], v[26:27]
	s_wait_dscnt 0x2
	v_fmac_f64_e32 v[16:17], v[36:37], v[40:41]
	v_fmac_f64_e32 v[14:15], v[38:39], v[40:41]
	ds_load_2addr_b64 v[36:39], v35 offset0:160 offset1:176
	s_wait_dscnt 0x0
	v_fmac_f64_e32 v[20:21], v[36:37], v[28:29]
	v_fmac_f64_e32 v[18:19], v[38:39], v[28:29]
	;; [unrolled: 1-line block ×4, first 2 shown]
	ds_load_2addr_b64 v[26:29], v35 offset0:192 offset1:208
	s_wait_dscnt 0x0
	v_fmac_f64_e32 v[20:21], v[26:27], v[44:45]
	v_fmac_f64_e32 v[18:19], v[28:29], v[44:45]
	;; [unrolled: 1-line block ×4, first 2 shown]
	ds_load_2addr_b64 v[26:29], v35 offset0:224 offset1:240
	s_wait_dscnt 0x0
	s_barrier_signal -1
	s_barrier_wait -1
	v_fmac_f64_e32 v[20:21], v[26:27], v[46:47]
	v_fmac_f64_e32 v[18:19], v[28:29], v[46:47]
	;; [unrolled: 1-line block ×4, first 2 shown]
	s_cbranch_vccz .LBB303_12
.LBB303_7:                              ;   Parent Loop BB303_4 Depth=1
                                        ; =>  This Inner Loop Header: Depth=2
	v_add_nc_u64_e32 v[26:27], s[24:25], v[2:3]
	s_delay_alu instid0(VALU_DEP_1) | instskip(SKIP_2) | instid1(SALU_CYCLE_1)
	v_cmp_gt_i64_e32 vcc_lo, s[8:9], v[26:27]
	v_mov_b64_e32 v[26:27], 0
	s_and_b32 s30, s0, vcc_lo
	s_and_saveexec_b32 s29, s30
	s_cbranch_execz .LBB303_9
; %bb.8:                                ;   in Loop: Header=BB303_7 Depth=2
	global_load_b64 v[26:27], v[24:25], off
.LBB303_9:                              ;   in Loop: Header=BB303_7 Depth=2
	s_wait_xcnt 0x0
	s_or_b32 exec_lo, exec_lo, s29
	v_add_nc_u64_e32 v[28:29], s[24:25], v[0:1]
	s_wait_loadcnt 0x0
	ds_store_b64 v33, v[26:27]
	v_cmp_gt_i64_e32 vcc_lo, s[8:9], v[28:29]
	v_mov_b64_e32 v[28:29], 0
	s_and_b32 s30, vcc_lo, s1
	s_delay_alu instid0(SALU_CYCLE_1)
	s_and_saveexec_b32 s29, s30
	s_cbranch_execz .LBB303_6
; %bb.10:                               ;   in Loop: Header=BB303_7 Depth=2
	global_load_b64 v[28:29], v[22:23], off
	s_branch .LBB303_6
.LBB303_11:                             ;   in Loop: Header=BB303_4 Depth=1
	v_mov_b64_e32 v[20:21], 0
	v_mov_b64_e32 v[18:19], 0
	v_mov_b64_e32 v[16:17], 0
	v_mov_b64_e32 v[14:15], 0
.LBB303_12:                             ;   in Loop: Header=BB303_4 Depth=1
	s_wait_kmcnt 0x0
	s_mul_u64 s[24:25], s[22:23], s[20:21]
	s_and_not1_b32 vcc_lo, exec_lo, s27
	s_lshl_b64 s[24:25], s[24:25], 3
	s_delay_alu instid0(SALU_CYCLE_1)
	s_add_nc_u64 s[24:25], s[48:49], s[24:25]
	s_cbranch_vccnz .LBB303_17
; %bb.13:                               ;   in Loop: Header=BB303_4 Depth=1
	s_and_saveexec_b32 s29, s2
	s_cbranch_execz .LBB303_24
; %bb.14:                               ;   in Loop: Header=BB303_4 Depth=1
	v_lshl_add_u64 v[22:23], v[4:5], 3, s[24:25]
	s_delay_alu instid0(VALU_DEP_1)
	v_lshl_add_u64 v[24:25], v[6:7], 3, v[22:23]
	s_and_saveexec_b32 s30, s3
	s_cbranch_execnz .LBB303_18
; %bb.15:                               ;   in Loop: Header=BB303_4 Depth=1
	s_or_b32 exec_lo, exec_lo, s30
	s_and_saveexec_b32 s30, s4
	s_cbranch_execnz .LBB303_19
.LBB303_16:                             ;   in Loop: Header=BB303_4 Depth=1
	s_or_b32 exec_lo, exec_lo, s30
	s_delay_alu instid0(SALU_CYCLE_1)
	s_and_b32 exec_lo, exec_lo, s5
	s_cbranch_execnz .LBB303_20
	s_branch .LBB303_24
.LBB303_17:                             ;   in Loop: Header=BB303_4 Depth=1
	s_branch .LBB303_25
.LBB303_18:                             ;   in Loop: Header=BB303_4 Depth=1
	v_mul_f64_e32 v[26:27], s[10:11], v[20:21]
	global_store_b64 v[24:25], v[26:27], off
	s_wait_xcnt 0x0
	s_or_b32 exec_lo, exec_lo, s30
	s_and_saveexec_b32 s30, s4
	s_cbranch_execz .LBB303_16
.LBB303_19:                             ;   in Loop: Header=BB303_4 Depth=1
	v_mul_f64_e32 v[26:27], s[10:11], v[18:19]
	global_store_b64 v[24:25], v[26:27], off offset:128
	s_wait_xcnt 0x0
	s_or_b32 exec_lo, exec_lo, s30
	s_delay_alu instid0(SALU_CYCLE_1)
	s_and_b32 exec_lo, exec_lo, s5
	s_cbranch_execz .LBB303_24
.LBB303_20:                             ;   in Loop: Header=BB303_4 Depth=1
	v_lshl_add_u64 v[22:23], s[6:7], 3, v[22:23]
	s_delay_alu instid0(VALU_DEP_1)
	v_lshl_add_u64 v[22:23], v[6:7], 3, v[22:23]
	s_and_saveexec_b32 s30, s3
	s_cbranch_execz .LBB303_22
; %bb.21:                               ;   in Loop: Header=BB303_4 Depth=1
	v_mul_f64_e32 v[24:25], s[10:11], v[16:17]
	global_store_b64 v[22:23], v[24:25], off
.LBB303_22:                             ;   in Loop: Header=BB303_4 Depth=1
	s_wait_xcnt 0x0
	s_or_b32 exec_lo, exec_lo, s30
	s_delay_alu instid0(SALU_CYCLE_1)
	s_and_b32 exec_lo, exec_lo, s4
	s_cbranch_execz .LBB303_24
; %bb.23:                               ;   in Loop: Header=BB303_4 Depth=1
	v_mul_f64_e32 v[24:25], s[10:11], v[14:15]
	global_store_b64 v[22:23], v[24:25], off offset:128
.LBB303_24:                             ;   in Loop: Header=BB303_4 Depth=1
	s_wait_xcnt 0x0
	s_or_b32 exec_lo, exec_lo, s29
	s_cbranch_execnz .LBB303_3
.LBB303_25:                             ;   in Loop: Header=BB303_4 Depth=1
	s_and_saveexec_b32 s29, s2
	s_cbranch_execz .LBB303_2
; %bb.26:                               ;   in Loop: Header=BB303_4 Depth=1
	s_mul_u64 s[30:31], s[46:47], s[20:21]
	v_lshlrev_b64_e32 v[22:23], 3, v[6:7]
	v_lshl_add_u64 v[24:25], s[30:31], 3, v[8:9]
	v_lshl_add_u64 v[26:27], v[4:5], 3, s[24:25]
	s_delay_alu instid0(VALU_DEP_2) | instskip(NEXT) | instid1(VALU_DEP_2)
	v_add_nc_u64_e32 v[30:31], v[24:25], v[22:23]
	v_add_nc_u64_e32 v[28:29], v[26:27], v[22:23]
	s_and_saveexec_b32 s24, s3
	s_cbranch_execnz .LBB303_29
; %bb.27:                               ;   in Loop: Header=BB303_4 Depth=1
	s_or_b32 exec_lo, exec_lo, s24
	s_and_saveexec_b32 s24, s4
	s_cbranch_execnz .LBB303_30
.LBB303_28:                             ;   in Loop: Header=BB303_4 Depth=1
	s_or_b32 exec_lo, exec_lo, s24
	s_delay_alu instid0(SALU_CYCLE_1)
	s_and_b32 exec_lo, exec_lo, s5
	s_cbranch_execz .LBB303_2
	s_branch .LBB303_31
.LBB303_29:                             ;   in Loop: Header=BB303_4 Depth=1
	global_load_b64 v[36:37], v[30:31], off
	s_wait_loadcnt 0x0
	v_mul_f64_e32 v[36:37], s[40:41], v[36:37]
	s_delay_alu instid0(VALU_DEP_1)
	v_fmac_f64_e32 v[36:37], s[10:11], v[20:21]
	global_store_b64 v[28:29], v[36:37], off
	s_wait_xcnt 0x0
	s_or_b32 exec_lo, exec_lo, s24
	s_and_saveexec_b32 s24, s4
	s_cbranch_execz .LBB303_28
.LBB303_30:                             ;   in Loop: Header=BB303_4 Depth=1
	global_load_b64 v[20:21], v[30:31], off offset:128
	s_wait_loadcnt 0x0
	v_mul_f64_e32 v[20:21], s[40:41], v[20:21]
	s_delay_alu instid0(VALU_DEP_1) | instskip(SKIP_3) | instid1(SALU_CYCLE_1)
	v_fmac_f64_e32 v[20:21], s[10:11], v[18:19]
	global_store_b64 v[28:29], v[20:21], off offset:128
	s_wait_xcnt 0x0
	s_or_b32 exec_lo, exec_lo, s24
	s_and_b32 exec_lo, exec_lo, s5
	s_cbranch_execz .LBB303_2
.LBB303_31:                             ;   in Loop: Header=BB303_4 Depth=1
	v_lshl_add_u64 v[18:19], s[14:15], 3, v[24:25]
	v_lshl_add_u64 v[24:25], s[6:7], 3, v[26:27]
	s_delay_alu instid0(VALU_DEP_2) | instskip(NEXT) | instid1(VALU_DEP_2)
	v_add_nc_u64_e32 v[20:21], v[18:19], v[22:23]
	v_add_nc_u64_e32 v[18:19], v[24:25], v[22:23]
	s_and_saveexec_b32 s24, s3
	s_cbranch_execz .LBB303_33
; %bb.32:                               ;   in Loop: Header=BB303_4 Depth=1
	global_load_b64 v[22:23], v[20:21], off
	s_wait_loadcnt 0x0
	v_mul_f64_e32 v[22:23], s[40:41], v[22:23]
	s_delay_alu instid0(VALU_DEP_1)
	v_fmac_f64_e32 v[22:23], s[10:11], v[16:17]
	global_store_b64 v[18:19], v[22:23], off
.LBB303_33:                             ;   in Loop: Header=BB303_4 Depth=1
	s_wait_xcnt 0x0
	s_or_b32 exec_lo, exec_lo, s24
	s_delay_alu instid0(SALU_CYCLE_1)
	s_and_b32 exec_lo, exec_lo, s4
	s_cbranch_execz .LBB303_2
; %bb.34:                               ;   in Loop: Header=BB303_4 Depth=1
	global_load_b64 v[16:17], v[20:21], off offset:128
	s_wait_loadcnt 0x0
	v_mul_f64_e32 v[16:17], s[40:41], v[16:17]
	s_delay_alu instid0(VALU_DEP_1)
	v_fmac_f64_e32 v[16:17], s[10:11], v[14:15]
	global_store_b64 v[18:19], v[16:17], off offset:128
	s_branch .LBB303_2
.LBB303_35:
	s_endpgm
	.section	.rodata,"a",@progbits
	.p2align	6, 0x0
	.amdhsa_kernel _ZN12_GLOBAL__N_135rocblas_gemm_batched_general_kernelIdLi16ELi16ELi32ELi32ELi8ELi32ELi8ELi8ELi32ELc67ELc84EKdS1_dEEvlllT_PT11_llS4_llS2_PT12_llPT13_lli
		.amdhsa_group_segment_fixed_size 4096
		.amdhsa_private_segment_fixed_size 0
		.amdhsa_kernarg_size 140
		.amdhsa_user_sgpr_count 2
		.amdhsa_user_sgpr_dispatch_ptr 0
		.amdhsa_user_sgpr_queue_ptr 0
		.amdhsa_user_sgpr_kernarg_segment_ptr 1
		.amdhsa_user_sgpr_dispatch_id 0
		.amdhsa_user_sgpr_kernarg_preload_length 0
		.amdhsa_user_sgpr_kernarg_preload_offset 0
		.amdhsa_user_sgpr_private_segment_size 0
		.amdhsa_wavefront_size32 1
		.amdhsa_uses_dynamic_stack 0
		.amdhsa_enable_private_segment 0
		.amdhsa_system_sgpr_workgroup_id_x 1
		.amdhsa_system_sgpr_workgroup_id_y 1
		.amdhsa_system_sgpr_workgroup_id_z 1
		.amdhsa_system_sgpr_workgroup_info 0
		.amdhsa_system_vgpr_workitem_id 1
		.amdhsa_next_free_vgpr 52
		.amdhsa_next_free_sgpr 52
		.amdhsa_named_barrier_count 0
		.amdhsa_reserve_vcc 1
		.amdhsa_float_round_mode_32 0
		.amdhsa_float_round_mode_16_64 0
		.amdhsa_float_denorm_mode_32 3
		.amdhsa_float_denorm_mode_16_64 3
		.amdhsa_fp16_overflow 0
		.amdhsa_memory_ordered 1
		.amdhsa_forward_progress 1
		.amdhsa_inst_pref_size 14
		.amdhsa_round_robin_scheduling 0
		.amdhsa_exception_fp_ieee_invalid_op 0
		.amdhsa_exception_fp_denorm_src 0
		.amdhsa_exception_fp_ieee_div_zero 0
		.amdhsa_exception_fp_ieee_overflow 0
		.amdhsa_exception_fp_ieee_underflow 0
		.amdhsa_exception_fp_ieee_inexact 0
		.amdhsa_exception_int_div_zero 0
	.end_amdhsa_kernel
	.section	.text._ZN12_GLOBAL__N_135rocblas_gemm_batched_general_kernelIdLi16ELi16ELi32ELi32ELi8ELi32ELi8ELi8ELi32ELc67ELc84EKdS1_dEEvlllT_PT11_llS4_llS2_PT12_llPT13_lli,"axG",@progbits,_ZN12_GLOBAL__N_135rocblas_gemm_batched_general_kernelIdLi16ELi16ELi32ELi32ELi8ELi32ELi8ELi8ELi32ELc67ELc84EKdS1_dEEvlllT_PT11_llS4_llS2_PT12_llPT13_lli,comdat
.Lfunc_end303:
	.size	_ZN12_GLOBAL__N_135rocblas_gemm_batched_general_kernelIdLi16ELi16ELi32ELi32ELi8ELi32ELi8ELi8ELi32ELc67ELc84EKdS1_dEEvlllT_PT11_llS4_llS2_PT12_llPT13_lli, .Lfunc_end303-_ZN12_GLOBAL__N_135rocblas_gemm_batched_general_kernelIdLi16ELi16ELi32ELi32ELi8ELi32ELi8ELi8ELi32ELc67ELc84EKdS1_dEEvlllT_PT11_llS4_llS2_PT12_llPT13_lli
                                        ; -- End function
	.set _ZN12_GLOBAL__N_135rocblas_gemm_batched_general_kernelIdLi16ELi16ELi32ELi32ELi8ELi32ELi8ELi8ELi32ELc67ELc84EKdS1_dEEvlllT_PT11_llS4_llS2_PT12_llPT13_lli.num_vgpr, 52
	.set _ZN12_GLOBAL__N_135rocblas_gemm_batched_general_kernelIdLi16ELi16ELi32ELi32ELi8ELi32ELi8ELi8ELi32ELc67ELc84EKdS1_dEEvlllT_PT11_llS4_llS2_PT12_llPT13_lli.num_agpr, 0
	.set _ZN12_GLOBAL__N_135rocblas_gemm_batched_general_kernelIdLi16ELi16ELi32ELi32ELi8ELi32ELi8ELi8ELi32ELc67ELc84EKdS1_dEEvlllT_PT11_llS4_llS2_PT12_llPT13_lli.numbered_sgpr, 52
	.set _ZN12_GLOBAL__N_135rocblas_gemm_batched_general_kernelIdLi16ELi16ELi32ELi32ELi8ELi32ELi8ELi8ELi32ELc67ELc84EKdS1_dEEvlllT_PT11_llS4_llS2_PT12_llPT13_lli.num_named_barrier, 0
	.set _ZN12_GLOBAL__N_135rocblas_gemm_batched_general_kernelIdLi16ELi16ELi32ELi32ELi8ELi32ELi8ELi8ELi32ELc67ELc84EKdS1_dEEvlllT_PT11_llS4_llS2_PT12_llPT13_lli.private_seg_size, 0
	.set _ZN12_GLOBAL__N_135rocblas_gemm_batched_general_kernelIdLi16ELi16ELi32ELi32ELi8ELi32ELi8ELi8ELi32ELc67ELc84EKdS1_dEEvlllT_PT11_llS4_llS2_PT12_llPT13_lli.uses_vcc, 1
	.set _ZN12_GLOBAL__N_135rocblas_gemm_batched_general_kernelIdLi16ELi16ELi32ELi32ELi8ELi32ELi8ELi8ELi32ELc67ELc84EKdS1_dEEvlllT_PT11_llS4_llS2_PT12_llPT13_lli.uses_flat_scratch, 0
	.set _ZN12_GLOBAL__N_135rocblas_gemm_batched_general_kernelIdLi16ELi16ELi32ELi32ELi8ELi32ELi8ELi8ELi32ELc67ELc84EKdS1_dEEvlllT_PT11_llS4_llS2_PT12_llPT13_lli.has_dyn_sized_stack, 0
	.set _ZN12_GLOBAL__N_135rocblas_gemm_batched_general_kernelIdLi16ELi16ELi32ELi32ELi8ELi32ELi8ELi8ELi32ELc67ELc84EKdS1_dEEvlllT_PT11_llS4_llS2_PT12_llPT13_lli.has_recursion, 0
	.set _ZN12_GLOBAL__N_135rocblas_gemm_batched_general_kernelIdLi16ELi16ELi32ELi32ELi8ELi32ELi8ELi8ELi32ELc67ELc84EKdS1_dEEvlllT_PT11_llS4_llS2_PT12_llPT13_lli.has_indirect_call, 0
	.section	.AMDGPU.csdata,"",@progbits
; Kernel info:
; codeLenInByte = 1676
; TotalNumSgprs: 54
; NumVgprs: 52
; ScratchSize: 0
; MemoryBound: 0
; FloatMode: 240
; IeeeMode: 1
; LDSByteSize: 4096 bytes/workgroup (compile time only)
; SGPRBlocks: 0
; VGPRBlocks: 3
; NumSGPRsForWavesPerEU: 54
; NumVGPRsForWavesPerEU: 52
; NamedBarCnt: 0
; Occupancy: 16
; WaveLimiterHint : 0
; COMPUTE_PGM_RSRC2:SCRATCH_EN: 0
; COMPUTE_PGM_RSRC2:USER_SGPR: 2
; COMPUTE_PGM_RSRC2:TRAP_HANDLER: 0
; COMPUTE_PGM_RSRC2:TGID_X_EN: 1
; COMPUTE_PGM_RSRC2:TGID_Y_EN: 1
; COMPUTE_PGM_RSRC2:TGID_Z_EN: 1
; COMPUTE_PGM_RSRC2:TIDIG_COMP_CNT: 1
	.section	.text._ZN12_GLOBAL__N_135rocblas_gemm_batched_general_kernelIdLi16ELi16ELi32ELi32ELi8ELi32ELi8ELi8ELi32ELc78ELc67EKdS1_dEEvlllT_PT11_llS4_llS2_PT12_llPT13_lli,"axG",@progbits,_ZN12_GLOBAL__N_135rocblas_gemm_batched_general_kernelIdLi16ELi16ELi32ELi32ELi8ELi32ELi8ELi8ELi32ELc78ELc67EKdS1_dEEvlllT_PT11_llS4_llS2_PT12_llPT13_lli,comdat
	.globl	_ZN12_GLOBAL__N_135rocblas_gemm_batched_general_kernelIdLi16ELi16ELi32ELi32ELi8ELi32ELi8ELi8ELi32ELc78ELc67EKdS1_dEEvlllT_PT11_llS4_llS2_PT12_llPT13_lli ; -- Begin function _ZN12_GLOBAL__N_135rocblas_gemm_batched_general_kernelIdLi16ELi16ELi32ELi32ELi8ELi32ELi8ELi8ELi32ELc78ELc67EKdS1_dEEvlllT_PT11_llS4_llS2_PT12_llPT13_lli
	.p2align	8
	.type	_ZN12_GLOBAL__N_135rocblas_gemm_batched_general_kernelIdLi16ELi16ELi32ELi32ELi8ELi32ELi8ELi8ELi32ELc78ELc67EKdS1_dEEvlllT_PT11_llS4_llS2_PT12_llPT13_lli,@function
_ZN12_GLOBAL__N_135rocblas_gemm_batched_general_kernelIdLi16ELi16ELi32ELi32ELi8ELi32ELi8ELi8ELi32ELc78ELc67EKdS1_dEEvlllT_PT11_llS4_llS2_PT12_llPT13_lli: ; @_ZN12_GLOBAL__N_135rocblas_gemm_batched_general_kernelIdLi16ELi16ELi32ELi32ELi8ELi32ELi8ELi8ELi32ELc78ELc67EKdS1_dEEvlllT_PT11_llS4_llS2_PT12_llPT13_lli
; %bb.0:
	s_load_b32 s28, s[0:1], 0x88
	s_bfe_u32 s2, ttmp6, 0x40014
	s_lshr_b32 s3, ttmp7, 16
	s_add_co_i32 s2, s2, 1
	s_bfe_u32 s5, ttmp6, 0x40008
	s_mul_i32 s4, s3, s2
	s_getreg_b32 s2, hwreg(HW_REG_IB_STS2, 6, 4)
	s_add_co_i32 s5, s5, s4
	s_cmp_eq_u32 s2, 0
	s_mov_b32 s21, 0
	s_cselect_b32 s20, s3, s5
	s_wait_kmcnt 0x0
	s_cmp_ge_i32 s20, s28
	s_cbranch_scc1 .LBB304_35
; %bb.1:
	s_clause 0x2
	s_load_b512 s[4:19], s[0:1], 0x0
	s_load_b512 s[36:51], s[0:1], 0x40
	s_load_b64 s[22:23], s[0:1], 0x80
	v_bfe_u32 v8, v0, 10, 10
	v_and_b32_e32 v10, 0x3ff, v0
	v_dual_mov_b32 v9, 0 :: v_dual_bitop2_b32 v0, 7, v0 bitop3:0x40
	s_wait_xcnt 0x0
	s_bfe_u32 s0, ttmp6, 0x4000c
	s_bfe_u32 s3, ttmp6, 0x40010
	v_lshl_add_u32 v21, v8, 4, v10
	s_add_co_i32 s0, s0, 1
	v_dual_mov_b32 v3, v9 :: v_dual_mov_b32 v1, v9
	s_and_b32 s1, ttmp6, 15
	s_delay_alu instid0(VALU_DEP_2)
	v_lshrrev_b32_e32 v2, 5, v21
	s_mul_i32 s0, ttmp9, s0
	s_and_b32 s24, ttmp7, 0xffff
	s_add_co_i32 s3, s3, 1
	s_add_co_i32 s1, s1, s0
	s_mul_i32 s0, s24, s3
	s_bfe_u32 s3, ttmp6, 0x40004
	s_wait_kmcnt 0x0
	v_mul_u64_e32 v[12:13], s[36:37], v[0:1]
	s_add_co_i32 s3, s3, s0
	v_and_b32_e32 v11, 31, v21
	v_mul_u64_e32 v[14:15], s[14:15], v[2:3]
	s_cmp_eq_u32 s2, 0
	v_dual_mov_b32 v5, v9 :: v_dual_lshrrev_b32 v4, 3, v21
	s_cselect_b32 s26, s24, s3
	s_cselect_b32 s2, ttmp9, s1
	s_lshl_b32 s0, s26, 5
	s_mov_b32 s1, s21
	s_ashr_i32 s3, s2, 31
	v_add_nc_u64_e32 v[16:17], s[0:1], v[8:9]
	s_lshl_b64 s[24:25], s[2:3], 5
	v_add_nc_u64_e32 v[22:23], s[0:1], v[4:5]
	v_dual_mov_b32 v7, s25 :: v_dual_bitop2_b32 v6, s24, v11 bitop3:0x54
	v_cmp_eq_f64_e64 s29, s[40:41], 0
	v_dual_lshlrev_b32 v20, 3, v11 :: v_dual_lshlrev_b32 v24, 3, v0
	v_mul_u64_e32 v[18:19], s[44:45], v[16:17]
	s_delay_alu instid0(VALU_DEP_4)
	v_cmp_gt_i64_e64 s0, s[4:5], v[6:7]
	v_mul_u64_e32 v[6:7], s[50:51], v[16:17]
	v_dual_mov_b32 v11, v9 :: v_dual_lshlrev_b32 v34, 3, v10
	v_lshl_or_b32 v24, v4, 6, v24
	s_lshl_b64 s[2:3], s[2:3], 8
	v_lshl_add_u32 v35, v8, 6, 0x800
	s_delay_alu instid0(VALU_DEP_3)
	v_add_nc_u64_e32 v[4:5], s[24:25], v[10:11]
	s_lshl_b32 s24, s26, 8
	s_mov_b32 s25, s21
	v_and_b32_e32 v8, 0x1ff8, v21
	v_lshl_add_u64 v[12:13], v[12:13], 3, s[24:25]
	v_mov_b32_e32 v21, v9
	v_cmp_gt_i64_e64 s1, s[6:7], v[22:23]
	v_lshl_add_u64 v[14:15], v[14:15], 3, s[2:3]
	v_add_nc_u64_e32 v[10:11], 16, v[4:5]
	v_add_nc_u64_e32 v[22:23], 16, v[16:17]
	;; [unrolled: 1-line block ×3, first 2 shown]
	v_cmp_gt_i64_e64 s2, s[6:7], v[16:17]
	v_add_nc_u64_e32 v[14:15], v[14:15], v[20:21]
	v_cmp_gt_i64_e64 s3, s[4:5], v[4:5]
	v_cmp_gt_i64_e64 s30, s[8:9], 0
	;; [unrolled: 1-line block ×4, first 2 shown]
	v_add_nc_u64_e32 v[10:11], s[18:19], v[12:13]
	v_lshl_or_b32 v32, v2, 8, v20
	v_add_nc_u64_e32 v[12:13], s[12:13], v[14:15]
	v_add_nc_u32_e32 v33, 0x800, v24
	s_lshl_b64 s[6:7], s[50:51], 4
	s_lshl_b64 s[24:25], s[44:45], 4
	s_lshl_b64 s[18:19], s[38:39], 3
	v_lshl_add_u64 v[8:9], v[18:19], 3, s[42:43]
	s_lshl_b64 s[12:13], s[36:37], 6
	s_lshl_b64 s[16:17], s[16:17], 3
	;; [unrolled: 1-line block ×3, first 2 shown]
	s_branch .LBB304_4
.LBB304_2:                              ;   in Loop: Header=BB304_4 Depth=1
	s_wait_xcnt 0x0
	s_or_b32 exec_lo, exec_lo, s31
.LBB304_3:                              ;   in Loop: Header=BB304_4 Depth=1
	s_add_co_i32 s20, s20, 0x10000
	s_delay_alu instid0(SALU_CYCLE_1)
	s_cmp_lt_i32 s20, s28
	s_cbranch_scc0 .LBB304_35
.LBB304_4:                              ; =>This Loop Header: Depth=1
                                        ;     Child Loop BB304_7 Depth 2
	s_and_not1_b32 vcc_lo, exec_lo, s30
	s_cbranch_vccnz .LBB304_11
; %bb.5:                                ;   in Loop: Header=BB304_4 Depth=1
	v_mad_nc_u64_u32 v[22:23], s18, s20, v[10:11]
	v_mad_nc_u64_u32 v[24:25], s16, s20, v[12:13]
	v_mov_b64_e32 v[14:15], 0
	v_mov_b64_e32 v[16:17], 0
	;; [unrolled: 1-line block ×4, first 2 shown]
	s_mov_b64 s[26:27], 0
	v_mad_u32 v23, s19, s20, v23
	v_mad_u32 v25, s17, s20, v25
	s_branch .LBB304_7
.LBB304_6:                              ;   in Loop: Header=BB304_7 Depth=2
	s_wait_xcnt 0x0
	s_or_b32 exec_lo, exec_lo, s31
	s_wait_loadcnt 0x0
	ds_store_b64 v33, v[28:29]
	s_wait_dscnt 0x0
	s_barrier_signal -1
	s_barrier_wait -1
	ds_load_b128 v[26:29], v35
	ds_load_2addr_b64 v[36:39], v34 offset1:16
	ds_load_b128 v[40:43], v35 offset:1024
	ds_load_b128 v[44:47], v35 offset:16
	;; [unrolled: 1-line block ×3, first 2 shown]
	s_add_nc_u64 s[26:27], s[26:27], 8
	v_add_nc_u64_e32 v[22:23], s[12:13], v[22:23]
	v_cmp_lt_i64_e64 s31, s[26:27], s[8:9]
	v_add_nc_u64_e32 v[24:25], s[14:15], v[24:25]
	s_and_b32 vcc_lo, exec_lo, s31
	s_wait_dscnt 0x3
	v_fmac_f64_e32 v[20:21], v[36:37], v[26:27]
	v_fmac_f64_e32 v[18:19], v[38:39], v[26:27]
	s_wait_dscnt 0x2
	v_fmac_f64_e32 v[16:17], v[36:37], v[40:41]
	v_fmac_f64_e32 v[14:15], v[38:39], v[40:41]
	ds_load_2addr_b64 v[36:39], v34 offset0:32 offset1:48
	s_wait_dscnt 0x0
	v_fmac_f64_e32 v[20:21], v[36:37], v[28:29]
	v_fmac_f64_e32 v[18:19], v[38:39], v[28:29]
	v_fmac_f64_e32 v[16:17], v[36:37], v[42:43]
	v_fmac_f64_e32 v[14:15], v[38:39], v[42:43]
	ds_load_2addr_b64 v[26:29], v34 offset0:64 offset1:80
	s_wait_dscnt 0x0
	v_fmac_f64_e32 v[20:21], v[26:27], v[44:45]
	v_fmac_f64_e32 v[18:19], v[28:29], v[44:45]
	;; [unrolled: 6-line block ×3, first 2 shown]
	v_fmac_f64_e32 v[16:17], v[26:27], v[50:51]
	v_fmac_f64_e32 v[14:15], v[28:29], v[50:51]
	ds_load_b128 v[26:29], v35 offset:32
	ds_load_2addr_b64 v[36:39], v34 offset0:128 offset1:144
	ds_load_b128 v[40:43], v35 offset:1056
	ds_load_b128 v[44:47], v35 offset:48
	;; [unrolled: 1-line block ×3, first 2 shown]
	s_wait_dscnt 0x3
	v_fmac_f64_e32 v[20:21], v[36:37], v[26:27]
	v_fmac_f64_e32 v[18:19], v[38:39], v[26:27]
	s_wait_dscnt 0x2
	v_fmac_f64_e32 v[16:17], v[36:37], v[40:41]
	v_fmac_f64_e32 v[14:15], v[38:39], v[40:41]
	ds_load_2addr_b64 v[36:39], v34 offset0:160 offset1:176
	s_wait_dscnt 0x0
	v_fmac_f64_e32 v[20:21], v[36:37], v[28:29]
	v_fmac_f64_e32 v[18:19], v[38:39], v[28:29]
	;; [unrolled: 1-line block ×4, first 2 shown]
	ds_load_2addr_b64 v[26:29], v34 offset0:192 offset1:208
	s_wait_dscnt 0x0
	v_fmac_f64_e32 v[20:21], v[26:27], v[44:45]
	v_fmac_f64_e32 v[18:19], v[28:29], v[44:45]
	;; [unrolled: 1-line block ×4, first 2 shown]
	ds_load_2addr_b64 v[26:29], v34 offset0:224 offset1:240
	s_wait_dscnt 0x0
	s_barrier_signal -1
	s_barrier_wait -1
	v_fmac_f64_e32 v[20:21], v[26:27], v[46:47]
	v_fmac_f64_e32 v[18:19], v[28:29], v[46:47]
	;; [unrolled: 1-line block ×4, first 2 shown]
	s_cbranch_vccz .LBB304_12
.LBB304_7:                              ;   Parent Loop BB304_4 Depth=1
                                        ; =>  This Inner Loop Header: Depth=2
	v_add_nc_u64_e32 v[26:27], s[26:27], v[2:3]
	s_delay_alu instid0(VALU_DEP_1) | instskip(SKIP_2) | instid1(SALU_CYCLE_1)
	v_cmp_gt_i64_e32 vcc_lo, s[8:9], v[26:27]
	v_mov_b64_e32 v[26:27], 0
	s_and_b32 s33, s0, vcc_lo
	s_and_saveexec_b32 s31, s33
	s_cbranch_execz .LBB304_9
; %bb.8:                                ;   in Loop: Header=BB304_7 Depth=2
	global_load_b64 v[26:27], v[24:25], off
.LBB304_9:                              ;   in Loop: Header=BB304_7 Depth=2
	s_wait_xcnt 0x0
	s_or_b32 exec_lo, exec_lo, s31
	v_add_nc_u64_e32 v[28:29], s[26:27], v[0:1]
	s_wait_loadcnt 0x0
	ds_store_b64 v32, v[26:27]
	v_cmp_gt_i64_e32 vcc_lo, s[8:9], v[28:29]
	v_mov_b64_e32 v[28:29], 0
	s_and_b32 s33, vcc_lo, s1
	s_delay_alu instid0(SALU_CYCLE_1)
	s_and_saveexec_b32 s31, s33
	s_cbranch_execz .LBB304_6
; %bb.10:                               ;   in Loop: Header=BB304_7 Depth=2
	global_load_b64 v[28:29], v[22:23], off
	s_branch .LBB304_6
.LBB304_11:                             ;   in Loop: Header=BB304_4 Depth=1
	v_mov_b64_e32 v[20:21], 0
	v_mov_b64_e32 v[18:19], 0
	;; [unrolled: 1-line block ×4, first 2 shown]
.LBB304_12:                             ;   in Loop: Header=BB304_4 Depth=1
	s_mul_u64 s[26:27], s[22:23], s[20:21]
	s_and_not1_b32 vcc_lo, exec_lo, s29
	s_lshl_b64 s[26:27], s[26:27], 3
	s_delay_alu instid0(SALU_CYCLE_1)
	s_add_nc_u64 s[26:27], s[48:49], s[26:27]
	s_cbranch_vccnz .LBB304_17
; %bb.13:                               ;   in Loop: Header=BB304_4 Depth=1
	s_and_saveexec_b32 s31, s2
	s_cbranch_execz .LBB304_24
; %bb.14:                               ;   in Loop: Header=BB304_4 Depth=1
	v_lshl_add_u64 v[22:23], v[6:7], 3, s[26:27]
	s_delay_alu instid0(VALU_DEP_1)
	v_lshl_add_u64 v[24:25], v[4:5], 3, v[22:23]
	s_and_saveexec_b32 s33, s3
	s_cbranch_execnz .LBB304_18
; %bb.15:                               ;   in Loop: Header=BB304_4 Depth=1
	s_or_b32 exec_lo, exec_lo, s33
	s_and_saveexec_b32 s33, s4
	s_cbranch_execnz .LBB304_19
.LBB304_16:                             ;   in Loop: Header=BB304_4 Depth=1
	s_or_b32 exec_lo, exec_lo, s33
	s_delay_alu instid0(SALU_CYCLE_1)
	s_and_b32 exec_lo, exec_lo, s5
	s_cbranch_execnz .LBB304_20
	s_branch .LBB304_24
.LBB304_17:                             ;   in Loop: Header=BB304_4 Depth=1
	s_branch .LBB304_25
.LBB304_18:                             ;   in Loop: Header=BB304_4 Depth=1
	v_mul_f64_e32 v[26:27], s[10:11], v[20:21]
	global_store_b64 v[24:25], v[26:27], off
	s_wait_xcnt 0x0
	s_or_b32 exec_lo, exec_lo, s33
	s_and_saveexec_b32 s33, s4
	s_cbranch_execz .LBB304_16
.LBB304_19:                             ;   in Loop: Header=BB304_4 Depth=1
	v_mul_f64_e32 v[26:27], s[10:11], v[18:19]
	global_store_b64 v[24:25], v[26:27], off offset:128
	s_wait_xcnt 0x0
	s_or_b32 exec_lo, exec_lo, s33
	s_delay_alu instid0(SALU_CYCLE_1)
	s_and_b32 exec_lo, exec_lo, s5
	s_cbranch_execz .LBB304_24
.LBB304_20:                             ;   in Loop: Header=BB304_4 Depth=1
	v_lshl_add_u64 v[22:23], s[6:7], 3, v[22:23]
	s_delay_alu instid0(VALU_DEP_1)
	v_lshl_add_u64 v[22:23], v[4:5], 3, v[22:23]
	s_and_saveexec_b32 s33, s3
	s_cbranch_execz .LBB304_22
; %bb.21:                               ;   in Loop: Header=BB304_4 Depth=1
	v_mul_f64_e32 v[24:25], s[10:11], v[16:17]
	global_store_b64 v[22:23], v[24:25], off
.LBB304_22:                             ;   in Loop: Header=BB304_4 Depth=1
	s_wait_xcnt 0x0
	s_or_b32 exec_lo, exec_lo, s33
	s_delay_alu instid0(SALU_CYCLE_1)
	s_and_b32 exec_lo, exec_lo, s4
	s_cbranch_execz .LBB304_24
; %bb.23:                               ;   in Loop: Header=BB304_4 Depth=1
	v_mul_f64_e32 v[24:25], s[10:11], v[14:15]
	global_store_b64 v[22:23], v[24:25], off offset:128
.LBB304_24:                             ;   in Loop: Header=BB304_4 Depth=1
	s_wait_xcnt 0x0
	s_or_b32 exec_lo, exec_lo, s31
	s_cbranch_execnz .LBB304_3
.LBB304_25:                             ;   in Loop: Header=BB304_4 Depth=1
	s_and_saveexec_b32 s31, s2
	s_cbranch_execz .LBB304_2
; %bb.26:                               ;   in Loop: Header=BB304_4 Depth=1
	s_mul_u64 s[34:35], s[46:47], s[20:21]
	v_lshlrev_b64_e32 v[22:23], 3, v[4:5]
	v_lshl_add_u64 v[24:25], s[34:35], 3, v[8:9]
	v_lshl_add_u64 v[26:27], v[6:7], 3, s[26:27]
	s_delay_alu instid0(VALU_DEP_2) | instskip(NEXT) | instid1(VALU_DEP_2)
	v_add_nc_u64_e32 v[30:31], v[24:25], v[22:23]
	v_add_nc_u64_e32 v[28:29], v[26:27], v[22:23]
	s_and_saveexec_b32 s26, s3
	s_cbranch_execnz .LBB304_29
; %bb.27:                               ;   in Loop: Header=BB304_4 Depth=1
	s_or_b32 exec_lo, exec_lo, s26
	s_and_saveexec_b32 s26, s4
	s_cbranch_execnz .LBB304_30
.LBB304_28:                             ;   in Loop: Header=BB304_4 Depth=1
	s_or_b32 exec_lo, exec_lo, s26
	s_delay_alu instid0(SALU_CYCLE_1)
	s_and_b32 exec_lo, exec_lo, s5
	s_cbranch_execz .LBB304_2
	s_branch .LBB304_31
.LBB304_29:                             ;   in Loop: Header=BB304_4 Depth=1
	global_load_b64 v[36:37], v[30:31], off
	s_wait_loadcnt 0x0
	v_mul_f64_e32 v[36:37], s[40:41], v[36:37]
	s_delay_alu instid0(VALU_DEP_1)
	v_fmac_f64_e32 v[36:37], s[10:11], v[20:21]
	global_store_b64 v[28:29], v[36:37], off
	s_wait_xcnt 0x0
	s_or_b32 exec_lo, exec_lo, s26
	s_and_saveexec_b32 s26, s4
	s_cbranch_execz .LBB304_28
.LBB304_30:                             ;   in Loop: Header=BB304_4 Depth=1
	global_load_b64 v[20:21], v[30:31], off offset:128
	s_wait_loadcnt 0x0
	v_mul_f64_e32 v[20:21], s[40:41], v[20:21]
	s_delay_alu instid0(VALU_DEP_1) | instskip(SKIP_3) | instid1(SALU_CYCLE_1)
	v_fmac_f64_e32 v[20:21], s[10:11], v[18:19]
	global_store_b64 v[28:29], v[20:21], off offset:128
	s_wait_xcnt 0x0
	s_or_b32 exec_lo, exec_lo, s26
	s_and_b32 exec_lo, exec_lo, s5
	s_cbranch_execz .LBB304_2
.LBB304_31:                             ;   in Loop: Header=BB304_4 Depth=1
	v_lshl_add_u64 v[18:19], s[24:25], 3, v[24:25]
	v_lshl_add_u64 v[24:25], s[6:7], 3, v[26:27]
	s_delay_alu instid0(VALU_DEP_2) | instskip(NEXT) | instid1(VALU_DEP_2)
	v_add_nc_u64_e32 v[20:21], v[18:19], v[22:23]
	v_add_nc_u64_e32 v[18:19], v[24:25], v[22:23]
	s_and_saveexec_b32 s26, s3
	s_cbranch_execz .LBB304_33
; %bb.32:                               ;   in Loop: Header=BB304_4 Depth=1
	global_load_b64 v[22:23], v[20:21], off
	s_wait_loadcnt 0x0
	v_mul_f64_e32 v[22:23], s[40:41], v[22:23]
	s_delay_alu instid0(VALU_DEP_1)
	v_fmac_f64_e32 v[22:23], s[10:11], v[16:17]
	global_store_b64 v[18:19], v[22:23], off
.LBB304_33:                             ;   in Loop: Header=BB304_4 Depth=1
	s_wait_xcnt 0x0
	s_or_b32 exec_lo, exec_lo, s26
	s_delay_alu instid0(SALU_CYCLE_1)
	s_and_b32 exec_lo, exec_lo, s4
	s_cbranch_execz .LBB304_2
; %bb.34:                               ;   in Loop: Header=BB304_4 Depth=1
	global_load_b64 v[16:17], v[20:21], off offset:128
	s_wait_loadcnt 0x0
	v_mul_f64_e32 v[16:17], s[40:41], v[16:17]
	s_delay_alu instid0(VALU_DEP_1)
	v_fmac_f64_e32 v[16:17], s[10:11], v[14:15]
	global_store_b64 v[18:19], v[16:17], off offset:128
	s_branch .LBB304_2
.LBB304_35:
	s_endpgm
	.section	.rodata,"a",@progbits
	.p2align	6, 0x0
	.amdhsa_kernel _ZN12_GLOBAL__N_135rocblas_gemm_batched_general_kernelIdLi16ELi16ELi32ELi32ELi8ELi32ELi8ELi8ELi32ELc78ELc67EKdS1_dEEvlllT_PT11_llS4_llS2_PT12_llPT13_lli
		.amdhsa_group_segment_fixed_size 4096
		.amdhsa_private_segment_fixed_size 0
		.amdhsa_kernarg_size 140
		.amdhsa_user_sgpr_count 2
		.amdhsa_user_sgpr_dispatch_ptr 0
		.amdhsa_user_sgpr_queue_ptr 0
		.amdhsa_user_sgpr_kernarg_segment_ptr 1
		.amdhsa_user_sgpr_dispatch_id 0
		.amdhsa_user_sgpr_kernarg_preload_length 0
		.amdhsa_user_sgpr_kernarg_preload_offset 0
		.amdhsa_user_sgpr_private_segment_size 0
		.amdhsa_wavefront_size32 1
		.amdhsa_uses_dynamic_stack 0
		.amdhsa_enable_private_segment 0
		.amdhsa_system_sgpr_workgroup_id_x 1
		.amdhsa_system_sgpr_workgroup_id_y 1
		.amdhsa_system_sgpr_workgroup_id_z 1
		.amdhsa_system_sgpr_workgroup_info 0
		.amdhsa_system_vgpr_workitem_id 1
		.amdhsa_next_free_vgpr 52
		.amdhsa_next_free_sgpr 52
		.amdhsa_named_barrier_count 0
		.amdhsa_reserve_vcc 1
		.amdhsa_float_round_mode_32 0
		.amdhsa_float_round_mode_16_64 0
		.amdhsa_float_denorm_mode_32 3
		.amdhsa_float_denorm_mode_16_64 3
		.amdhsa_fp16_overflow 0
		.amdhsa_memory_ordered 1
		.amdhsa_forward_progress 1
		.amdhsa_inst_pref_size 14
		.amdhsa_round_robin_scheduling 0
		.amdhsa_exception_fp_ieee_invalid_op 0
		.amdhsa_exception_fp_denorm_src 0
		.amdhsa_exception_fp_ieee_div_zero 0
		.amdhsa_exception_fp_ieee_overflow 0
		.amdhsa_exception_fp_ieee_underflow 0
		.amdhsa_exception_fp_ieee_inexact 0
		.amdhsa_exception_int_div_zero 0
	.end_amdhsa_kernel
	.section	.text._ZN12_GLOBAL__N_135rocblas_gemm_batched_general_kernelIdLi16ELi16ELi32ELi32ELi8ELi32ELi8ELi8ELi32ELc78ELc67EKdS1_dEEvlllT_PT11_llS4_llS2_PT12_llPT13_lli,"axG",@progbits,_ZN12_GLOBAL__N_135rocblas_gemm_batched_general_kernelIdLi16ELi16ELi32ELi32ELi8ELi32ELi8ELi8ELi32ELc78ELc67EKdS1_dEEvlllT_PT11_llS4_llS2_PT12_llPT13_lli,comdat
.Lfunc_end304:
	.size	_ZN12_GLOBAL__N_135rocblas_gemm_batched_general_kernelIdLi16ELi16ELi32ELi32ELi8ELi32ELi8ELi8ELi32ELc78ELc67EKdS1_dEEvlllT_PT11_llS4_llS2_PT12_llPT13_lli, .Lfunc_end304-_ZN12_GLOBAL__N_135rocblas_gemm_batched_general_kernelIdLi16ELi16ELi32ELi32ELi8ELi32ELi8ELi8ELi32ELc78ELc67EKdS1_dEEvlllT_PT11_llS4_llS2_PT12_llPT13_lli
                                        ; -- End function
	.set _ZN12_GLOBAL__N_135rocblas_gemm_batched_general_kernelIdLi16ELi16ELi32ELi32ELi8ELi32ELi8ELi8ELi32ELc78ELc67EKdS1_dEEvlllT_PT11_llS4_llS2_PT12_llPT13_lli.num_vgpr, 52
	.set _ZN12_GLOBAL__N_135rocblas_gemm_batched_general_kernelIdLi16ELi16ELi32ELi32ELi8ELi32ELi8ELi8ELi32ELc78ELc67EKdS1_dEEvlllT_PT11_llS4_llS2_PT12_llPT13_lli.num_agpr, 0
	.set _ZN12_GLOBAL__N_135rocblas_gemm_batched_general_kernelIdLi16ELi16ELi32ELi32ELi8ELi32ELi8ELi8ELi32ELc78ELc67EKdS1_dEEvlllT_PT11_llS4_llS2_PT12_llPT13_lli.numbered_sgpr, 52
	.set _ZN12_GLOBAL__N_135rocblas_gemm_batched_general_kernelIdLi16ELi16ELi32ELi32ELi8ELi32ELi8ELi8ELi32ELc78ELc67EKdS1_dEEvlllT_PT11_llS4_llS2_PT12_llPT13_lli.num_named_barrier, 0
	.set _ZN12_GLOBAL__N_135rocblas_gemm_batched_general_kernelIdLi16ELi16ELi32ELi32ELi8ELi32ELi8ELi8ELi32ELc78ELc67EKdS1_dEEvlllT_PT11_llS4_llS2_PT12_llPT13_lli.private_seg_size, 0
	.set _ZN12_GLOBAL__N_135rocblas_gemm_batched_general_kernelIdLi16ELi16ELi32ELi32ELi8ELi32ELi8ELi8ELi32ELc78ELc67EKdS1_dEEvlllT_PT11_llS4_llS2_PT12_llPT13_lli.uses_vcc, 1
	.set _ZN12_GLOBAL__N_135rocblas_gemm_batched_general_kernelIdLi16ELi16ELi32ELi32ELi8ELi32ELi8ELi8ELi32ELc78ELc67EKdS1_dEEvlllT_PT11_llS4_llS2_PT12_llPT13_lli.uses_flat_scratch, 0
	.set _ZN12_GLOBAL__N_135rocblas_gemm_batched_general_kernelIdLi16ELi16ELi32ELi32ELi8ELi32ELi8ELi8ELi32ELc78ELc67EKdS1_dEEvlllT_PT11_llS4_llS2_PT12_llPT13_lli.has_dyn_sized_stack, 0
	.set _ZN12_GLOBAL__N_135rocblas_gemm_batched_general_kernelIdLi16ELi16ELi32ELi32ELi8ELi32ELi8ELi8ELi32ELc78ELc67EKdS1_dEEvlllT_PT11_llS4_llS2_PT12_llPT13_lli.has_recursion, 0
	.set _ZN12_GLOBAL__N_135rocblas_gemm_batched_general_kernelIdLi16ELi16ELi32ELi32ELi8ELi32ELi8ELi8ELi32ELc78ELc67EKdS1_dEEvlllT_PT11_llS4_llS2_PT12_llPT13_lli.has_indirect_call, 0
	.section	.AMDGPU.csdata,"",@progbits
; Kernel info:
; codeLenInByte = 1700
; TotalNumSgprs: 54
; NumVgprs: 52
; ScratchSize: 0
; MemoryBound: 0
; FloatMode: 240
; IeeeMode: 1
; LDSByteSize: 4096 bytes/workgroup (compile time only)
; SGPRBlocks: 0
; VGPRBlocks: 3
; NumSGPRsForWavesPerEU: 54
; NumVGPRsForWavesPerEU: 52
; NamedBarCnt: 0
; Occupancy: 16
; WaveLimiterHint : 0
; COMPUTE_PGM_RSRC2:SCRATCH_EN: 0
; COMPUTE_PGM_RSRC2:USER_SGPR: 2
; COMPUTE_PGM_RSRC2:TRAP_HANDLER: 0
; COMPUTE_PGM_RSRC2:TGID_X_EN: 1
; COMPUTE_PGM_RSRC2:TGID_Y_EN: 1
; COMPUTE_PGM_RSRC2:TGID_Z_EN: 1
; COMPUTE_PGM_RSRC2:TIDIG_COMP_CNT: 1
	.section	.text._ZN12_GLOBAL__N_135rocblas_gemm_batched_general_kernelIdLi16ELi16ELi32ELi32ELi8ELi32ELi8ELi8ELi32ELc84ELc67EKdS1_dEEvlllT_PT11_llS4_llS2_PT12_llPT13_lli,"axG",@progbits,_ZN12_GLOBAL__N_135rocblas_gemm_batched_general_kernelIdLi16ELi16ELi32ELi32ELi8ELi32ELi8ELi8ELi32ELc84ELc67EKdS1_dEEvlllT_PT11_llS4_llS2_PT12_llPT13_lli,comdat
	.globl	_ZN12_GLOBAL__N_135rocblas_gemm_batched_general_kernelIdLi16ELi16ELi32ELi32ELi8ELi32ELi8ELi8ELi32ELc84ELc67EKdS1_dEEvlllT_PT11_llS4_llS2_PT12_llPT13_lli ; -- Begin function _ZN12_GLOBAL__N_135rocblas_gemm_batched_general_kernelIdLi16ELi16ELi32ELi32ELi8ELi32ELi8ELi8ELi32ELc84ELc67EKdS1_dEEvlllT_PT11_llS4_llS2_PT12_llPT13_lli
	.p2align	8
	.type	_ZN12_GLOBAL__N_135rocblas_gemm_batched_general_kernelIdLi16ELi16ELi32ELi32ELi8ELi32ELi8ELi8ELi32ELc84ELc67EKdS1_dEEvlllT_PT11_llS4_llS2_PT12_llPT13_lli,@function
_ZN12_GLOBAL__N_135rocblas_gemm_batched_general_kernelIdLi16ELi16ELi32ELi32ELi8ELi32ELi8ELi8ELi32ELc84ELc67EKdS1_dEEvlllT_PT11_llS4_llS2_PT12_llPT13_lli: ; @_ZN12_GLOBAL__N_135rocblas_gemm_batched_general_kernelIdLi16ELi16ELi32ELi32ELi8ELi32ELi8ELi8ELi32ELc84ELc67EKdS1_dEEvlllT_PT11_llS4_llS2_PT12_llPT13_lli
; %bb.0:
	s_load_b32 s26, s[0:1], 0x88
	s_bfe_u32 s2, ttmp6, 0x40014
	s_lshr_b32 s3, ttmp7, 16
	s_add_co_i32 s2, s2, 1
	s_bfe_u32 s5, ttmp6, 0x40008
	s_mul_i32 s4, s3, s2
	s_getreg_b32 s2, hwreg(HW_REG_IB_STS2, 6, 4)
	s_add_co_i32 s5, s5, s4
	s_cmp_eq_u32 s2, 0
	s_mov_b32 s21, 0
	s_cselect_b32 s20, s3, s5
	s_wait_kmcnt 0x0
	s_cmp_ge_i32 s20, s26
	s_cbranch_scc1 .LBB305_35
; %bb.1:
	s_clause 0x1
	s_load_b512 s[4:19], s[0:1], 0x0
	s_load_b512 s[36:51], s[0:1], 0x40
	v_bfe_u32 v8, v0, 10, 10
	v_and_b32_e32 v10, 0x3ff, v0
	v_dual_mov_b32 v9, 0 :: v_dual_bitop2_b32 v0, 7, v0 bitop3:0x40
	s_bfe_u32 s3, ttmp6, 0x4000c
	s_bfe_u32 s23, ttmp6, 0x40010
	s_add_co_i32 s3, s3, 1
	s_and_b32 s24, ttmp7, 0xffff
	s_add_co_i32 s23, s23, 1
	s_and_b32 s22, ttmp6, 15
	s_mul_i32 s3, ttmp9, s3
	s_mul_i32 s23, s24, s23
	s_bfe_u32 s25, ttmp6, 0x40004
	v_lshl_add_u32 v24, v8, 4, v10
	v_mov_b32_e32 v1, v9
	s_add_co_i32 s22, s22, s3
	s_add_co_i32 s25, s25, s23
	s_cmp_eq_u32 s2, 0
	v_and_b32_e32 v25, 31, v24
	s_cselect_b32 s2, ttmp9, s22
	s_wait_kmcnt 0x0
	v_mul_u64_e32 v[12:13], s[36:37], v[0:1]
	s_cselect_b32 s28, s24, s25
	s_ashr_i32 s3, s2, 31
	s_lshl_b32 s24, s28, 5
	s_lshl_b64 s[2:3], s[2:3], 5
	s_mov_b32 s25, s21
	v_dual_mov_b32 v15, s3 :: v_dual_bitop2_b32 v14, s2, v25 bitop3:0x54
	v_add_nc_u64_e32 v[16:17], s[24:25], v[8:9]
	v_cmp_eq_f64_e64 s27, s[40:41], 0
	v_lshlrev_b32_e32 v26, 3, v0
	v_lshl_add_u32 v32, v8, 6, 0x800
	v_mul_u64_e32 v[18:19], s[14:15], v[14:15]
	v_dual_lshrrev_b32 v2, 5, v24 :: v_dual_lshlrev_b32 v35, 3, v10
	v_mul_u64_e32 v[20:21], s[44:45], v[16:17]
	v_mul_u64_e32 v[4:5], s[50:51], v[16:17]
	v_dual_mov_b32 v11, v9 :: v_dual_lshlrev_b32 v8, 3, v25
	v_dual_mov_b32 v7, v9 :: v_dual_lshrrev_b32 v6, 3, v24
	v_mov_b32_e32 v3, v9
	s_mov_b32 s15, s21
	s_lshl_b32 s14, s28, 8
	v_lshl_or_b32 v33, v2, 8, v8
	v_and_b32_e32 v8, 0x1ff8, v24
	v_add_nc_u64_e32 v[22:23], s[24:25], v[6:7]
	v_lshl_or_b32 v25, v6, 6, v26
	v_add_nc_u64_e32 v[6:7], s[2:3], v[10:11]
	s_load_b64 s[22:23], s[0:1], 0x80
	s_wait_xcnt 0x0
	v_cmp_gt_i64_e64 s0, s[4:5], v[14:15]
	v_cmp_gt_i64_e64 s2, s[6:7], v[16:17]
	v_lshl_add_u64 v[12:13], v[12:13], 3, s[14:15]
	v_cmp_gt_i64_e64 s1, s[6:7], v[22:23]
	v_add_nc_u64_e32 v[22:23], 16, v[16:17]
	v_add_nc_u64_e32 v[14:15], 16, v[6:7]
	v_cmp_gt_i64_e64 s3, s[4:5], v[6:7]
	v_add_nc_u64_e32 v[10:11], v[12:13], v[8:9]
	v_lshlrev_b32_e32 v8, 3, v2
	v_cmp_gt_i64_e64 s28, s[8:9], 0
	v_add_nc_u32_e32 v34, 0x800, v25
	s_lshl_b64 s[14:15], s[44:45], 4
	v_cmp_gt_i64_e64 s4, s[4:5], v[14:15]
	v_cmp_gt_i64_e64 s5, s[6:7], v[22:23]
	v_lshl_add_u64 v[12:13], v[18:19], 3, v[8:9]
	v_add_nc_u64_e32 v[10:11], s[18:19], v[10:11]
	s_lshl_b64 s[6:7], s[50:51], 4
	v_lshl_add_u64 v[8:9], v[20:21], 3, s[42:43]
	s_lshl_b64 s[18:19], s[36:37], 6
	v_add_nc_u64_e32 v[12:13], s[12:13], v[12:13]
	s_lshl_b64 s[12:13], s[38:39], 3
	s_lshl_b64 s[16:17], s[16:17], 3
	s_branch .LBB305_4
.LBB305_2:                              ;   in Loop: Header=BB305_4 Depth=1
	s_wait_xcnt 0x0
	s_or_b32 exec_lo, exec_lo, s29
.LBB305_3:                              ;   in Loop: Header=BB305_4 Depth=1
	s_add_co_i32 s20, s20, 0x10000
	s_delay_alu instid0(SALU_CYCLE_1)
	s_cmp_lt_i32 s20, s26
	s_cbranch_scc0 .LBB305_35
.LBB305_4:                              ; =>This Loop Header: Depth=1
                                        ;     Child Loop BB305_7 Depth 2
	s_and_not1_b32 vcc_lo, exec_lo, s28
	s_cbranch_vccnz .LBB305_11
; %bb.5:                                ;   in Loop: Header=BB305_4 Depth=1
	v_mad_nc_u64_u32 v[22:23], s12, s20, v[10:11]
	v_mad_nc_u64_u32 v[24:25], s16, s20, v[12:13]
	v_mov_b64_e32 v[14:15], 0
	v_mov_b64_e32 v[16:17], 0
	;; [unrolled: 1-line block ×4, first 2 shown]
	s_mov_b64 s[24:25], 0
	v_mad_u32 v23, s13, s20, v23
	v_mad_u32 v25, s17, s20, v25
	s_branch .LBB305_7
.LBB305_6:                              ;   in Loop: Header=BB305_7 Depth=2
	s_wait_xcnt 0x0
	s_or_b32 exec_lo, exec_lo, s29
	s_wait_loadcnt 0x0
	ds_store_b64 v34, v[28:29]
	s_wait_dscnt 0x0
	s_barrier_signal -1
	s_barrier_wait -1
	ds_load_b128 v[26:29], v32
	ds_load_2addr_b64 v[36:39], v35 offset1:16
	ds_load_b128 v[40:43], v32 offset:1024
	ds_load_b128 v[44:47], v32 offset:16
	;; [unrolled: 1-line block ×3, first 2 shown]
	s_add_nc_u64 s[24:25], s[24:25], 8
	v_add_nc_u64_e32 v[22:23], s[18:19], v[22:23]
	v_cmp_lt_i64_e64 s29, s[24:25], s[8:9]
	v_add_nc_u64_e32 v[24:25], 64, v[24:25]
	s_and_b32 vcc_lo, exec_lo, s29
	s_wait_dscnt 0x3
	v_fmac_f64_e32 v[20:21], v[36:37], v[26:27]
	v_fmac_f64_e32 v[18:19], v[38:39], v[26:27]
	s_wait_dscnt 0x2
	v_fmac_f64_e32 v[16:17], v[36:37], v[40:41]
	v_fmac_f64_e32 v[14:15], v[38:39], v[40:41]
	ds_load_2addr_b64 v[36:39], v35 offset0:32 offset1:48
	s_wait_dscnt 0x0
	v_fmac_f64_e32 v[20:21], v[36:37], v[28:29]
	v_fmac_f64_e32 v[18:19], v[38:39], v[28:29]
	v_fmac_f64_e32 v[16:17], v[36:37], v[42:43]
	v_fmac_f64_e32 v[14:15], v[38:39], v[42:43]
	ds_load_2addr_b64 v[26:29], v35 offset0:64 offset1:80
	s_wait_dscnt 0x0
	v_fmac_f64_e32 v[20:21], v[26:27], v[44:45]
	v_fmac_f64_e32 v[18:19], v[28:29], v[44:45]
	;; [unrolled: 6-line block ×3, first 2 shown]
	v_fmac_f64_e32 v[16:17], v[26:27], v[50:51]
	v_fmac_f64_e32 v[14:15], v[28:29], v[50:51]
	ds_load_b128 v[26:29], v32 offset:32
	ds_load_2addr_b64 v[36:39], v35 offset0:128 offset1:144
	ds_load_b128 v[40:43], v32 offset:1056
	ds_load_b128 v[44:47], v32 offset:48
	;; [unrolled: 1-line block ×3, first 2 shown]
	s_wait_dscnt 0x3
	v_fmac_f64_e32 v[20:21], v[36:37], v[26:27]
	v_fmac_f64_e32 v[18:19], v[38:39], v[26:27]
	s_wait_dscnt 0x2
	v_fmac_f64_e32 v[16:17], v[36:37], v[40:41]
	v_fmac_f64_e32 v[14:15], v[38:39], v[40:41]
	ds_load_2addr_b64 v[36:39], v35 offset0:160 offset1:176
	s_wait_dscnt 0x0
	v_fmac_f64_e32 v[20:21], v[36:37], v[28:29]
	v_fmac_f64_e32 v[18:19], v[38:39], v[28:29]
	;; [unrolled: 1-line block ×4, first 2 shown]
	ds_load_2addr_b64 v[26:29], v35 offset0:192 offset1:208
	s_wait_dscnt 0x0
	v_fmac_f64_e32 v[20:21], v[26:27], v[44:45]
	v_fmac_f64_e32 v[18:19], v[28:29], v[44:45]
	;; [unrolled: 1-line block ×4, first 2 shown]
	ds_load_2addr_b64 v[26:29], v35 offset0:224 offset1:240
	s_wait_dscnt 0x0
	s_barrier_signal -1
	s_barrier_wait -1
	v_fmac_f64_e32 v[20:21], v[26:27], v[46:47]
	v_fmac_f64_e32 v[18:19], v[28:29], v[46:47]
	;; [unrolled: 1-line block ×4, first 2 shown]
	s_cbranch_vccz .LBB305_12
.LBB305_7:                              ;   Parent Loop BB305_4 Depth=1
                                        ; =>  This Inner Loop Header: Depth=2
	v_add_nc_u64_e32 v[26:27], s[24:25], v[2:3]
	s_delay_alu instid0(VALU_DEP_1) | instskip(SKIP_2) | instid1(SALU_CYCLE_1)
	v_cmp_gt_i64_e32 vcc_lo, s[8:9], v[26:27]
	v_mov_b64_e32 v[26:27], 0
	s_and_b32 s30, s0, vcc_lo
	s_and_saveexec_b32 s29, s30
	s_cbranch_execz .LBB305_9
; %bb.8:                                ;   in Loop: Header=BB305_7 Depth=2
	global_load_b64 v[26:27], v[24:25], off
.LBB305_9:                              ;   in Loop: Header=BB305_7 Depth=2
	s_wait_xcnt 0x0
	s_or_b32 exec_lo, exec_lo, s29
	v_add_nc_u64_e32 v[28:29], s[24:25], v[0:1]
	s_wait_loadcnt 0x0
	ds_store_b64 v33, v[26:27]
	v_cmp_gt_i64_e32 vcc_lo, s[8:9], v[28:29]
	v_mov_b64_e32 v[28:29], 0
	s_and_b32 s30, vcc_lo, s1
	s_delay_alu instid0(SALU_CYCLE_1)
	s_and_saveexec_b32 s29, s30
	s_cbranch_execz .LBB305_6
; %bb.10:                               ;   in Loop: Header=BB305_7 Depth=2
	global_load_b64 v[28:29], v[22:23], off
	s_branch .LBB305_6
.LBB305_11:                             ;   in Loop: Header=BB305_4 Depth=1
	v_mov_b64_e32 v[20:21], 0
	v_mov_b64_e32 v[18:19], 0
	v_mov_b64_e32 v[16:17], 0
	v_mov_b64_e32 v[14:15], 0
.LBB305_12:                             ;   in Loop: Header=BB305_4 Depth=1
	s_wait_kmcnt 0x0
	s_mul_u64 s[24:25], s[22:23], s[20:21]
	s_and_not1_b32 vcc_lo, exec_lo, s27
	s_lshl_b64 s[24:25], s[24:25], 3
	s_delay_alu instid0(SALU_CYCLE_1)
	s_add_nc_u64 s[24:25], s[48:49], s[24:25]
	s_cbranch_vccnz .LBB305_17
; %bb.13:                               ;   in Loop: Header=BB305_4 Depth=1
	s_and_saveexec_b32 s29, s2
	s_cbranch_execz .LBB305_24
; %bb.14:                               ;   in Loop: Header=BB305_4 Depth=1
	v_lshl_add_u64 v[22:23], v[4:5], 3, s[24:25]
	s_delay_alu instid0(VALU_DEP_1)
	v_lshl_add_u64 v[24:25], v[6:7], 3, v[22:23]
	s_and_saveexec_b32 s30, s3
	s_cbranch_execnz .LBB305_18
; %bb.15:                               ;   in Loop: Header=BB305_4 Depth=1
	s_or_b32 exec_lo, exec_lo, s30
	s_and_saveexec_b32 s30, s4
	s_cbranch_execnz .LBB305_19
.LBB305_16:                             ;   in Loop: Header=BB305_4 Depth=1
	s_or_b32 exec_lo, exec_lo, s30
	s_delay_alu instid0(SALU_CYCLE_1)
	s_and_b32 exec_lo, exec_lo, s5
	s_cbranch_execnz .LBB305_20
	s_branch .LBB305_24
.LBB305_17:                             ;   in Loop: Header=BB305_4 Depth=1
	s_branch .LBB305_25
.LBB305_18:                             ;   in Loop: Header=BB305_4 Depth=1
	v_mul_f64_e32 v[26:27], s[10:11], v[20:21]
	global_store_b64 v[24:25], v[26:27], off
	s_wait_xcnt 0x0
	s_or_b32 exec_lo, exec_lo, s30
	s_and_saveexec_b32 s30, s4
	s_cbranch_execz .LBB305_16
.LBB305_19:                             ;   in Loop: Header=BB305_4 Depth=1
	v_mul_f64_e32 v[26:27], s[10:11], v[18:19]
	global_store_b64 v[24:25], v[26:27], off offset:128
	s_wait_xcnt 0x0
	s_or_b32 exec_lo, exec_lo, s30
	s_delay_alu instid0(SALU_CYCLE_1)
	s_and_b32 exec_lo, exec_lo, s5
	s_cbranch_execz .LBB305_24
.LBB305_20:                             ;   in Loop: Header=BB305_4 Depth=1
	v_lshl_add_u64 v[22:23], s[6:7], 3, v[22:23]
	s_delay_alu instid0(VALU_DEP_1)
	v_lshl_add_u64 v[22:23], v[6:7], 3, v[22:23]
	s_and_saveexec_b32 s30, s3
	s_cbranch_execz .LBB305_22
; %bb.21:                               ;   in Loop: Header=BB305_4 Depth=1
	v_mul_f64_e32 v[24:25], s[10:11], v[16:17]
	global_store_b64 v[22:23], v[24:25], off
.LBB305_22:                             ;   in Loop: Header=BB305_4 Depth=1
	s_wait_xcnt 0x0
	s_or_b32 exec_lo, exec_lo, s30
	s_delay_alu instid0(SALU_CYCLE_1)
	s_and_b32 exec_lo, exec_lo, s4
	s_cbranch_execz .LBB305_24
; %bb.23:                               ;   in Loop: Header=BB305_4 Depth=1
	v_mul_f64_e32 v[24:25], s[10:11], v[14:15]
	global_store_b64 v[22:23], v[24:25], off offset:128
.LBB305_24:                             ;   in Loop: Header=BB305_4 Depth=1
	s_wait_xcnt 0x0
	s_or_b32 exec_lo, exec_lo, s29
	s_cbranch_execnz .LBB305_3
.LBB305_25:                             ;   in Loop: Header=BB305_4 Depth=1
	s_and_saveexec_b32 s29, s2
	s_cbranch_execz .LBB305_2
; %bb.26:                               ;   in Loop: Header=BB305_4 Depth=1
	s_mul_u64 s[30:31], s[46:47], s[20:21]
	v_lshlrev_b64_e32 v[22:23], 3, v[6:7]
	v_lshl_add_u64 v[24:25], s[30:31], 3, v[8:9]
	v_lshl_add_u64 v[26:27], v[4:5], 3, s[24:25]
	s_delay_alu instid0(VALU_DEP_2) | instskip(NEXT) | instid1(VALU_DEP_2)
	v_add_nc_u64_e32 v[30:31], v[24:25], v[22:23]
	v_add_nc_u64_e32 v[28:29], v[26:27], v[22:23]
	s_and_saveexec_b32 s24, s3
	s_cbranch_execnz .LBB305_29
; %bb.27:                               ;   in Loop: Header=BB305_4 Depth=1
	s_or_b32 exec_lo, exec_lo, s24
	s_and_saveexec_b32 s24, s4
	s_cbranch_execnz .LBB305_30
.LBB305_28:                             ;   in Loop: Header=BB305_4 Depth=1
	s_or_b32 exec_lo, exec_lo, s24
	s_delay_alu instid0(SALU_CYCLE_1)
	s_and_b32 exec_lo, exec_lo, s5
	s_cbranch_execz .LBB305_2
	s_branch .LBB305_31
.LBB305_29:                             ;   in Loop: Header=BB305_4 Depth=1
	global_load_b64 v[36:37], v[30:31], off
	s_wait_loadcnt 0x0
	v_mul_f64_e32 v[36:37], s[40:41], v[36:37]
	s_delay_alu instid0(VALU_DEP_1)
	v_fmac_f64_e32 v[36:37], s[10:11], v[20:21]
	global_store_b64 v[28:29], v[36:37], off
	s_wait_xcnt 0x0
	s_or_b32 exec_lo, exec_lo, s24
	s_and_saveexec_b32 s24, s4
	s_cbranch_execz .LBB305_28
.LBB305_30:                             ;   in Loop: Header=BB305_4 Depth=1
	global_load_b64 v[20:21], v[30:31], off offset:128
	s_wait_loadcnt 0x0
	v_mul_f64_e32 v[20:21], s[40:41], v[20:21]
	s_delay_alu instid0(VALU_DEP_1) | instskip(SKIP_3) | instid1(SALU_CYCLE_1)
	v_fmac_f64_e32 v[20:21], s[10:11], v[18:19]
	global_store_b64 v[28:29], v[20:21], off offset:128
	s_wait_xcnt 0x0
	s_or_b32 exec_lo, exec_lo, s24
	s_and_b32 exec_lo, exec_lo, s5
	s_cbranch_execz .LBB305_2
.LBB305_31:                             ;   in Loop: Header=BB305_4 Depth=1
	v_lshl_add_u64 v[18:19], s[14:15], 3, v[24:25]
	v_lshl_add_u64 v[24:25], s[6:7], 3, v[26:27]
	s_delay_alu instid0(VALU_DEP_2) | instskip(NEXT) | instid1(VALU_DEP_2)
	v_add_nc_u64_e32 v[20:21], v[18:19], v[22:23]
	v_add_nc_u64_e32 v[18:19], v[24:25], v[22:23]
	s_and_saveexec_b32 s24, s3
	s_cbranch_execz .LBB305_33
; %bb.32:                               ;   in Loop: Header=BB305_4 Depth=1
	global_load_b64 v[22:23], v[20:21], off
	s_wait_loadcnt 0x0
	v_mul_f64_e32 v[22:23], s[40:41], v[22:23]
	s_delay_alu instid0(VALU_DEP_1)
	v_fmac_f64_e32 v[22:23], s[10:11], v[16:17]
	global_store_b64 v[18:19], v[22:23], off
.LBB305_33:                             ;   in Loop: Header=BB305_4 Depth=1
	s_wait_xcnt 0x0
	s_or_b32 exec_lo, exec_lo, s24
	s_delay_alu instid0(SALU_CYCLE_1)
	s_and_b32 exec_lo, exec_lo, s4
	s_cbranch_execz .LBB305_2
; %bb.34:                               ;   in Loop: Header=BB305_4 Depth=1
	global_load_b64 v[16:17], v[20:21], off offset:128
	s_wait_loadcnt 0x0
	v_mul_f64_e32 v[16:17], s[40:41], v[16:17]
	s_delay_alu instid0(VALU_DEP_1)
	v_fmac_f64_e32 v[16:17], s[10:11], v[14:15]
	global_store_b64 v[18:19], v[16:17], off offset:128
	s_branch .LBB305_2
.LBB305_35:
	s_endpgm
	.section	.rodata,"a",@progbits
	.p2align	6, 0x0
	.amdhsa_kernel _ZN12_GLOBAL__N_135rocblas_gemm_batched_general_kernelIdLi16ELi16ELi32ELi32ELi8ELi32ELi8ELi8ELi32ELc84ELc67EKdS1_dEEvlllT_PT11_llS4_llS2_PT12_llPT13_lli
		.amdhsa_group_segment_fixed_size 4096
		.amdhsa_private_segment_fixed_size 0
		.amdhsa_kernarg_size 140
		.amdhsa_user_sgpr_count 2
		.amdhsa_user_sgpr_dispatch_ptr 0
		.amdhsa_user_sgpr_queue_ptr 0
		.amdhsa_user_sgpr_kernarg_segment_ptr 1
		.amdhsa_user_sgpr_dispatch_id 0
		.amdhsa_user_sgpr_kernarg_preload_length 0
		.amdhsa_user_sgpr_kernarg_preload_offset 0
		.amdhsa_user_sgpr_private_segment_size 0
		.amdhsa_wavefront_size32 1
		.amdhsa_uses_dynamic_stack 0
		.amdhsa_enable_private_segment 0
		.amdhsa_system_sgpr_workgroup_id_x 1
		.amdhsa_system_sgpr_workgroup_id_y 1
		.amdhsa_system_sgpr_workgroup_id_z 1
		.amdhsa_system_sgpr_workgroup_info 0
		.amdhsa_system_vgpr_workitem_id 1
		.amdhsa_next_free_vgpr 52
		.amdhsa_next_free_sgpr 52
		.amdhsa_named_barrier_count 0
		.amdhsa_reserve_vcc 1
		.amdhsa_float_round_mode_32 0
		.amdhsa_float_round_mode_16_64 0
		.amdhsa_float_denorm_mode_32 3
		.amdhsa_float_denorm_mode_16_64 3
		.amdhsa_fp16_overflow 0
		.amdhsa_memory_ordered 1
		.amdhsa_forward_progress 1
		.amdhsa_inst_pref_size 14
		.amdhsa_round_robin_scheduling 0
		.amdhsa_exception_fp_ieee_invalid_op 0
		.amdhsa_exception_fp_denorm_src 0
		.amdhsa_exception_fp_ieee_div_zero 0
		.amdhsa_exception_fp_ieee_overflow 0
		.amdhsa_exception_fp_ieee_underflow 0
		.amdhsa_exception_fp_ieee_inexact 0
		.amdhsa_exception_int_div_zero 0
	.end_amdhsa_kernel
	.section	.text._ZN12_GLOBAL__N_135rocblas_gemm_batched_general_kernelIdLi16ELi16ELi32ELi32ELi8ELi32ELi8ELi8ELi32ELc84ELc67EKdS1_dEEvlllT_PT11_llS4_llS2_PT12_llPT13_lli,"axG",@progbits,_ZN12_GLOBAL__N_135rocblas_gemm_batched_general_kernelIdLi16ELi16ELi32ELi32ELi8ELi32ELi8ELi8ELi32ELc84ELc67EKdS1_dEEvlllT_PT11_llS4_llS2_PT12_llPT13_lli,comdat
.Lfunc_end305:
	.size	_ZN12_GLOBAL__N_135rocblas_gemm_batched_general_kernelIdLi16ELi16ELi32ELi32ELi8ELi32ELi8ELi8ELi32ELc84ELc67EKdS1_dEEvlllT_PT11_llS4_llS2_PT12_llPT13_lli, .Lfunc_end305-_ZN12_GLOBAL__N_135rocblas_gemm_batched_general_kernelIdLi16ELi16ELi32ELi32ELi8ELi32ELi8ELi8ELi32ELc84ELc67EKdS1_dEEvlllT_PT11_llS4_llS2_PT12_llPT13_lli
                                        ; -- End function
	.set _ZN12_GLOBAL__N_135rocblas_gemm_batched_general_kernelIdLi16ELi16ELi32ELi32ELi8ELi32ELi8ELi8ELi32ELc84ELc67EKdS1_dEEvlllT_PT11_llS4_llS2_PT12_llPT13_lli.num_vgpr, 52
	.set _ZN12_GLOBAL__N_135rocblas_gemm_batched_general_kernelIdLi16ELi16ELi32ELi32ELi8ELi32ELi8ELi8ELi32ELc84ELc67EKdS1_dEEvlllT_PT11_llS4_llS2_PT12_llPT13_lli.num_agpr, 0
	.set _ZN12_GLOBAL__N_135rocblas_gemm_batched_general_kernelIdLi16ELi16ELi32ELi32ELi8ELi32ELi8ELi8ELi32ELc84ELc67EKdS1_dEEvlllT_PT11_llS4_llS2_PT12_llPT13_lli.numbered_sgpr, 52
	.set _ZN12_GLOBAL__N_135rocblas_gemm_batched_general_kernelIdLi16ELi16ELi32ELi32ELi8ELi32ELi8ELi8ELi32ELc84ELc67EKdS1_dEEvlllT_PT11_llS4_llS2_PT12_llPT13_lli.num_named_barrier, 0
	.set _ZN12_GLOBAL__N_135rocblas_gemm_batched_general_kernelIdLi16ELi16ELi32ELi32ELi8ELi32ELi8ELi8ELi32ELc84ELc67EKdS1_dEEvlllT_PT11_llS4_llS2_PT12_llPT13_lli.private_seg_size, 0
	.set _ZN12_GLOBAL__N_135rocblas_gemm_batched_general_kernelIdLi16ELi16ELi32ELi32ELi8ELi32ELi8ELi8ELi32ELc84ELc67EKdS1_dEEvlllT_PT11_llS4_llS2_PT12_llPT13_lli.uses_vcc, 1
	.set _ZN12_GLOBAL__N_135rocblas_gemm_batched_general_kernelIdLi16ELi16ELi32ELi32ELi8ELi32ELi8ELi8ELi32ELc84ELc67EKdS1_dEEvlllT_PT11_llS4_llS2_PT12_llPT13_lli.uses_flat_scratch, 0
	.set _ZN12_GLOBAL__N_135rocblas_gemm_batched_general_kernelIdLi16ELi16ELi32ELi32ELi8ELi32ELi8ELi8ELi32ELc84ELc67EKdS1_dEEvlllT_PT11_llS4_llS2_PT12_llPT13_lli.has_dyn_sized_stack, 0
	.set _ZN12_GLOBAL__N_135rocblas_gemm_batched_general_kernelIdLi16ELi16ELi32ELi32ELi8ELi32ELi8ELi8ELi32ELc84ELc67EKdS1_dEEvlllT_PT11_llS4_llS2_PT12_llPT13_lli.has_recursion, 0
	.set _ZN12_GLOBAL__N_135rocblas_gemm_batched_general_kernelIdLi16ELi16ELi32ELi32ELi8ELi32ELi8ELi8ELi32ELc84ELc67EKdS1_dEEvlllT_PT11_llS4_llS2_PT12_llPT13_lli.has_indirect_call, 0
	.section	.AMDGPU.csdata,"",@progbits
; Kernel info:
; codeLenInByte = 1676
; TotalNumSgprs: 54
; NumVgprs: 52
; ScratchSize: 0
; MemoryBound: 0
; FloatMode: 240
; IeeeMode: 1
; LDSByteSize: 4096 bytes/workgroup (compile time only)
; SGPRBlocks: 0
; VGPRBlocks: 3
; NumSGPRsForWavesPerEU: 54
; NumVGPRsForWavesPerEU: 52
; NamedBarCnt: 0
; Occupancy: 16
; WaveLimiterHint : 0
; COMPUTE_PGM_RSRC2:SCRATCH_EN: 0
; COMPUTE_PGM_RSRC2:USER_SGPR: 2
; COMPUTE_PGM_RSRC2:TRAP_HANDLER: 0
; COMPUTE_PGM_RSRC2:TGID_X_EN: 1
; COMPUTE_PGM_RSRC2:TGID_Y_EN: 1
; COMPUTE_PGM_RSRC2:TGID_Z_EN: 1
; COMPUTE_PGM_RSRC2:TIDIG_COMP_CNT: 1
	.section	.text._ZN12_GLOBAL__N_120gemm_ex_scale_kernelILi32ELi32EfPKfPfEEviiT1_T2_lllT3_llli,"axG",@progbits,_ZN12_GLOBAL__N_120gemm_ex_scale_kernelILi32ELi32EfPKfPfEEviiT1_T2_lllT3_llli,comdat
	.globl	_ZN12_GLOBAL__N_120gemm_ex_scale_kernelILi32ELi32EfPKfPfEEviiT1_T2_lllT3_llli ; -- Begin function _ZN12_GLOBAL__N_120gemm_ex_scale_kernelILi32ELi32EfPKfPfEEviiT1_T2_lllT3_llli
	.p2align	8
	.type	_ZN12_GLOBAL__N_120gemm_ex_scale_kernelILi32ELi32EfPKfPfEEviiT1_T2_lllT3_llli,@function
_ZN12_GLOBAL__N_120gemm_ex_scale_kernelILi32ELi32EfPKfPfEEviiT1_T2_lllT3_llli: ; @_ZN12_GLOBAL__N_120gemm_ex_scale_kernelILi32ELi32EfPKfPfEEviiT1_T2_lllT3_llli
; %bb.0:
	s_load_b32 s3, s[0:1], 0x50
	s_bfe_u32 s2, ttmp6, 0x40014
	s_lshr_b32 s4, ttmp7, 16
	s_add_co_i32 s2, s2, 1
	s_bfe_u32 s6, ttmp6, 0x40008
	s_mul_i32 s5, s4, s2
	s_getreg_b32 s2, hwreg(HW_REG_IB_STS2, 6, 4)
	s_add_co_i32 s6, s6, s5
	s_cmp_eq_u32 s2, 0
	s_mov_b32 s21, 0
	s_cselect_b32 s20, s4, s6
	s_wait_kmcnt 0x0
	s_cmp_ge_u32 s20, s3
	s_cbranch_scc1 .LBB306_8
; %bb.1:
	s_load_b512 s[4:19], s[0:1], 0x10
	s_bfe_u32 s23, ttmp6, 0x40010
	s_bfe_u32 s26, ttmp6, 0x4000c
	s_and_b32 s22, ttmp7, 0xffff
	s_add_co_i32 s23, s23, 1
	s_add_co_i32 s26, s26, 1
	s_bfe_u32 s24, ttmp6, 0x40004
	s_and_b32 s25, ttmp6, 15
	s_mul_i32 s23, s22, s23
	s_mul_i32 s26, ttmp9, s26
	v_bfe_u32 v1, v0, 10, 10
	s_add_co_i32 s24, s24, s23
	s_add_co_i32 s25, s25, s26
	v_mov_b32_e32 v3, 0
	v_and_b32_e32 v0, 0x3ff, v0
	s_wait_kmcnt 0x0
	s_lshl_b64 s[14:15], s[14:15], 2
	s_lshl_b64 s[6:7], s[6:7], 2
	s_cmp_eq_u32 s2, 0
	s_add_nc_u64 s[4:5], s[4:5], s[6:7]
	s_cselect_b32 s2, s22, s24
	s_add_nc_u64 s[6:7], s[12:13], s[14:15]
	v_lshl_add_u32 v2, s2, 5, v1
	s_load_b96 s[0:2], s[0:1], 0x0
	v_mov_b32_e32 v1, v3
	s_delay_alu instid0(VALU_DEP_2) | instskip(SKIP_2) | instid1(SALU_CYCLE_1)
	v_mul_u64_e32 v[4:5], s[8:9], v[2:3]
	v_mul_u64_e32 v[6:7], s[16:17], v[2:3]
	s_cselect_b32 s8, ttmp9, s25
	v_lshl_add_u32 v0, s8, 5, v0
	s_wait_kmcnt 0x0
	s_delay_alu instid0(VALU_DEP_1)
	v_cmp_gt_u32_e32 vcc_lo, s0, v0
	v_cmp_gt_u32_e64 s0, s1, v2
	v_lshlrev_b64_e32 v[2:3], 2, v[0:1]
	s_and_b32 s0, vcc_lo, s0
	s_cmp_neq_f32 s2, 0
	s_cselect_b32 s1, -1, 0
	v_lshl_add_u64 v[0:1], v[4:5], 2, s[4:5]
	v_lshl_add_u64 v[4:5], v[6:7], 2, s[6:7]
	s_delay_alu instid0(VALU_DEP_2) | instskip(NEXT) | instid1(VALU_DEP_2)
	v_add_nc_u64_e32 v[0:1], v[0:1], v[2:3]
	v_add_nc_u64_e32 v[2:3], v[4:5], v[2:3]
	s_branch .LBB306_5
.LBB306_2:                              ;   in Loop: Header=BB306_5 Depth=1
	s_mul_u64 s[6:7], s[10:11], s[20:21]
	s_delay_alu instid0(SALU_CYCLE_1)
	v_lshl_add_u64 v[4:5], s[6:7], 2, v[0:1]
	global_load_b32 v4, v[4:5], off
	s_wait_loadcnt 0x0
	s_wait_xcnt 0x0
	v_mul_f32_e32 v4, s2, v4
.LBB306_3:                              ;   in Loop: Header=BB306_5 Depth=1
	s_mul_u64 s[6:7], s[18:19], s[20:21]
	s_delay_alu instid0(SALU_CYCLE_1)
	v_lshl_add_u64 v[6:7], s[6:7], 2, v[2:3]
	global_store_b32 v[6:7], v4, off
.LBB306_4:                              ;   in Loop: Header=BB306_5 Depth=1
	s_wait_xcnt 0x0
	s_or_b32 exec_lo, exec_lo, s4
	s_add_co_i32 s20, s20, 0x10000
	s_delay_alu instid0(SALU_CYCLE_1)
	s_cmp_lt_u32 s20, s3
	s_cbranch_scc0 .LBB306_8
.LBB306_5:                              ; =>This Inner Loop Header: Depth=1
	s_and_saveexec_b32 s4, s0
	s_cbranch_execz .LBB306_4
; %bb.6:                                ;   in Loop: Header=BB306_5 Depth=1
	s_and_not1_b32 vcc_lo, exec_lo, s1
	s_cbranch_vccz .LBB306_2
; %bb.7:                                ;   in Loop: Header=BB306_5 Depth=1
	v_mov_b32_e32 v4, 0
	s_branch .LBB306_3
.LBB306_8:
	s_endpgm
	.section	.rodata,"a",@progbits
	.p2align	6, 0x0
	.amdhsa_kernel _ZN12_GLOBAL__N_120gemm_ex_scale_kernelILi32ELi32EfPKfPfEEviiT1_T2_lllT3_llli
		.amdhsa_group_segment_fixed_size 0
		.amdhsa_private_segment_fixed_size 0
		.amdhsa_kernarg_size 84
		.amdhsa_user_sgpr_count 2
		.amdhsa_user_sgpr_dispatch_ptr 0
		.amdhsa_user_sgpr_queue_ptr 0
		.amdhsa_user_sgpr_kernarg_segment_ptr 1
		.amdhsa_user_sgpr_dispatch_id 0
		.amdhsa_user_sgpr_kernarg_preload_length 0
		.amdhsa_user_sgpr_kernarg_preload_offset 0
		.amdhsa_user_sgpr_private_segment_size 0
		.amdhsa_wavefront_size32 1
		.amdhsa_uses_dynamic_stack 0
		.amdhsa_enable_private_segment 0
		.amdhsa_system_sgpr_workgroup_id_x 1
		.amdhsa_system_sgpr_workgroup_id_y 1
		.amdhsa_system_sgpr_workgroup_id_z 1
		.amdhsa_system_sgpr_workgroup_info 0
		.amdhsa_system_vgpr_workitem_id 1
		.amdhsa_next_free_vgpr 8
		.amdhsa_next_free_sgpr 27
		.amdhsa_named_barrier_count 0
		.amdhsa_reserve_vcc 1
		.amdhsa_float_round_mode_32 0
		.amdhsa_float_round_mode_16_64 0
		.amdhsa_float_denorm_mode_32 3
		.amdhsa_float_denorm_mode_16_64 3
		.amdhsa_fp16_overflow 0
		.amdhsa_memory_ordered 1
		.amdhsa_forward_progress 1
		.amdhsa_inst_pref_size 4
		.amdhsa_round_robin_scheduling 0
		.amdhsa_exception_fp_ieee_invalid_op 0
		.amdhsa_exception_fp_denorm_src 0
		.amdhsa_exception_fp_ieee_div_zero 0
		.amdhsa_exception_fp_ieee_overflow 0
		.amdhsa_exception_fp_ieee_underflow 0
		.amdhsa_exception_fp_ieee_inexact 0
		.amdhsa_exception_int_div_zero 0
	.end_amdhsa_kernel
	.section	.text._ZN12_GLOBAL__N_120gemm_ex_scale_kernelILi32ELi32EfPKfPfEEviiT1_T2_lllT3_llli,"axG",@progbits,_ZN12_GLOBAL__N_120gemm_ex_scale_kernelILi32ELi32EfPKfPfEEviiT1_T2_lllT3_llli,comdat
.Lfunc_end306:
	.size	_ZN12_GLOBAL__N_120gemm_ex_scale_kernelILi32ELi32EfPKfPfEEviiT1_T2_lllT3_llli, .Lfunc_end306-_ZN12_GLOBAL__N_120gemm_ex_scale_kernelILi32ELi32EfPKfPfEEviiT1_T2_lllT3_llli
                                        ; -- End function
	.set _ZN12_GLOBAL__N_120gemm_ex_scale_kernelILi32ELi32EfPKfPfEEviiT1_T2_lllT3_llli.num_vgpr, 8
	.set _ZN12_GLOBAL__N_120gemm_ex_scale_kernelILi32ELi32EfPKfPfEEviiT1_T2_lllT3_llli.num_agpr, 0
	.set _ZN12_GLOBAL__N_120gemm_ex_scale_kernelILi32ELi32EfPKfPfEEviiT1_T2_lllT3_llli.numbered_sgpr, 27
	.set _ZN12_GLOBAL__N_120gemm_ex_scale_kernelILi32ELi32EfPKfPfEEviiT1_T2_lllT3_llli.num_named_barrier, 0
	.set _ZN12_GLOBAL__N_120gemm_ex_scale_kernelILi32ELi32EfPKfPfEEviiT1_T2_lllT3_llli.private_seg_size, 0
	.set _ZN12_GLOBAL__N_120gemm_ex_scale_kernelILi32ELi32EfPKfPfEEviiT1_T2_lllT3_llli.uses_vcc, 1
	.set _ZN12_GLOBAL__N_120gemm_ex_scale_kernelILi32ELi32EfPKfPfEEviiT1_T2_lllT3_llli.uses_flat_scratch, 0
	.set _ZN12_GLOBAL__N_120gemm_ex_scale_kernelILi32ELi32EfPKfPfEEviiT1_T2_lllT3_llli.has_dyn_sized_stack, 0
	.set _ZN12_GLOBAL__N_120gemm_ex_scale_kernelILi32ELi32EfPKfPfEEviiT1_T2_lllT3_llli.has_recursion, 0
	.set _ZN12_GLOBAL__N_120gemm_ex_scale_kernelILi32ELi32EfPKfPfEEviiT1_T2_lllT3_llli.has_indirect_call, 0
	.section	.AMDGPU.csdata,"",@progbits
; Kernel info:
; codeLenInByte = 420
; TotalNumSgprs: 29
; NumVgprs: 8
; ScratchSize: 0
; MemoryBound: 0
; FloatMode: 240
; IeeeMode: 1
; LDSByteSize: 0 bytes/workgroup (compile time only)
; SGPRBlocks: 0
; VGPRBlocks: 0
; NumSGPRsForWavesPerEU: 29
; NumVGPRsForWavesPerEU: 8
; NamedBarCnt: 0
; Occupancy: 16
; WaveLimiterHint : 0
; COMPUTE_PGM_RSRC2:SCRATCH_EN: 0
; COMPUTE_PGM_RSRC2:USER_SGPR: 2
; COMPUTE_PGM_RSRC2:TRAP_HANDLER: 0
; COMPUTE_PGM_RSRC2:TGID_X_EN: 1
; COMPUTE_PGM_RSRC2:TGID_Y_EN: 1
; COMPUTE_PGM_RSRC2:TGID_Z_EN: 1
; COMPUTE_PGM_RSRC2:TIDIG_COMP_CNT: 1
	.section	.text._ZN12_GLOBAL__N_127rocblas_gemm_batched_kernelIfLi16ELi16ELi64ELi64ELi4ELi64ELi4ELi4ELi64ELc78ELc78EKfS1_fEEvlllT_PT11_llS4_llS2_PT12_llPT13_lli,"axG",@progbits,_ZN12_GLOBAL__N_127rocblas_gemm_batched_kernelIfLi16ELi16ELi64ELi64ELi4ELi64ELi4ELi4ELi64ELc78ELc78EKfS1_fEEvlllT_PT11_llS4_llS2_PT12_llPT13_lli,comdat
	.globl	_ZN12_GLOBAL__N_127rocblas_gemm_batched_kernelIfLi16ELi16ELi64ELi64ELi4ELi64ELi4ELi4ELi64ELc78ELc78EKfS1_fEEvlllT_PT11_llS4_llS2_PT12_llPT13_lli ; -- Begin function _ZN12_GLOBAL__N_127rocblas_gemm_batched_kernelIfLi16ELi16ELi64ELi64ELi4ELi64ELi4ELi4ELi64ELc78ELc78EKfS1_fEEvlllT_PT11_llS4_llS2_PT12_llPT13_lli
	.p2align	8
	.type	_ZN12_GLOBAL__N_127rocblas_gemm_batched_kernelIfLi16ELi16ELi64ELi64ELi4ELi64ELi4ELi4ELi64ELc78ELc78EKfS1_fEEvlllT_PT11_llS4_llS2_PT12_llPT13_lli,@function
_ZN12_GLOBAL__N_127rocblas_gemm_batched_kernelIfLi16ELi16ELi64ELi64ELi4ELi64ELi4ELi4ELi64ELc78ELc78EKfS1_fEEvlllT_PT11_llS4_llS2_PT12_llPT13_lli: ; @_ZN12_GLOBAL__N_127rocblas_gemm_batched_kernelIfLi16ELi16ELi64ELi64ELi4ELi64ELi4ELi4ELi64ELc78ELc78EKfS1_fEEvlllT_PT11_llS4_llS2_PT12_llPT13_lli
; %bb.0:
	s_load_b32 s31, s[0:1], 0x88
	s_bfe_u32 s2, ttmp6, 0x40014
	s_lshr_b32 s3, ttmp7, 16
	s_add_co_i32 s2, s2, 1
	s_bfe_u32 s4, ttmp6, 0x40008
	s_mul_i32 s2, s3, s2
	s_getreg_b32 s20, hwreg(HW_REG_IB_STS2, 6, 4)
	s_add_co_i32 s4, s4, s2
	s_cmp_eq_u32 s20, 0
	s_cselect_b32 s2, s3, s4
	s_mov_b32 s3, 0
	s_wait_kmcnt 0x0
	s_cmp_ge_i32 s2, s31
	s_cbranch_scc1 .LBB307_10
; %bb.1:
	v_bfe_u32 v2, v0, 10, 10
	v_and_b32_e32 v4, 0x3ff, v0
	s_bfe_u32 s22, ttmp6, 0x4000c
	s_bfe_u32 s28, ttmp6, 0x40010
	s_clause 0x2
	s_load_b256 s[12:19], s[0:1], 0x20
	s_load_b128 s[24:27], s[0:1], 0x40
	s_load_b256 s[4:11], s[0:1], 0x58
	v_dual_mov_b32 v3, 0 :: v_dual_lshlrev_b32 v16, 4, v2
	s_and_b32 s23, ttmp7, 0xffff
	s_add_co_i32 s22, s22, 1
	s_add_co_i32 s28, s28, 1
	s_delay_alu instid0(VALU_DEP_1)
	v_dual_add_nc_u32 v17, v16, v4 :: v_dual_mov_b32 v7, v3
	s_and_b32 s21, ttmp6, 15
	s_mul_i32 s22, ttmp9, s22
	s_mul_i32 s28, s23, s28
	s_bfe_u32 s29, ttmp6, 0x40004
	s_add_co_i32 s21, s21, s22
	s_add_co_i32 s29, s29, s28
	s_cmp_eq_u32 s20, 0
	v_dual_lshrrev_b32 v6, 2, v17 :: v_dual_lshrrev_b32 v18, 6, v17
	s_cselect_b32 s20, s23, s29
	s_cselect_b32 s28, ttmp9, s21
	s_lshl_b32 s34, s20, 6
	s_mov_b32 s35, s3
	s_load_b128 s[20:23], s[0:1], 0x78
	v_add_nc_u64_e32 v[8:9], s[34:35], v[6:7]
	v_add_nc_u64_e32 v[10:11], s[34:35], v[2:3]
	s_ashr_i32 s29, s28, 31
	s_load_b32 s33, s[0:1], 0x50
	v_dual_mov_b32 v5, v3 :: v_dual_lshlrev_b32 v2, 2, v0
	v_add_nc_u32_e32 v31, 0x400, v16
	s_wait_kmcnt 0x0
	v_mul_u64_e32 v[8:9], s[24:25], v[8:9]
	s_lshl_b64 s[24:25], s[28:29], 6
	v_mul_u64_e32 v[12:13], s[6:7], v[10:11]
	s_load_b96 s[28:30], s[0:1], 0x10
	v_mad_nc_u64_u32 v[14:15], s14, v18, s[24:25]
	v_dual_lshlrev_b32 v30, 2, v4 :: v_dual_bitop2_b32 v2, 12, v2 bitop3:0x40
	s_delay_alu instid0(VALU_DEP_1)
	v_lshl_or_b32 v20, v6, 4, v2
	v_mul_u64_e32 v[0:1], s[20:21], v[10:11]
	v_dual_mov_b32 v11, v3 :: v_dual_bitop2_b32 v10, 63, v17 bitop3:0x40
	v_mad_u32 v15, s15, v18, v15
	v_add_nc_u64_e32 v[16:17], s[24:25], v[4:5]
	s_cmp_eq_f32 s33, 0
	v_add_nc_u32_e32 v33, 0x400, v20
	v_lshlrev_b32_e32 v19, 2, v10
	s_wait_xcnt 0x0
	s_cselect_b32 s1, -1, 0
	s_lshl_b64 s[20:21], s[20:21], 4
	s_wait_kmcnt 0x0
	v_cmp_gt_i64_e64 s0, s[28:29], 0
	v_lshl_or_b32 v32, v18, 8, v19
	s_lshl_b64 s[24:25], s[6:7], 4
	v_add_nc_u64_e32 v[4:5], v[14:15], v[10:11]
	s_lshl_b64 s[6:7], s[26:27], 2
	v_cndmask_b32_e64 v21, 0, 1, s0
	v_lshl_add_u64 v[6:7], v[8:9], 2, v[2:3]
	v_lshlrev_b64_e32 v[8:9], 2, v[16:17]
	s_delay_alu instid0(VALU_DEP_4)
	v_lshl_add_u64 v[2:3], v[4:5], 2, s[12:13]
	v_lshl_add_u64 v[4:5], v[12:13], 2, s[4:5]
	v_cmp_ne_u32_e64 s0, 1, v21
	v_add_nc_u64_e32 v[6:7], s[18:19], v[6:7]
	s_lshl_b64 s[4:5], s[16:17], 2
	s_lshl_b64 s[12:13], s[14:15], 4
	;; [unrolled: 1-line block ×4, first 2 shown]
	s_branch .LBB307_3
.LBB307_2:                              ;   in Loop: Header=BB307_3 Depth=1
	s_add_co_i32 s2, s2, 0x10000
	s_delay_alu instid0(SALU_CYCLE_1)
	s_cmp_lt_i32 s2, s31
	s_cbranch_scc0 .LBB307_10
.LBB307_3:                              ; =>This Loop Header: Depth=1
                                        ;     Child Loop BB307_5 Depth 2
	v_dual_mov_b32 v25, 0 :: v_dual_mov_b32 v24, 0
	v_dual_mov_b32 v23, 0 :: v_dual_mov_b32 v22, 0
	;; [unrolled: 1-line block ×3, first 2 shown]
	s_wait_xcnt 0x6
	v_dual_mov_b32 v19, 0 :: v_dual_mov_b32 v18, 0
	s_wait_xcnt 0x1
	v_dual_mov_b32 v17, 0 :: v_dual_mov_b32 v16, 0
	;; [unrolled: 2-line block ×3, first 2 shown]
	v_dual_mov_b32 v13, 0 :: v_dual_mov_b32 v12, 0
	v_dual_mov_b32 v11, 0 :: v_dual_mov_b32 v10, 0
	s_and_b32 vcc_lo, exec_lo, s0
	s_cbranch_vccnz .LBB307_6
; %bb.4:                                ;   in Loop: Header=BB307_3 Depth=1
	v_mad_nc_u64_u32 v[26:27], s6, s2, v[6:7]
	v_mad_nc_u64_u32 v[28:29], s4, s2, v[2:3]
	v_mov_b32_e32 v10, 0
	s_mov_b64 s[18:19], 0
	s_delay_alu instid0(VALU_DEP_1)
	v_dual_mov_b32 v11, v10 :: v_dual_mov_b32 v12, v10
	v_dual_mov_b32 v13, v10 :: v_dual_mov_b32 v14, v10
	v_mad_u32 v27, s7, s2, v27
	v_mad_u32 v29, s5, s2, v29
	v_dual_mov_b32 v15, v10 :: v_dual_mov_b32 v16, v10
	v_dual_mov_b32 v17, v10 :: v_dual_mov_b32 v18, v10
	;; [unrolled: 1-line block ×5, first 2 shown]
	v_mov_b32_e32 v25, v10
.LBB307_5:                              ;   Parent Loop BB307_3 Depth=1
                                        ; =>  This Inner Loop Header: Depth=2
	global_load_b32 v34, v[28:29], off
	global_load_b32 v35, v[26:27], off
	s_add_nc_u64 s[18:19], s[18:19], 4
	s_wait_xcnt 0x0
	v_add_nc_u64_e32 v[26:27], 16, v[26:27]
	v_cmp_lt_i64_e64 s20, s[18:19], s[28:29]
	v_add_nc_u64_e32 v[28:29], s[12:13], v[28:29]
	s_wait_loadcnt 0x1
	ds_store_b32 v32, v34
	s_wait_loadcnt 0x0
	ds_store_b32 v33, v35
	s_wait_dscnt 0x0
	s_barrier_signal -1
	s_barrier_wait -1
	ds_load_2addr_b32 v[50:51], v30 offset1:16
	ds_load_2addr_b32 v[52:53], v30 offset0:64 offset1:80
	ds_load_2addr_b32 v[54:55], v30 offset0:128 offset1:144
	;; [unrolled: 1-line block ×6, first 2 shown]
	ds_load_b128 v[34:37], v31
	ds_load_b128 v[38:41], v31 offset:256
	ds_load_2addr_b32 v[64:65], v30 offset0:224 offset1:240
	ds_load_b128 v[42:45], v31 offset:512
	ds_load_b128 v[46:49], v31 offset:768
	s_and_b32 vcc_lo, exec_lo, s20
	s_wait_dscnt 0x0
	s_barrier_signal -1
	s_barrier_wait -1
	v_dual_mov_b32 v66, v51 :: v_dual_mov_b32 v67, v50
	v_dual_mov_b32 v50, v53 :: v_dual_mov_b32 v51, v52
	v_dual_mov_b32 v52, v55 :: v_dual_mov_b32 v53, v54
	v_dual_mov_b32 v54, v57 :: v_dual_mov_b32 v55, v56
	v_dual_mov_b32 v56, v59 :: v_dual_mov_b32 v57, v58
	v_dual_mov_b32 v58, v61 :: v_dual_mov_b32 v59, v60
	v_pk_fma_f32 v[24:25], v[66:67], v[34:35], v[24:25] op_sel_hi:[1,0,1]
	v_pk_fma_f32 v[20:21], v[66:67], v[38:39], v[20:21] op_sel_hi:[1,0,1]
	s_delay_alu instid0(VALU_DEP_4)
	v_pk_fma_f32 v[22:23], v[56:57], v[34:35], v[22:23] op_sel_hi:[1,0,1]
	v_pk_fma_f32 v[16:17], v[66:67], v[42:43], v[16:17] op_sel_hi:[1,0,1]
	;; [unrolled: 1-line block ×6, first 2 shown]
	v_dual_mov_b32 v60, v63 :: v_dual_mov_b32 v61, v62
	v_pk_fma_f32 v[24:25], v[50:51], v[34:35], v[24:25] op_sel:[0,1,0]
	v_pk_fma_f32 v[22:23], v[58:59], v[34:35], v[22:23] op_sel:[0,1,0]
	;; [unrolled: 1-line block ×8, first 2 shown]
	v_dual_mov_b32 v62, v37 :: v_dual_mov_b32 v68, v65
	v_dual_mov_b32 v69, v64 :: v_dual_mov_b32 v64, v41
	;; [unrolled: 1-line block ×3, first 2 shown]
	v_pk_fma_f32 v[24:25], v[52:53], v[36:37], v[24:25] op_sel_hi:[1,0,1]
	v_pk_fma_f32 v[22:23], v[60:61], v[36:37], v[22:23] op_sel_hi:[1,0,1]
	;; [unrolled: 1-line block ×16, first 2 shown]
	s_cbranch_vccnz .LBB307_5
.LBB307_6:                              ;   in Loop: Header=BB307_3 Depth=1
	s_mul_u64 s[18:19], s[22:23], s[2:3]
	s_and_not1_b32 vcc_lo, exec_lo, s1
	s_lshl_b64 s[18:19], s[18:19], 2
	s_delay_alu instid0(SALU_CYCLE_1) | instskip(NEXT) | instid1(SALU_CYCLE_1)
	s_add_nc_u64 s[18:19], s[10:11], s[18:19]
	v_lshl_add_u64 v[26:27], v[0:1], 2, s[18:19]
	s_delay_alu instid0(VALU_DEP_1)
	v_add_nc_u64_e32 v[28:29], v[26:27], v[8:9]
	v_add_nc_u64_e32 v[26:27], s[14:15], v[26:27]
	s_cbranch_vccnz .LBB307_8
; %bb.7:                                ;   in Loop: Header=BB307_3 Depth=1
	v_dual_mul_f32 v36, s30, v25 :: v_dual_mul_f32 v37, s30, v24
	s_delay_alu instid0(VALU_DEP_2)
	v_add_nc_u64_e32 v[34:35], s[14:15], v[26:27]
	v_dual_mul_f32 v38, s30, v23 :: v_dual_mul_f32 v39, s30, v22
	s_clause 0x3
	global_store_b32 v[28:29], v36, off
	global_store_b32 v[28:29], v37, off offset:64
	global_store_b32 v[28:29], v38, off offset:128
	;; [unrolled: 1-line block ×3, first 2 shown]
	s_wait_xcnt 0x2
	v_add_nc_u64_e32 v[36:37], v[26:27], v[8:9]
	v_dual_mul_f32 v40, s30, v21 :: v_dual_mul_f32 v41, s30, v20
	s_wait_xcnt 0x0
	v_add_nc_u64_e32 v[38:39], v[34:35], v[8:9]
	v_add_nc_u64_e32 v[34:35], s[14:15], v[34:35]
	v_dual_mul_f32 v42, s30, v19 :: v_dual_mul_f32 v43, s30, v18
	s_clause 0x3
	global_store_b32 v[36:37], v40, off
	global_store_b32 v[36:37], v41, off offset:64
	global_store_b32 v[36:37], v42, off offset:128
	;; [unrolled: 1-line block ×3, first 2 shown]
	s_wait_xcnt 0x0
	v_dual_mul_f32 v36, s30, v17 :: v_dual_mul_f32 v37, s30, v16
	v_dual_mul_f32 v40, s30, v15 :: v_dual_mul_f32 v41, s30, v14
	v_add_nc_u64_e32 v[34:35], v[34:35], v[8:9]
	s_clause 0x3
	global_store_b32 v[38:39], v36, off
	global_store_b32 v[38:39], v37, off offset:64
	global_store_b32 v[38:39], v40, off offset:128
	;; [unrolled: 1-line block ×3, first 2 shown]
	s_wait_xcnt 0x2
	v_dual_mul_f32 v36, s30, v13 :: v_dual_mul_f32 v37, s30, v12
	s_wait_xcnt 0x0
	v_dual_mul_f32 v38, s30, v11 :: v_dual_mul_f32 v39, s30, v10
	s_clause 0x3
	global_store_b32 v[34:35], v36, off
	global_store_b32 v[34:35], v37, off offset:64
	global_store_b32 v[34:35], v38, off offset:128
	;; [unrolled: 1-line block ×3, first 2 shown]
	s_cbranch_execnz .LBB307_2
	s_branch .LBB307_9
.LBB307_8:                              ;   in Loop: Header=BB307_3 Depth=1
.LBB307_9:                              ;   in Loop: Header=BB307_3 Depth=1
	s_mul_u64 s[18:19], s[8:9], s[2:3]
	s_wait_xcnt 0x0
	v_lshl_add_u64 v[34:35], s[18:19], 2, v[4:5]
	s_delay_alu instid0(VALU_DEP_1) | instskip(SKIP_3) | instid1(VALU_DEP_1)
	v_add_nc_u64_e32 v[36:37], v[34:35], v[8:9]
	global_load_b32 v38, v[36:37], off
	s_wait_loadcnt 0x0
	v_mul_f32_e32 v38, s33, v38
	v_fmac_f32_e32 v38, s30, v25
	global_store_b32 v[28:29], v38, off
	global_load_b32 v25, v[36:37], off offset:64
	s_wait_loadcnt 0x0
	v_mul_f32_e32 v25, s33, v25
	s_delay_alu instid0(VALU_DEP_1) | instskip(SKIP_4) | instid1(VALU_DEP_1)
	v_fmac_f32_e32 v25, s30, v24
	global_store_b32 v[28:29], v25, off offset:64
	global_load_b32 v24, v[36:37], off offset:128
	s_wait_loadcnt 0x0
	v_mul_f32_e32 v24, s33, v24
	v_fmac_f32_e32 v24, s30, v23
	global_store_b32 v[28:29], v24, off offset:128
	global_load_b32 v23, v[36:37], off offset:192
	s_wait_xcnt 0x1
	v_add_nc_u64_e32 v[24:25], s[16:17], v[34:35]
	s_delay_alu instid0(VALU_DEP_1) | instskip(SKIP_2) | instid1(VALU_DEP_1)
	v_add_nc_u64_e32 v[34:35], v[24:25], v[8:9]
	s_wait_loadcnt 0x0
	v_mul_f32_e32 v23, s33, v23
	v_fmac_f32_e32 v23, s30, v22
	global_store_b32 v[28:29], v23, off offset:192
	global_load_b32 v22, v[34:35], off
	s_wait_loadcnt 0x0
	s_wait_xcnt 0x1
	v_mul_f32_e32 v28, s33, v22
	v_add_nc_u64_e32 v[22:23], v[26:27], v[8:9]
	s_delay_alu instid0(VALU_DEP_2) | instskip(SKIP_4) | instid1(VALU_DEP_1)
	v_fmac_f32_e32 v28, s30, v21
	global_store_b32 v[22:23], v28, off
	global_load_b32 v21, v[34:35], off offset:64
	s_wait_loadcnt 0x0
	v_mul_f32_e32 v21, s33, v21
	v_fmac_f32_e32 v21, s30, v20
	global_store_b32 v[22:23], v21, off offset:64
	global_load_b32 v20, v[34:35], off offset:128
	s_wait_loadcnt 0x0
	v_mul_f32_e32 v20, s33, v20
	s_delay_alu instid0(VALU_DEP_1) | instskip(SKIP_4) | instid1(VALU_DEP_1)
	v_fmac_f32_e32 v20, s30, v19
	global_store_b32 v[22:23], v20, off offset:128
	global_load_b32 v19, v[34:35], off offset:192
	s_wait_xcnt 0x1
	v_add_nc_u64_e32 v[20:21], s[16:17], v[24:25]
	v_add_nc_u64_e32 v[24:25], v[20:21], v[8:9]
	s_wait_loadcnt 0x0
	v_mul_f32_e32 v19, s33, v19
	s_delay_alu instid0(VALU_DEP_1)
	v_fmac_f32_e32 v19, s30, v18
	global_store_b32 v[22:23], v19, off offset:192
	global_load_b32 v22, v[24:25], off
	v_add_nc_u64_e32 v[18:19], s[14:15], v[26:27]
	s_wait_loadcnt 0x0
	v_mul_f32_e32 v26, s33, v22
	s_delay_alu instid0(VALU_DEP_2) | instskip(NEXT) | instid1(VALU_DEP_2)
	v_add_nc_u64_e32 v[22:23], v[18:19], v[8:9]
	v_fmac_f32_e32 v26, s30, v17
	global_store_b32 v[22:23], v26, off
	global_load_b32 v17, v[24:25], off offset:64
	s_wait_loadcnt 0x0
	v_mul_f32_e32 v17, s33, v17
	s_delay_alu instid0(VALU_DEP_1) | instskip(SKIP_4) | instid1(VALU_DEP_1)
	v_fmac_f32_e32 v17, s30, v16
	global_store_b32 v[22:23], v17, off offset:64
	global_load_b32 v16, v[24:25], off offset:128
	s_wait_loadcnt 0x0
	v_mul_f32_e32 v16, s33, v16
	v_fmac_f32_e32 v16, s30, v15
	global_store_b32 v[22:23], v16, off offset:128
	global_load_b32 v15, v[24:25], off offset:192
	s_wait_xcnt 0x1
	v_add_nc_u64_e32 v[16:17], s[16:17], v[20:21]
	s_delay_alu instid0(VALU_DEP_1) | instskip(SKIP_2) | instid1(VALU_DEP_1)
	v_add_nc_u64_e32 v[16:17], v[16:17], v[8:9]
	s_wait_loadcnt 0x0
	v_mul_f32_e32 v15, s33, v15
	v_fmac_f32_e32 v15, s30, v14
	global_store_b32 v[22:23], v15, off offset:192
	global_load_b32 v20, v[16:17], off
	s_wait_xcnt 0x1
	v_add_nc_u64_e32 v[14:15], s[14:15], v[18:19]
	s_delay_alu instid0(VALU_DEP_1) | instskip(SKIP_2) | instid1(VALU_DEP_1)
	v_add_nc_u64_e32 v[14:15], v[14:15], v[8:9]
	s_wait_loadcnt 0x0
	v_mul_f32_e32 v18, s33, v20
	v_fmac_f32_e32 v18, s30, v13
	global_store_b32 v[14:15], v18, off
	global_load_b32 v13, v[16:17], off offset:64
	s_wait_loadcnt 0x0
	v_mul_f32_e32 v13, s33, v13
	s_delay_alu instid0(VALU_DEP_1) | instskip(SKIP_4) | instid1(VALU_DEP_1)
	v_fmac_f32_e32 v13, s30, v12
	global_store_b32 v[14:15], v13, off offset:64
	global_load_b32 v12, v[16:17], off offset:128
	s_wait_loadcnt 0x0
	v_mul_f32_e32 v12, s33, v12
	v_fmac_f32_e32 v12, s30, v11
	global_store_b32 v[14:15], v12, off offset:128
	global_load_b32 v11, v[16:17], off offset:192
	s_wait_loadcnt 0x0
	v_mul_f32_e32 v11, s33, v11
	s_delay_alu instid0(VALU_DEP_1)
	v_fmac_f32_e32 v11, s30, v10
	global_store_b32 v[14:15], v11, off offset:192
	s_branch .LBB307_2
.LBB307_10:
	s_sendmsg sendmsg(MSG_DEALLOC_VGPRS)
	s_endpgm
	.section	.rodata,"a",@progbits
	.p2align	6, 0x0
	.amdhsa_kernel _ZN12_GLOBAL__N_127rocblas_gemm_batched_kernelIfLi16ELi16ELi64ELi64ELi4ELi64ELi4ELi4ELi64ELc78ELc78EKfS1_fEEvlllT_PT11_llS4_llS2_PT12_llPT13_lli
		.amdhsa_group_segment_fixed_size 2048
		.amdhsa_private_segment_fixed_size 0
		.amdhsa_kernarg_size 140
		.amdhsa_user_sgpr_count 2
		.amdhsa_user_sgpr_dispatch_ptr 0
		.amdhsa_user_sgpr_queue_ptr 0
		.amdhsa_user_sgpr_kernarg_segment_ptr 1
		.amdhsa_user_sgpr_dispatch_id 0
		.amdhsa_user_sgpr_kernarg_preload_length 0
		.amdhsa_user_sgpr_kernarg_preload_offset 0
		.amdhsa_user_sgpr_private_segment_size 0
		.amdhsa_wavefront_size32 1
		.amdhsa_uses_dynamic_stack 0
		.amdhsa_enable_private_segment 0
		.amdhsa_system_sgpr_workgroup_id_x 1
		.amdhsa_system_sgpr_workgroup_id_y 1
		.amdhsa_system_sgpr_workgroup_id_z 1
		.amdhsa_system_sgpr_workgroup_info 0
		.amdhsa_system_vgpr_workitem_id 1
		.amdhsa_next_free_vgpr 74
		.amdhsa_next_free_sgpr 36
		.amdhsa_named_barrier_count 0
		.amdhsa_reserve_vcc 1
		.amdhsa_float_round_mode_32 0
		.amdhsa_float_round_mode_16_64 0
		.amdhsa_float_denorm_mode_32 3
		.amdhsa_float_denorm_mode_16_64 3
		.amdhsa_fp16_overflow 0
		.amdhsa_memory_ordered 1
		.amdhsa_forward_progress 1
		.amdhsa_inst_pref_size 19
		.amdhsa_round_robin_scheduling 0
		.amdhsa_exception_fp_ieee_invalid_op 0
		.amdhsa_exception_fp_denorm_src 0
		.amdhsa_exception_fp_ieee_div_zero 0
		.amdhsa_exception_fp_ieee_overflow 0
		.amdhsa_exception_fp_ieee_underflow 0
		.amdhsa_exception_fp_ieee_inexact 0
		.amdhsa_exception_int_div_zero 0
	.end_amdhsa_kernel
	.section	.text._ZN12_GLOBAL__N_127rocblas_gemm_batched_kernelIfLi16ELi16ELi64ELi64ELi4ELi64ELi4ELi4ELi64ELc78ELc78EKfS1_fEEvlllT_PT11_llS4_llS2_PT12_llPT13_lli,"axG",@progbits,_ZN12_GLOBAL__N_127rocblas_gemm_batched_kernelIfLi16ELi16ELi64ELi64ELi4ELi64ELi4ELi4ELi64ELc78ELc78EKfS1_fEEvlllT_PT11_llS4_llS2_PT12_llPT13_lli,comdat
.Lfunc_end307:
	.size	_ZN12_GLOBAL__N_127rocblas_gemm_batched_kernelIfLi16ELi16ELi64ELi64ELi4ELi64ELi4ELi4ELi64ELc78ELc78EKfS1_fEEvlllT_PT11_llS4_llS2_PT12_llPT13_lli, .Lfunc_end307-_ZN12_GLOBAL__N_127rocblas_gemm_batched_kernelIfLi16ELi16ELi64ELi64ELi4ELi64ELi4ELi4ELi64ELc78ELc78EKfS1_fEEvlllT_PT11_llS4_llS2_PT12_llPT13_lli
                                        ; -- End function
	.set _ZN12_GLOBAL__N_127rocblas_gemm_batched_kernelIfLi16ELi16ELi64ELi64ELi4ELi64ELi4ELi4ELi64ELc78ELc78EKfS1_fEEvlllT_PT11_llS4_llS2_PT12_llPT13_lli.num_vgpr, 74
	.set _ZN12_GLOBAL__N_127rocblas_gemm_batched_kernelIfLi16ELi16ELi64ELi64ELi4ELi64ELi4ELi4ELi64ELc78ELc78EKfS1_fEEvlllT_PT11_llS4_llS2_PT12_llPT13_lli.num_agpr, 0
	.set _ZN12_GLOBAL__N_127rocblas_gemm_batched_kernelIfLi16ELi16ELi64ELi64ELi4ELi64ELi4ELi4ELi64ELc78ELc78EKfS1_fEEvlllT_PT11_llS4_llS2_PT12_llPT13_lli.numbered_sgpr, 36
	.set _ZN12_GLOBAL__N_127rocblas_gemm_batched_kernelIfLi16ELi16ELi64ELi64ELi4ELi64ELi4ELi4ELi64ELc78ELc78EKfS1_fEEvlllT_PT11_llS4_llS2_PT12_llPT13_lli.num_named_barrier, 0
	.set _ZN12_GLOBAL__N_127rocblas_gemm_batched_kernelIfLi16ELi16ELi64ELi64ELi4ELi64ELi4ELi4ELi64ELc78ELc78EKfS1_fEEvlllT_PT11_llS4_llS2_PT12_llPT13_lli.private_seg_size, 0
	.set _ZN12_GLOBAL__N_127rocblas_gemm_batched_kernelIfLi16ELi16ELi64ELi64ELi4ELi64ELi4ELi4ELi64ELc78ELc78EKfS1_fEEvlllT_PT11_llS4_llS2_PT12_llPT13_lli.uses_vcc, 1
	.set _ZN12_GLOBAL__N_127rocblas_gemm_batched_kernelIfLi16ELi16ELi64ELi64ELi4ELi64ELi4ELi4ELi64ELc78ELc78EKfS1_fEEvlllT_PT11_llS4_llS2_PT12_llPT13_lli.uses_flat_scratch, 0
	.set _ZN12_GLOBAL__N_127rocblas_gemm_batched_kernelIfLi16ELi16ELi64ELi64ELi4ELi64ELi4ELi4ELi64ELc78ELc78EKfS1_fEEvlllT_PT11_llS4_llS2_PT12_llPT13_lli.has_dyn_sized_stack, 0
	.set _ZN12_GLOBAL__N_127rocblas_gemm_batched_kernelIfLi16ELi16ELi64ELi64ELi4ELi64ELi4ELi4ELi64ELc78ELc78EKfS1_fEEvlllT_PT11_llS4_llS2_PT12_llPT13_lli.has_recursion, 0
	.set _ZN12_GLOBAL__N_127rocblas_gemm_batched_kernelIfLi16ELi16ELi64ELi64ELi4ELi64ELi4ELi4ELi64ELc78ELc78EKfS1_fEEvlllT_PT11_llS4_llS2_PT12_llPT13_lli.has_indirect_call, 0
	.section	.AMDGPU.csdata,"",@progbits
; Kernel info:
; codeLenInByte = 2332
; TotalNumSgprs: 38
; NumVgprs: 74
; ScratchSize: 0
; MemoryBound: 0
; FloatMode: 240
; IeeeMode: 1
; LDSByteSize: 2048 bytes/workgroup (compile time only)
; SGPRBlocks: 0
; VGPRBlocks: 4
; NumSGPRsForWavesPerEU: 38
; NumVGPRsForWavesPerEU: 74
; NamedBarCnt: 0
; Occupancy: 12
; WaveLimiterHint : 0
; COMPUTE_PGM_RSRC2:SCRATCH_EN: 0
; COMPUTE_PGM_RSRC2:USER_SGPR: 2
; COMPUTE_PGM_RSRC2:TRAP_HANDLER: 0
; COMPUTE_PGM_RSRC2:TGID_X_EN: 1
; COMPUTE_PGM_RSRC2:TGID_Y_EN: 1
; COMPUTE_PGM_RSRC2:TGID_Z_EN: 1
; COMPUTE_PGM_RSRC2:TIDIG_COMP_CNT: 1
	.section	.text._ZN12_GLOBAL__N_127rocblas_gemm_batched_kernelIfLi16ELi16ELi64ELi64ELi4ELi64ELi4ELi4ELi64ELc84ELc78EKfS1_fEEvlllT_PT11_llS4_llS2_PT12_llPT13_lli,"axG",@progbits,_ZN12_GLOBAL__N_127rocblas_gemm_batched_kernelIfLi16ELi16ELi64ELi64ELi4ELi64ELi4ELi4ELi64ELc84ELc78EKfS1_fEEvlllT_PT11_llS4_llS2_PT12_llPT13_lli,comdat
	.globl	_ZN12_GLOBAL__N_127rocblas_gemm_batched_kernelIfLi16ELi16ELi64ELi64ELi4ELi64ELi4ELi4ELi64ELc84ELc78EKfS1_fEEvlllT_PT11_llS4_llS2_PT12_llPT13_lli ; -- Begin function _ZN12_GLOBAL__N_127rocblas_gemm_batched_kernelIfLi16ELi16ELi64ELi64ELi4ELi64ELi4ELi4ELi64ELc84ELc78EKfS1_fEEvlllT_PT11_llS4_llS2_PT12_llPT13_lli
	.p2align	8
	.type	_ZN12_GLOBAL__N_127rocblas_gemm_batched_kernelIfLi16ELi16ELi64ELi64ELi4ELi64ELi4ELi4ELi64ELc84ELc78EKfS1_fEEvlllT_PT11_llS4_llS2_PT12_llPT13_lli,@function
_ZN12_GLOBAL__N_127rocblas_gemm_batched_kernelIfLi16ELi16ELi64ELi64ELi4ELi64ELi4ELi4ELi64ELc84ELc78EKfS1_fEEvlllT_PT11_llS4_llS2_PT12_llPT13_lli: ; @_ZN12_GLOBAL__N_127rocblas_gemm_batched_kernelIfLi16ELi16ELi64ELi64ELi4ELi64ELi4ELi4ELi64ELc84ELc78EKfS1_fEEvlllT_PT11_llS4_llS2_PT12_llPT13_lli
; %bb.0:
	s_load_b32 s31, s[0:1], 0x88
	s_bfe_u32 s2, ttmp6, 0x40014
	s_lshr_b32 s3, ttmp7, 16
	s_add_co_i32 s2, s2, 1
	s_bfe_u32 s4, ttmp6, 0x40008
	s_mul_i32 s2, s3, s2
	s_getreg_b32 s28, hwreg(HW_REG_IB_STS2, 6, 4)
	s_add_co_i32 s4, s4, s2
	s_cmp_eq_u32 s28, 0
	s_cselect_b32 s2, s3, s4
	s_mov_b32 s3, 0
	s_wait_kmcnt 0x0
	s_cmp_ge_i32 s2, s31
	s_cbranch_scc1 .LBB308_10
; %bb.1:
	v_bfe_u32 v2, v0, 10, 10
	v_and_b32_e32 v4, 0x3ff, v0
	s_clause 0x1
	s_load_b256 s[12:19], s[0:1], 0x20
	s_load_b128 s[24:27], s[0:1], 0x40
	s_bfe_u32 s30, ttmp6, 0x4000c
	s_bfe_u32 s34, ttmp6, 0x40010
	v_dual_mov_b32 v3, 0 :: v_dual_lshlrev_b32 v16, 4, v2
	s_and_b32 s33, ttmp7, 0xffff
	s_add_co_i32 s30, s30, 1
	s_add_co_i32 s34, s34, 1
	s_delay_alu instid0(VALU_DEP_1)
	v_dual_add_nc_u32 v17, v16, v4 :: v_dual_mov_b32 v7, v3
	s_and_b32 s29, ttmp6, 15
	s_mul_i32 s30, ttmp9, s30
	s_mul_i32 s34, s33, s34
	s_bfe_u32 s35, ttmp6, 0x40004
	s_add_co_i32 s29, s29, s30
	s_add_co_i32 s35, s35, s34
	s_clause 0x1
	s_load_b128 s[20:23], s[0:1], 0x78
	s_load_b256 s[4:11], s[0:1], 0x58
	s_cmp_eq_u32 s28, 0
	v_dual_lshrrev_b32 v6, 2, v17 :: v_dual_bitop2_b32 v18, 63, v17 bitop3:0x40
	s_cselect_b32 s28, ttmp9, s29
	s_cselect_b32 s30, s33, s35
	s_ashr_i32 s29, s28, 31
	s_lshl_b32 s34, s30, 6
	s_mov_b32 s35, s3
	s_lshl_b64 s[36:37], s[28:29], 6
	v_add_nc_u64_e32 v[8:9], s[34:35], v[6:7]
	v_dual_mov_b32 v11, s37 :: v_dual_bitop2_b32 v10, s36, v18 bitop3:0x54
	v_add_nc_u64_e32 v[12:13], s[34:35], v[2:3]
	s_clause 0x1
	s_load_b32 s33, s[0:1], 0x50
	s_load_b96 s[28:30], s[0:1], 0x10
	v_dual_mov_b32 v5, v3 :: v_dual_lshlrev_b32 v2, 2, v0
	s_wait_kmcnt 0x0
	v_mul_u64_e32 v[10:11], s[14:15], v[10:11]
	v_mul_u64_e32 v[8:9], s[24:25], v[8:9]
	;; [unrolled: 1-line block ×4, first 2 shown]
	v_dual_mov_b32 v13, v3 :: v_dual_lshrrev_b32 v19, 6, v17
	v_dual_lshlrev_b32 v30, 2, v4 :: v_dual_bitop2_b32 v12, 12, v2 bitop3:0x40
	v_lshlrev_b32_e32 v18, 2, v18
	v_add_nc_u32_e32 v31, 0x400, v16
	s_delay_alu instid0(VALU_DEP_4)
	v_lshlrev_b32_e32 v2, 2, v19
	v_add_nc_u64_e32 v[16:17], s[36:37], v[4:5]
	v_lshl_or_b32 v20, v6, 4, v12
	v_lshl_or_b32 v32, v19, 8, v18
	s_cmp_eq_f32 s33, 0
	v_cmp_gt_i64_e64 s0, s[28:29], 0
	s_delay_alu instid0(VALU_DEP_3)
	v_add_nc_u32_e32 v33, 0x400, v20
	s_cselect_b32 s1, -1, 0
	s_lshl_b64 s[14:15], s[20:21], 4
	s_lshl_b64 s[20:21], s[6:7], 4
	;; [unrolled: 1-line block ×3, first 2 shown]
	v_cndmask_b32_e64 v21, 0, 1, s0
	s_delay_alu instid0(VALU_DEP_1)
	v_cmp_ne_u32_e64 s0, 1, v21
	v_lshl_add_u64 v[4:5], v[10:11], 2, v[2:3]
	v_lshl_add_u64 v[6:7], v[8:9], 2, v[12:13]
	v_lshlrev_b64_e32 v[8:9], 2, v[16:17]
	v_lshl_add_u64 v[2:3], v[14:15], 2, s[4:5]
	s_lshl_b64 s[4:5], s[26:27], 2
	v_add_nc_u64_e32 v[4:5], s[12:13], v[4:5]
	v_add_nc_u64_e32 v[6:7], s[18:19], v[6:7]
	s_lshl_b64 s[12:13], s[14:15], 2
	s_lshl_b64 s[14:15], s[20:21], 2
	s_branch .LBB308_3
.LBB308_2:                              ;   in Loop: Header=BB308_3 Depth=1
	s_add_co_i32 s2, s2, 0x10000
	s_delay_alu instid0(SALU_CYCLE_1)
	s_cmp_lt_i32 s2, s31
	s_cbranch_scc0 .LBB308_10
.LBB308_3:                              ; =>This Loop Header: Depth=1
                                        ;     Child Loop BB308_5 Depth 2
	v_dual_mov_b32 v25, 0 :: v_dual_mov_b32 v24, 0
	v_dual_mov_b32 v23, 0 :: v_dual_mov_b32 v22, 0
	;; [unrolled: 1-line block ×3, first 2 shown]
	s_wait_xcnt 0x6
	v_dual_mov_b32 v19, 0 :: v_dual_mov_b32 v18, 0
	s_wait_xcnt 0x1
	v_dual_mov_b32 v17, 0 :: v_dual_mov_b32 v16, 0
	;; [unrolled: 2-line block ×3, first 2 shown]
	v_dual_mov_b32 v13, 0 :: v_dual_mov_b32 v12, 0
	v_dual_mov_b32 v11, 0 :: v_dual_mov_b32 v10, 0
	s_and_b32 vcc_lo, exec_lo, s0
	s_cbranch_vccnz .LBB308_6
; %bb.4:                                ;   in Loop: Header=BB308_3 Depth=1
	v_mad_nc_u64_u32 v[26:27], s4, s2, v[6:7]
	v_mad_nc_u64_u32 v[28:29], s6, s2, v[4:5]
	v_mov_b32_e32 v10, 0
	s_mov_b64 s[16:17], 0
	s_delay_alu instid0(VALU_DEP_1)
	v_dual_mov_b32 v11, v10 :: v_dual_mov_b32 v12, v10
	v_dual_mov_b32 v13, v10 :: v_dual_mov_b32 v14, v10
	v_mad_u32 v27, s5, s2, v27
	v_mad_u32 v29, s7, s2, v29
	v_dual_mov_b32 v15, v10 :: v_dual_mov_b32 v16, v10
	v_dual_mov_b32 v17, v10 :: v_dual_mov_b32 v18, v10
	;; [unrolled: 1-line block ×5, first 2 shown]
	v_mov_b32_e32 v25, v10
.LBB308_5:                              ;   Parent Loop BB308_3 Depth=1
                                        ; =>  This Inner Loop Header: Depth=2
	global_load_b32 v34, v[28:29], off
	global_load_b32 v35, v[26:27], off
	s_add_nc_u64 s[16:17], s[16:17], 4
	s_wait_xcnt 0x0
	v_add_nc_u64_e32 v[26:27], 16, v[26:27]
	v_cmp_lt_i64_e64 s18, s[16:17], s[28:29]
	v_add_nc_u64_e32 v[28:29], 16, v[28:29]
	s_wait_loadcnt 0x1
	ds_store_b32 v32, v34
	s_wait_loadcnt 0x0
	ds_store_b32 v33, v35
	s_wait_dscnt 0x0
	s_barrier_signal -1
	s_barrier_wait -1
	ds_load_2addr_b32 v[50:51], v30 offset1:16
	ds_load_2addr_b32 v[52:53], v30 offset0:64 offset1:80
	ds_load_2addr_b32 v[54:55], v30 offset0:128 offset1:144
	;; [unrolled: 1-line block ×6, first 2 shown]
	ds_load_b128 v[34:37], v31
	ds_load_b128 v[38:41], v31 offset:256
	ds_load_2addr_b32 v[64:65], v30 offset0:224 offset1:240
	ds_load_b128 v[42:45], v31 offset:512
	ds_load_b128 v[46:49], v31 offset:768
	s_and_b32 vcc_lo, exec_lo, s18
	s_wait_dscnt 0x0
	s_barrier_signal -1
	s_barrier_wait -1
	v_dual_mov_b32 v66, v51 :: v_dual_mov_b32 v67, v50
	v_dual_mov_b32 v50, v53 :: v_dual_mov_b32 v51, v52
	;; [unrolled: 1-line block ×6, first 2 shown]
	v_pk_fma_f32 v[24:25], v[66:67], v[34:35], v[24:25] op_sel_hi:[1,0,1]
	v_pk_fma_f32 v[20:21], v[66:67], v[38:39], v[20:21] op_sel_hi:[1,0,1]
	s_delay_alu instid0(VALU_DEP_4)
	v_pk_fma_f32 v[22:23], v[56:57], v[34:35], v[22:23] op_sel_hi:[1,0,1]
	v_pk_fma_f32 v[16:17], v[66:67], v[42:43], v[16:17] op_sel_hi:[1,0,1]
	v_pk_fma_f32 v[12:13], v[66:67], v[46:47], v[12:13] op_sel_hi:[1,0,1]
	v_pk_fma_f32 v[18:19], v[56:57], v[38:39], v[18:19] op_sel_hi:[1,0,1]
	v_pk_fma_f32 v[14:15], v[56:57], v[42:43], v[14:15] op_sel_hi:[1,0,1]
	v_pk_fma_f32 v[10:11], v[56:57], v[46:47], v[10:11] op_sel_hi:[1,0,1]
	v_dual_mov_b32 v60, v63 :: v_dual_mov_b32 v61, v62
	v_pk_fma_f32 v[24:25], v[50:51], v[34:35], v[24:25] op_sel:[0,1,0]
	v_pk_fma_f32 v[22:23], v[58:59], v[34:35], v[22:23] op_sel:[0,1,0]
	;; [unrolled: 1-line block ×8, first 2 shown]
	v_dual_mov_b32 v62, v37 :: v_dual_mov_b32 v68, v65
	v_dual_mov_b32 v69, v64 :: v_dual_mov_b32 v64, v41
	;; [unrolled: 1-line block ×3, first 2 shown]
	v_pk_fma_f32 v[24:25], v[52:53], v[36:37], v[24:25] op_sel_hi:[1,0,1]
	v_pk_fma_f32 v[22:23], v[60:61], v[36:37], v[22:23] op_sel_hi:[1,0,1]
	;; [unrolled: 1-line block ×16, first 2 shown]
	s_cbranch_vccnz .LBB308_5
.LBB308_6:                              ;   in Loop: Header=BB308_3 Depth=1
	s_mul_u64 s[16:17], s[22:23], s[2:3]
	s_and_not1_b32 vcc_lo, exec_lo, s1
	s_lshl_b64 s[16:17], s[16:17], 2
	s_delay_alu instid0(SALU_CYCLE_1) | instskip(NEXT) | instid1(SALU_CYCLE_1)
	s_add_nc_u64 s[16:17], s[10:11], s[16:17]
	v_lshl_add_u64 v[26:27], v[0:1], 2, s[16:17]
	s_delay_alu instid0(VALU_DEP_1)
	v_add_nc_u64_e32 v[28:29], v[26:27], v[8:9]
	v_add_nc_u64_e32 v[26:27], s[12:13], v[26:27]
	s_cbranch_vccnz .LBB308_8
; %bb.7:                                ;   in Loop: Header=BB308_3 Depth=1
	v_dual_mul_f32 v36, s30, v25 :: v_dual_mul_f32 v37, s30, v24
	s_delay_alu instid0(VALU_DEP_2)
	v_add_nc_u64_e32 v[34:35], s[12:13], v[26:27]
	v_dual_mul_f32 v38, s30, v23 :: v_dual_mul_f32 v39, s30, v22
	s_clause 0x3
	global_store_b32 v[28:29], v36, off
	global_store_b32 v[28:29], v37, off offset:64
	global_store_b32 v[28:29], v38, off offset:128
	;; [unrolled: 1-line block ×3, first 2 shown]
	s_wait_xcnt 0x2
	v_add_nc_u64_e32 v[36:37], v[26:27], v[8:9]
	v_dual_mul_f32 v40, s30, v21 :: v_dual_mul_f32 v41, s30, v20
	s_wait_xcnt 0x0
	v_add_nc_u64_e32 v[38:39], v[34:35], v[8:9]
	v_add_nc_u64_e32 v[34:35], s[12:13], v[34:35]
	v_dual_mul_f32 v42, s30, v19 :: v_dual_mul_f32 v43, s30, v18
	s_clause 0x3
	global_store_b32 v[36:37], v40, off
	global_store_b32 v[36:37], v41, off offset:64
	global_store_b32 v[36:37], v42, off offset:128
	;; [unrolled: 1-line block ×3, first 2 shown]
	s_wait_xcnt 0x0
	v_dual_mul_f32 v36, s30, v17 :: v_dual_mul_f32 v37, s30, v16
	v_dual_mul_f32 v40, s30, v15 :: v_dual_mul_f32 v41, s30, v14
	v_add_nc_u64_e32 v[34:35], v[34:35], v[8:9]
	s_clause 0x3
	global_store_b32 v[38:39], v36, off
	global_store_b32 v[38:39], v37, off offset:64
	global_store_b32 v[38:39], v40, off offset:128
	;; [unrolled: 1-line block ×3, first 2 shown]
	s_wait_xcnt 0x2
	v_dual_mul_f32 v36, s30, v13 :: v_dual_mul_f32 v37, s30, v12
	s_wait_xcnt 0x0
	v_dual_mul_f32 v38, s30, v11 :: v_dual_mul_f32 v39, s30, v10
	s_clause 0x3
	global_store_b32 v[34:35], v36, off
	global_store_b32 v[34:35], v37, off offset:64
	global_store_b32 v[34:35], v38, off offset:128
	global_store_b32 v[34:35], v39, off offset:192
	s_cbranch_execnz .LBB308_2
	s_branch .LBB308_9
.LBB308_8:                              ;   in Loop: Header=BB308_3 Depth=1
.LBB308_9:                              ;   in Loop: Header=BB308_3 Depth=1
	s_mul_u64 s[16:17], s[8:9], s[2:3]
	s_wait_xcnt 0x0
	v_lshl_add_u64 v[34:35], s[16:17], 2, v[2:3]
	s_delay_alu instid0(VALU_DEP_1) | instskip(SKIP_3) | instid1(VALU_DEP_1)
	v_add_nc_u64_e32 v[36:37], v[34:35], v[8:9]
	global_load_b32 v38, v[36:37], off
	s_wait_loadcnt 0x0
	v_mul_f32_e32 v38, s33, v38
	v_fmac_f32_e32 v38, s30, v25
	global_store_b32 v[28:29], v38, off
	global_load_b32 v25, v[36:37], off offset:64
	s_wait_loadcnt 0x0
	v_mul_f32_e32 v25, s33, v25
	s_delay_alu instid0(VALU_DEP_1) | instskip(SKIP_4) | instid1(VALU_DEP_1)
	v_fmac_f32_e32 v25, s30, v24
	global_store_b32 v[28:29], v25, off offset:64
	global_load_b32 v24, v[36:37], off offset:128
	s_wait_loadcnt 0x0
	v_mul_f32_e32 v24, s33, v24
	v_fmac_f32_e32 v24, s30, v23
	global_store_b32 v[28:29], v24, off offset:128
	global_load_b32 v23, v[36:37], off offset:192
	s_wait_xcnt 0x1
	v_add_nc_u64_e32 v[24:25], s[14:15], v[34:35]
	s_delay_alu instid0(VALU_DEP_1) | instskip(SKIP_2) | instid1(VALU_DEP_1)
	v_add_nc_u64_e32 v[34:35], v[24:25], v[8:9]
	s_wait_loadcnt 0x0
	v_mul_f32_e32 v23, s33, v23
	v_fmac_f32_e32 v23, s30, v22
	global_store_b32 v[28:29], v23, off offset:192
	global_load_b32 v22, v[34:35], off
	s_wait_loadcnt 0x0
	s_wait_xcnt 0x1
	v_mul_f32_e32 v28, s33, v22
	v_add_nc_u64_e32 v[22:23], v[26:27], v[8:9]
	s_delay_alu instid0(VALU_DEP_2) | instskip(SKIP_4) | instid1(VALU_DEP_1)
	v_fmac_f32_e32 v28, s30, v21
	global_store_b32 v[22:23], v28, off
	global_load_b32 v21, v[34:35], off offset:64
	s_wait_loadcnt 0x0
	v_mul_f32_e32 v21, s33, v21
	v_fmac_f32_e32 v21, s30, v20
	global_store_b32 v[22:23], v21, off offset:64
	global_load_b32 v20, v[34:35], off offset:128
	s_wait_loadcnt 0x0
	v_mul_f32_e32 v20, s33, v20
	s_delay_alu instid0(VALU_DEP_1) | instskip(SKIP_4) | instid1(VALU_DEP_1)
	v_fmac_f32_e32 v20, s30, v19
	global_store_b32 v[22:23], v20, off offset:128
	global_load_b32 v19, v[34:35], off offset:192
	s_wait_xcnt 0x1
	v_add_nc_u64_e32 v[20:21], s[14:15], v[24:25]
	v_add_nc_u64_e32 v[24:25], v[20:21], v[8:9]
	s_wait_loadcnt 0x0
	v_mul_f32_e32 v19, s33, v19
	s_delay_alu instid0(VALU_DEP_1)
	v_fmac_f32_e32 v19, s30, v18
	global_store_b32 v[22:23], v19, off offset:192
	global_load_b32 v22, v[24:25], off
	v_add_nc_u64_e32 v[18:19], s[12:13], v[26:27]
	s_wait_loadcnt 0x0
	v_mul_f32_e32 v26, s33, v22
	s_delay_alu instid0(VALU_DEP_2) | instskip(NEXT) | instid1(VALU_DEP_2)
	v_add_nc_u64_e32 v[22:23], v[18:19], v[8:9]
	v_fmac_f32_e32 v26, s30, v17
	global_store_b32 v[22:23], v26, off
	global_load_b32 v17, v[24:25], off offset:64
	s_wait_loadcnt 0x0
	v_mul_f32_e32 v17, s33, v17
	s_delay_alu instid0(VALU_DEP_1) | instskip(SKIP_4) | instid1(VALU_DEP_1)
	v_fmac_f32_e32 v17, s30, v16
	global_store_b32 v[22:23], v17, off offset:64
	global_load_b32 v16, v[24:25], off offset:128
	s_wait_loadcnt 0x0
	v_mul_f32_e32 v16, s33, v16
	v_fmac_f32_e32 v16, s30, v15
	global_store_b32 v[22:23], v16, off offset:128
	global_load_b32 v15, v[24:25], off offset:192
	s_wait_xcnt 0x1
	v_add_nc_u64_e32 v[16:17], s[14:15], v[20:21]
	s_delay_alu instid0(VALU_DEP_1) | instskip(SKIP_2) | instid1(VALU_DEP_1)
	v_add_nc_u64_e32 v[16:17], v[16:17], v[8:9]
	s_wait_loadcnt 0x0
	v_mul_f32_e32 v15, s33, v15
	v_fmac_f32_e32 v15, s30, v14
	global_store_b32 v[22:23], v15, off offset:192
	global_load_b32 v20, v[16:17], off
	s_wait_xcnt 0x1
	v_add_nc_u64_e32 v[14:15], s[12:13], v[18:19]
	s_delay_alu instid0(VALU_DEP_1) | instskip(SKIP_2) | instid1(VALU_DEP_1)
	v_add_nc_u64_e32 v[14:15], v[14:15], v[8:9]
	s_wait_loadcnt 0x0
	v_mul_f32_e32 v18, s33, v20
	v_fmac_f32_e32 v18, s30, v13
	global_store_b32 v[14:15], v18, off
	global_load_b32 v13, v[16:17], off offset:64
	s_wait_loadcnt 0x0
	v_mul_f32_e32 v13, s33, v13
	s_delay_alu instid0(VALU_DEP_1) | instskip(SKIP_4) | instid1(VALU_DEP_1)
	v_fmac_f32_e32 v13, s30, v12
	global_store_b32 v[14:15], v13, off offset:64
	global_load_b32 v12, v[16:17], off offset:128
	s_wait_loadcnt 0x0
	v_mul_f32_e32 v12, s33, v12
	v_fmac_f32_e32 v12, s30, v11
	global_store_b32 v[14:15], v12, off offset:128
	global_load_b32 v11, v[16:17], off offset:192
	s_wait_loadcnt 0x0
	v_mul_f32_e32 v11, s33, v11
	s_delay_alu instid0(VALU_DEP_1)
	v_fmac_f32_e32 v11, s30, v10
	global_store_b32 v[14:15], v11, off offset:192
	s_branch .LBB308_2
.LBB308_10:
	s_sendmsg sendmsg(MSG_DEALLOC_VGPRS)
	s_endpgm
	.section	.rodata,"a",@progbits
	.p2align	6, 0x0
	.amdhsa_kernel _ZN12_GLOBAL__N_127rocblas_gemm_batched_kernelIfLi16ELi16ELi64ELi64ELi4ELi64ELi4ELi4ELi64ELc84ELc78EKfS1_fEEvlllT_PT11_llS4_llS2_PT12_llPT13_lli
		.amdhsa_group_segment_fixed_size 2048
		.amdhsa_private_segment_fixed_size 0
		.amdhsa_kernarg_size 140
		.amdhsa_user_sgpr_count 2
		.amdhsa_user_sgpr_dispatch_ptr 0
		.amdhsa_user_sgpr_queue_ptr 0
		.amdhsa_user_sgpr_kernarg_segment_ptr 1
		.amdhsa_user_sgpr_dispatch_id 0
		.amdhsa_user_sgpr_kernarg_preload_length 0
		.amdhsa_user_sgpr_kernarg_preload_offset 0
		.amdhsa_user_sgpr_private_segment_size 0
		.amdhsa_wavefront_size32 1
		.amdhsa_uses_dynamic_stack 0
		.amdhsa_enable_private_segment 0
		.amdhsa_system_sgpr_workgroup_id_x 1
		.amdhsa_system_sgpr_workgroup_id_y 1
		.amdhsa_system_sgpr_workgroup_id_z 1
		.amdhsa_system_sgpr_workgroup_info 0
		.amdhsa_system_vgpr_workitem_id 1
		.amdhsa_next_free_vgpr 74
		.amdhsa_next_free_sgpr 38
		.amdhsa_named_barrier_count 0
		.amdhsa_reserve_vcc 1
		.amdhsa_float_round_mode_32 0
		.amdhsa_float_round_mode_16_64 0
		.amdhsa_float_denorm_mode_32 3
		.amdhsa_float_denorm_mode_16_64 3
		.amdhsa_fp16_overflow 0
		.amdhsa_memory_ordered 1
		.amdhsa_forward_progress 1
		.amdhsa_inst_pref_size 19
		.amdhsa_round_robin_scheduling 0
		.amdhsa_exception_fp_ieee_invalid_op 0
		.amdhsa_exception_fp_denorm_src 0
		.amdhsa_exception_fp_ieee_div_zero 0
		.amdhsa_exception_fp_ieee_overflow 0
		.amdhsa_exception_fp_ieee_underflow 0
		.amdhsa_exception_fp_ieee_inexact 0
		.amdhsa_exception_int_div_zero 0
	.end_amdhsa_kernel
	.section	.text._ZN12_GLOBAL__N_127rocblas_gemm_batched_kernelIfLi16ELi16ELi64ELi64ELi4ELi64ELi4ELi4ELi64ELc84ELc78EKfS1_fEEvlllT_PT11_llS4_llS2_PT12_llPT13_lli,"axG",@progbits,_ZN12_GLOBAL__N_127rocblas_gemm_batched_kernelIfLi16ELi16ELi64ELi64ELi4ELi64ELi4ELi4ELi64ELc84ELc78EKfS1_fEEvlllT_PT11_llS4_llS2_PT12_llPT13_lli,comdat
.Lfunc_end308:
	.size	_ZN12_GLOBAL__N_127rocblas_gemm_batched_kernelIfLi16ELi16ELi64ELi64ELi4ELi64ELi4ELi4ELi64ELc84ELc78EKfS1_fEEvlllT_PT11_llS4_llS2_PT12_llPT13_lli, .Lfunc_end308-_ZN12_GLOBAL__N_127rocblas_gemm_batched_kernelIfLi16ELi16ELi64ELi64ELi4ELi64ELi4ELi4ELi64ELc84ELc78EKfS1_fEEvlllT_PT11_llS4_llS2_PT12_llPT13_lli
                                        ; -- End function
	.set _ZN12_GLOBAL__N_127rocblas_gemm_batched_kernelIfLi16ELi16ELi64ELi64ELi4ELi64ELi4ELi4ELi64ELc84ELc78EKfS1_fEEvlllT_PT11_llS4_llS2_PT12_llPT13_lli.num_vgpr, 74
	.set _ZN12_GLOBAL__N_127rocblas_gemm_batched_kernelIfLi16ELi16ELi64ELi64ELi4ELi64ELi4ELi4ELi64ELc84ELc78EKfS1_fEEvlllT_PT11_llS4_llS2_PT12_llPT13_lli.num_agpr, 0
	.set _ZN12_GLOBAL__N_127rocblas_gemm_batched_kernelIfLi16ELi16ELi64ELi64ELi4ELi64ELi4ELi4ELi64ELc84ELc78EKfS1_fEEvlllT_PT11_llS4_llS2_PT12_llPT13_lli.numbered_sgpr, 38
	.set _ZN12_GLOBAL__N_127rocblas_gemm_batched_kernelIfLi16ELi16ELi64ELi64ELi4ELi64ELi4ELi4ELi64ELc84ELc78EKfS1_fEEvlllT_PT11_llS4_llS2_PT12_llPT13_lli.num_named_barrier, 0
	.set _ZN12_GLOBAL__N_127rocblas_gemm_batched_kernelIfLi16ELi16ELi64ELi64ELi4ELi64ELi4ELi4ELi64ELc84ELc78EKfS1_fEEvlllT_PT11_llS4_llS2_PT12_llPT13_lli.private_seg_size, 0
	.set _ZN12_GLOBAL__N_127rocblas_gemm_batched_kernelIfLi16ELi16ELi64ELi64ELi4ELi64ELi4ELi4ELi64ELc84ELc78EKfS1_fEEvlllT_PT11_llS4_llS2_PT12_llPT13_lli.uses_vcc, 1
	.set _ZN12_GLOBAL__N_127rocblas_gemm_batched_kernelIfLi16ELi16ELi64ELi64ELi4ELi64ELi4ELi4ELi64ELc84ELc78EKfS1_fEEvlllT_PT11_llS4_llS2_PT12_llPT13_lli.uses_flat_scratch, 0
	.set _ZN12_GLOBAL__N_127rocblas_gemm_batched_kernelIfLi16ELi16ELi64ELi64ELi4ELi64ELi4ELi4ELi64ELc84ELc78EKfS1_fEEvlllT_PT11_llS4_llS2_PT12_llPT13_lli.has_dyn_sized_stack, 0
	.set _ZN12_GLOBAL__N_127rocblas_gemm_batched_kernelIfLi16ELi16ELi64ELi64ELi4ELi64ELi4ELi4ELi64ELc84ELc78EKfS1_fEEvlllT_PT11_llS4_llS2_PT12_llPT13_lli.has_recursion, 0
	.set _ZN12_GLOBAL__N_127rocblas_gemm_batched_kernelIfLi16ELi16ELi64ELi64ELi4ELi64ELi4ELi4ELi64ELc84ELc78EKfS1_fEEvlllT_PT11_llS4_llS2_PT12_llPT13_lli.has_indirect_call, 0
	.section	.AMDGPU.csdata,"",@progbits
; Kernel info:
; codeLenInByte = 2336
; TotalNumSgprs: 40
; NumVgprs: 74
; ScratchSize: 0
; MemoryBound: 0
; FloatMode: 240
; IeeeMode: 1
; LDSByteSize: 2048 bytes/workgroup (compile time only)
; SGPRBlocks: 0
; VGPRBlocks: 4
; NumSGPRsForWavesPerEU: 40
; NumVGPRsForWavesPerEU: 74
; NamedBarCnt: 0
; Occupancy: 12
; WaveLimiterHint : 0
; COMPUTE_PGM_RSRC2:SCRATCH_EN: 0
; COMPUTE_PGM_RSRC2:USER_SGPR: 2
; COMPUTE_PGM_RSRC2:TRAP_HANDLER: 0
; COMPUTE_PGM_RSRC2:TGID_X_EN: 1
; COMPUTE_PGM_RSRC2:TGID_Y_EN: 1
; COMPUTE_PGM_RSRC2:TGID_Z_EN: 1
; COMPUTE_PGM_RSRC2:TIDIG_COMP_CNT: 1
	.section	.text._ZN12_GLOBAL__N_127rocblas_gemm_batched_kernelIfLi16ELi16ELi64ELi64ELi4ELi64ELi4ELi4ELi64ELc78ELc84EKfS1_fEEvlllT_PT11_llS4_llS2_PT12_llPT13_lli,"axG",@progbits,_ZN12_GLOBAL__N_127rocblas_gemm_batched_kernelIfLi16ELi16ELi64ELi64ELi4ELi64ELi4ELi4ELi64ELc78ELc84EKfS1_fEEvlllT_PT11_llS4_llS2_PT12_llPT13_lli,comdat
	.globl	_ZN12_GLOBAL__N_127rocblas_gemm_batched_kernelIfLi16ELi16ELi64ELi64ELi4ELi64ELi4ELi4ELi64ELc78ELc84EKfS1_fEEvlllT_PT11_llS4_llS2_PT12_llPT13_lli ; -- Begin function _ZN12_GLOBAL__N_127rocblas_gemm_batched_kernelIfLi16ELi16ELi64ELi64ELi4ELi64ELi4ELi4ELi64ELc78ELc84EKfS1_fEEvlllT_PT11_llS4_llS2_PT12_llPT13_lli
	.p2align	8
	.type	_ZN12_GLOBAL__N_127rocblas_gemm_batched_kernelIfLi16ELi16ELi64ELi64ELi4ELi64ELi4ELi4ELi64ELc78ELc84EKfS1_fEEvlllT_PT11_llS4_llS2_PT12_llPT13_lli,@function
_ZN12_GLOBAL__N_127rocblas_gemm_batched_kernelIfLi16ELi16ELi64ELi64ELi4ELi64ELi4ELi4ELi64ELc78ELc84EKfS1_fEEvlllT_PT11_llS4_llS2_PT12_llPT13_lli: ; @_ZN12_GLOBAL__N_127rocblas_gemm_batched_kernelIfLi16ELi16ELi64ELi64ELi4ELi64ELi4ELi4ELi64ELc78ELc84EKfS1_fEEvlllT_PT11_llS4_llS2_PT12_llPT13_lli
; %bb.0:
	s_load_b32 s31, s[0:1], 0x88
	s_bfe_u32 s2, ttmp6, 0x40014
	s_lshr_b32 s3, ttmp7, 16
	s_add_co_i32 s2, s2, 1
	s_bfe_u32 s4, ttmp6, 0x40008
	s_mul_i32 s2, s3, s2
	s_getreg_b32 s20, hwreg(HW_REG_IB_STS2, 6, 4)
	s_add_co_i32 s4, s4, s2
	s_cmp_eq_u32 s20, 0
	s_cselect_b32 s2, s3, s4
	s_mov_b32 s3, 0
	s_wait_kmcnt 0x0
	s_cmp_ge_i32 s2, s31
	s_cbranch_scc1 .LBB309_10
; %bb.1:
	s_bfe_u32 s21, ttmp6, 0x4000c
	s_bfe_u32 s23, ttmp6, 0x40010
	s_clause 0x2
	s_load_b256 s[12:19], s[0:1], 0x20
	s_load_b128 s[24:27], s[0:1], 0x40
	s_load_b256 s[4:11], s[0:1], 0x58
	s_add_co_i32 s21, s21, 1
	s_and_b32 s28, ttmp7, 0xffff
	s_add_co_i32 s23, s23, 1
	s_and_b32 s22, ttmp6, 15
	s_mul_i32 s21, ttmp9, s21
	s_mul_i32 s23, s28, s23
	s_bfe_u32 s29, ttmp6, 0x40004
	s_add_co_i32 s22, s22, s21
	s_add_co_i32 s29, s29, s23
	s_cmp_eq_u32 s20, 0
	v_bfe_u32 v2, v0, 10, 10
	v_mov_b32_e32 v3, 0
	s_cselect_b32 s20, s28, s29
	s_cselect_b32 s28, ttmp9, s22
	s_lshl_b32 s34, s20, 6
	s_load_b128 s[20:23], s[0:1], 0x78
	s_mov_b32 s35, s3
	v_and_b32_e32 v4, 0x3ff, v0
	v_lshlrev_b32_e32 v16, 4, v2
	v_add_nc_u64_e32 v[6:7], s[34:35], v[2:3]
	v_mov_b32_e32 v9, v3
	s_ashr_i32 s29, s28, 31
	s_load_b32 s33, s[0:1], 0x50
	v_add_nc_u32_e32 v1, v16, v4
	v_and_b32_e32 v5, 3, v0
	s_lshl_b64 s[36:37], s[28:29], 6
	s_wait_kmcnt 0x0
	v_mul_u64_e32 v[10:11], s[6:7], v[6:7]
	s_load_b96 s[28:30], s[0:1], 0x10
	v_dual_lshrrev_b32 v8, 2, v1 :: v_dual_lshrrev_b32 v17, 6, v1
	v_dual_lshlrev_b32 v32, 2, v4 :: v_dual_bitop2_b32 v2, 63, v1 bitop3:0x40
	v_add_nc_u32_e32 v33, 0x400, v16
	s_delay_alu instid0(VALU_DEP_3) | instskip(NEXT) | instid1(VALU_DEP_4)
	v_mad_nc_u64_u32 v[12:13], s24, v5, v[8:9]
	v_mad_nc_u64_u32 v[14:15], s14, v17, s[36:37]
	v_mul_u64_e32 v[0:1], s[20:21], v[6:7]
	v_dual_lshlrev_b32 v9, 2, v5 :: v_dual_lshlrev_b32 v6, 2, v2
	s_delay_alu instid0(VALU_DEP_1) | instskip(NEXT) | instid1(VALU_DEP_2)
	v_lshl_or_b32 v7, v8, 4, v9
	v_lshl_or_b32 v30, v17, 8, v6
	s_cmp_eq_f32 s33, 0
	v_mad_u32 v13, s25, v5, v13
	v_mad_u32 v15, s15, v17, v15
	v_mov_b32_e32 v5, v3
	s_wait_kmcnt 0x0
	v_cmp_gt_i64_e64 s0, s[28:29], 0
	v_add_nc_u32_e32 v31, 0x400, v7
	s_cselect_b32 s1, -1, 0
	s_lshl_b64 s[20:21], s[20:21], 4
	v_add_nc_u64_e32 v[8:9], s[36:37], v[4:5]
	s_lshl_b64 s[14:15], s[14:15], 4
	v_add_nc_u64_e32 v[6:7], s[34:35], v[12:13]
	v_add_nc_u64_e32 v[12:13], v[14:15], v[2:3]
	s_lshl_b64 s[34:35], s[6:7], 4
	v_lshl_add_u64 v[2:3], v[10:11], 2, s[4:5]
	v_cndmask_b32_e64 v10, 0, 1, s0
	v_lshlrev_b64_e32 v[8:9], 2, v[8:9]
	s_lshl_b64 s[4:5], s[26:27], 2
	v_lshl_add_u64 v[4:5], v[6:7], 2, s[18:19]
	v_lshl_add_u64 v[6:7], v[12:13], 2, s[12:13]
	v_cmp_ne_u32_e64 s0, 1, v10
	s_lshl_b64 s[6:7], s[24:25], 4
	s_lshl_b64 s[12:13], s[16:17], 2
	;; [unrolled: 1-line block ×4, first 2 shown]
	s_branch .LBB309_3
.LBB309_2:                              ;   in Loop: Header=BB309_3 Depth=1
	s_add_co_i32 s2, s2, 0x10000
	s_delay_alu instid0(SALU_CYCLE_1)
	s_cmp_lt_i32 s2, s31
	s_cbranch_scc0 .LBB309_10
.LBB309_3:                              ; =>This Loop Header: Depth=1
                                        ;     Child Loop BB309_5 Depth 2
	v_dual_mov_b32 v25, 0 :: v_dual_mov_b32 v24, 0
	v_dual_mov_b32 v23, 0 :: v_dual_mov_b32 v22, 0
	;; [unrolled: 1-line block ×3, first 2 shown]
	s_wait_xcnt 0x6
	v_dual_mov_b32 v19, 0 :: v_dual_mov_b32 v18, 0
	s_wait_xcnt 0x1
	v_dual_mov_b32 v17, 0 :: v_dual_mov_b32 v16, 0
	;; [unrolled: 2-line block ×3, first 2 shown]
	v_dual_mov_b32 v13, 0 :: v_dual_mov_b32 v12, 0
	v_dual_mov_b32 v11, 0 :: v_dual_mov_b32 v10, 0
	s_and_b32 vcc_lo, exec_lo, s0
	s_cbranch_vccnz .LBB309_6
; %bb.4:                                ;   in Loop: Header=BB309_3 Depth=1
	v_mad_nc_u64_u32 v[26:27], s4, s2, v[4:5]
	v_mad_nc_u64_u32 v[28:29], s12, s2, v[6:7]
	v_mov_b32_e32 v10, 0
	s_mov_b64 s[20:21], 0
	s_delay_alu instid0(VALU_DEP_1)
	v_dual_mov_b32 v11, v10 :: v_dual_mov_b32 v12, v10
	v_dual_mov_b32 v13, v10 :: v_dual_mov_b32 v14, v10
	v_mad_u32 v27, s5, s2, v27
	v_mad_u32 v29, s13, s2, v29
	v_dual_mov_b32 v15, v10 :: v_dual_mov_b32 v16, v10
	v_dual_mov_b32 v17, v10 :: v_dual_mov_b32 v18, v10
	;; [unrolled: 1-line block ×5, first 2 shown]
	v_mov_b32_e32 v25, v10
.LBB309_5:                              ;   Parent Loop BB309_3 Depth=1
                                        ; =>  This Inner Loop Header: Depth=2
	global_load_b32 v34, v[28:29], off
	global_load_b32 v35, v[26:27], off
	s_add_nc_u64 s[20:21], s[20:21], 4
	s_wait_xcnt 0x0
	v_add_nc_u64_e32 v[26:27], s[6:7], v[26:27]
	v_cmp_lt_i64_e64 s24, s[20:21], s[28:29]
	v_add_nc_u64_e32 v[28:29], s[14:15], v[28:29]
	s_wait_loadcnt 0x1
	ds_store_b32 v30, v34
	s_wait_loadcnt 0x0
	ds_store_b32 v31, v35
	s_wait_dscnt 0x0
	s_barrier_signal -1
	s_barrier_wait -1
	ds_load_2addr_b32 v[50:51], v32 offset1:16
	ds_load_2addr_b32 v[52:53], v32 offset0:64 offset1:80
	ds_load_2addr_b32 v[54:55], v32 offset0:128 offset1:144
	ds_load_2addr_b32 v[56:57], v32 offset0:192 offset1:208
	ds_load_2addr_b32 v[58:59], v32 offset0:32 offset1:48
	ds_load_2addr_b32 v[60:61], v32 offset0:96 offset1:112
	ds_load_2addr_b32 v[62:63], v32 offset0:160 offset1:176
	ds_load_b128 v[34:37], v33
	ds_load_b128 v[38:41], v33 offset:256
	ds_load_2addr_b32 v[64:65], v32 offset0:224 offset1:240
	ds_load_b128 v[42:45], v33 offset:512
	ds_load_b128 v[46:49], v33 offset:768
	s_and_b32 vcc_lo, exec_lo, s24
	s_wait_dscnt 0x0
	s_barrier_signal -1
	s_barrier_wait -1
	v_dual_mov_b32 v66, v51 :: v_dual_mov_b32 v67, v50
	v_dual_mov_b32 v50, v53 :: v_dual_mov_b32 v51, v52
	;; [unrolled: 1-line block ×6, first 2 shown]
	v_pk_fma_f32 v[24:25], v[66:67], v[34:35], v[24:25] op_sel_hi:[1,0,1]
	v_pk_fma_f32 v[20:21], v[66:67], v[38:39], v[20:21] op_sel_hi:[1,0,1]
	s_delay_alu instid0(VALU_DEP_4)
	v_pk_fma_f32 v[22:23], v[56:57], v[34:35], v[22:23] op_sel_hi:[1,0,1]
	v_pk_fma_f32 v[16:17], v[66:67], v[42:43], v[16:17] op_sel_hi:[1,0,1]
	;; [unrolled: 1-line block ×6, first 2 shown]
	v_dual_mov_b32 v60, v63 :: v_dual_mov_b32 v61, v62
	v_pk_fma_f32 v[24:25], v[50:51], v[34:35], v[24:25] op_sel:[0,1,0]
	v_pk_fma_f32 v[22:23], v[58:59], v[34:35], v[22:23] op_sel:[0,1,0]
	;; [unrolled: 1-line block ×8, first 2 shown]
	v_dual_mov_b32 v62, v37 :: v_dual_mov_b32 v68, v65
	v_dual_mov_b32 v69, v64 :: v_dual_mov_b32 v64, v41
	;; [unrolled: 1-line block ×3, first 2 shown]
	v_pk_fma_f32 v[24:25], v[52:53], v[36:37], v[24:25] op_sel_hi:[1,0,1]
	v_pk_fma_f32 v[22:23], v[60:61], v[36:37], v[22:23] op_sel_hi:[1,0,1]
	;; [unrolled: 1-line block ×16, first 2 shown]
	s_cbranch_vccnz .LBB309_5
.LBB309_6:                              ;   in Loop: Header=BB309_3 Depth=1
	s_mul_u64 s[20:21], s[22:23], s[2:3]
	s_and_not1_b32 vcc_lo, exec_lo, s1
	s_lshl_b64 s[20:21], s[20:21], 2
	s_delay_alu instid0(SALU_CYCLE_1) | instskip(NEXT) | instid1(SALU_CYCLE_1)
	s_add_nc_u64 s[20:21], s[10:11], s[20:21]
	v_lshl_add_u64 v[26:27], v[0:1], 2, s[20:21]
	s_delay_alu instid0(VALU_DEP_1)
	v_add_nc_u64_e32 v[28:29], v[26:27], v[8:9]
	v_add_nc_u64_e32 v[26:27], s[16:17], v[26:27]
	s_cbranch_vccnz .LBB309_8
; %bb.7:                                ;   in Loop: Header=BB309_3 Depth=1
	v_dual_mul_f32 v36, s30, v25 :: v_dual_mul_f32 v37, s30, v24
	s_delay_alu instid0(VALU_DEP_2)
	v_add_nc_u64_e32 v[34:35], s[16:17], v[26:27]
	v_dual_mul_f32 v38, s30, v23 :: v_dual_mul_f32 v39, s30, v22
	s_clause 0x3
	global_store_b32 v[28:29], v36, off
	global_store_b32 v[28:29], v37, off offset:64
	global_store_b32 v[28:29], v38, off offset:128
	;; [unrolled: 1-line block ×3, first 2 shown]
	s_wait_xcnt 0x2
	v_add_nc_u64_e32 v[36:37], v[26:27], v[8:9]
	v_dual_mul_f32 v40, s30, v21 :: v_dual_mul_f32 v41, s30, v20
	s_wait_xcnt 0x0
	v_add_nc_u64_e32 v[38:39], v[34:35], v[8:9]
	v_add_nc_u64_e32 v[34:35], s[16:17], v[34:35]
	v_dual_mul_f32 v42, s30, v19 :: v_dual_mul_f32 v43, s30, v18
	s_clause 0x3
	global_store_b32 v[36:37], v40, off
	global_store_b32 v[36:37], v41, off offset:64
	global_store_b32 v[36:37], v42, off offset:128
	;; [unrolled: 1-line block ×3, first 2 shown]
	s_wait_xcnt 0x0
	v_dual_mul_f32 v36, s30, v17 :: v_dual_mul_f32 v37, s30, v16
	v_dual_mul_f32 v40, s30, v15 :: v_dual_mul_f32 v41, s30, v14
	v_add_nc_u64_e32 v[34:35], v[34:35], v[8:9]
	s_clause 0x3
	global_store_b32 v[38:39], v36, off
	global_store_b32 v[38:39], v37, off offset:64
	global_store_b32 v[38:39], v40, off offset:128
	;; [unrolled: 1-line block ×3, first 2 shown]
	s_wait_xcnt 0x2
	v_dual_mul_f32 v36, s30, v13 :: v_dual_mul_f32 v37, s30, v12
	s_wait_xcnt 0x0
	v_dual_mul_f32 v38, s30, v11 :: v_dual_mul_f32 v39, s30, v10
	s_clause 0x3
	global_store_b32 v[34:35], v36, off
	global_store_b32 v[34:35], v37, off offset:64
	global_store_b32 v[34:35], v38, off offset:128
	;; [unrolled: 1-line block ×3, first 2 shown]
	s_cbranch_execnz .LBB309_2
	s_branch .LBB309_9
.LBB309_8:                              ;   in Loop: Header=BB309_3 Depth=1
.LBB309_9:                              ;   in Loop: Header=BB309_3 Depth=1
	s_mul_u64 s[20:21], s[8:9], s[2:3]
	s_wait_xcnt 0x0
	v_lshl_add_u64 v[34:35], s[20:21], 2, v[2:3]
	s_delay_alu instid0(VALU_DEP_1) | instskip(SKIP_3) | instid1(VALU_DEP_1)
	v_add_nc_u64_e32 v[36:37], v[34:35], v[8:9]
	global_load_b32 v38, v[36:37], off
	s_wait_loadcnt 0x0
	v_mul_f32_e32 v38, s33, v38
	v_fmac_f32_e32 v38, s30, v25
	global_store_b32 v[28:29], v38, off
	global_load_b32 v25, v[36:37], off offset:64
	s_wait_loadcnt 0x0
	v_mul_f32_e32 v25, s33, v25
	s_delay_alu instid0(VALU_DEP_1) | instskip(SKIP_4) | instid1(VALU_DEP_1)
	v_fmac_f32_e32 v25, s30, v24
	global_store_b32 v[28:29], v25, off offset:64
	global_load_b32 v24, v[36:37], off offset:128
	s_wait_loadcnt 0x0
	v_mul_f32_e32 v24, s33, v24
	v_fmac_f32_e32 v24, s30, v23
	global_store_b32 v[28:29], v24, off offset:128
	global_load_b32 v23, v[36:37], off offset:192
	s_wait_xcnt 0x1
	v_add_nc_u64_e32 v[24:25], s[18:19], v[34:35]
	s_delay_alu instid0(VALU_DEP_1) | instskip(SKIP_2) | instid1(VALU_DEP_1)
	v_add_nc_u64_e32 v[34:35], v[24:25], v[8:9]
	s_wait_loadcnt 0x0
	v_mul_f32_e32 v23, s33, v23
	v_fmac_f32_e32 v23, s30, v22
	global_store_b32 v[28:29], v23, off offset:192
	global_load_b32 v22, v[34:35], off
	s_wait_loadcnt 0x0
	s_wait_xcnt 0x1
	v_mul_f32_e32 v28, s33, v22
	v_add_nc_u64_e32 v[22:23], v[26:27], v[8:9]
	s_delay_alu instid0(VALU_DEP_2) | instskip(SKIP_4) | instid1(VALU_DEP_1)
	v_fmac_f32_e32 v28, s30, v21
	global_store_b32 v[22:23], v28, off
	global_load_b32 v21, v[34:35], off offset:64
	s_wait_loadcnt 0x0
	v_mul_f32_e32 v21, s33, v21
	v_fmac_f32_e32 v21, s30, v20
	global_store_b32 v[22:23], v21, off offset:64
	global_load_b32 v20, v[34:35], off offset:128
	s_wait_loadcnt 0x0
	v_mul_f32_e32 v20, s33, v20
	s_delay_alu instid0(VALU_DEP_1) | instskip(SKIP_4) | instid1(VALU_DEP_1)
	v_fmac_f32_e32 v20, s30, v19
	global_store_b32 v[22:23], v20, off offset:128
	global_load_b32 v19, v[34:35], off offset:192
	s_wait_xcnt 0x1
	v_add_nc_u64_e32 v[20:21], s[18:19], v[24:25]
	v_add_nc_u64_e32 v[24:25], v[20:21], v[8:9]
	s_wait_loadcnt 0x0
	v_mul_f32_e32 v19, s33, v19
	s_delay_alu instid0(VALU_DEP_1)
	v_fmac_f32_e32 v19, s30, v18
	global_store_b32 v[22:23], v19, off offset:192
	global_load_b32 v22, v[24:25], off
	v_add_nc_u64_e32 v[18:19], s[16:17], v[26:27]
	s_wait_loadcnt 0x0
	v_mul_f32_e32 v26, s33, v22
	s_delay_alu instid0(VALU_DEP_2) | instskip(NEXT) | instid1(VALU_DEP_2)
	v_add_nc_u64_e32 v[22:23], v[18:19], v[8:9]
	v_fmac_f32_e32 v26, s30, v17
	global_store_b32 v[22:23], v26, off
	global_load_b32 v17, v[24:25], off offset:64
	s_wait_loadcnt 0x0
	v_mul_f32_e32 v17, s33, v17
	s_delay_alu instid0(VALU_DEP_1) | instskip(SKIP_4) | instid1(VALU_DEP_1)
	v_fmac_f32_e32 v17, s30, v16
	global_store_b32 v[22:23], v17, off offset:64
	global_load_b32 v16, v[24:25], off offset:128
	s_wait_loadcnt 0x0
	v_mul_f32_e32 v16, s33, v16
	v_fmac_f32_e32 v16, s30, v15
	global_store_b32 v[22:23], v16, off offset:128
	global_load_b32 v15, v[24:25], off offset:192
	s_wait_xcnt 0x1
	v_add_nc_u64_e32 v[16:17], s[18:19], v[20:21]
	s_delay_alu instid0(VALU_DEP_1) | instskip(SKIP_2) | instid1(VALU_DEP_1)
	v_add_nc_u64_e32 v[16:17], v[16:17], v[8:9]
	s_wait_loadcnt 0x0
	v_mul_f32_e32 v15, s33, v15
	v_fmac_f32_e32 v15, s30, v14
	global_store_b32 v[22:23], v15, off offset:192
	global_load_b32 v20, v[16:17], off
	s_wait_xcnt 0x1
	v_add_nc_u64_e32 v[14:15], s[16:17], v[18:19]
	s_delay_alu instid0(VALU_DEP_1) | instskip(SKIP_2) | instid1(VALU_DEP_1)
	v_add_nc_u64_e32 v[14:15], v[14:15], v[8:9]
	s_wait_loadcnt 0x0
	v_mul_f32_e32 v18, s33, v20
	v_fmac_f32_e32 v18, s30, v13
	global_store_b32 v[14:15], v18, off
	global_load_b32 v13, v[16:17], off offset:64
	s_wait_loadcnt 0x0
	v_mul_f32_e32 v13, s33, v13
	s_delay_alu instid0(VALU_DEP_1) | instskip(SKIP_4) | instid1(VALU_DEP_1)
	v_fmac_f32_e32 v13, s30, v12
	global_store_b32 v[14:15], v13, off offset:64
	global_load_b32 v12, v[16:17], off offset:128
	s_wait_loadcnt 0x0
	v_mul_f32_e32 v12, s33, v12
	v_fmac_f32_e32 v12, s30, v11
	global_store_b32 v[14:15], v12, off offset:128
	global_load_b32 v11, v[16:17], off offset:192
	s_wait_loadcnt 0x0
	v_mul_f32_e32 v11, s33, v11
	s_delay_alu instid0(VALU_DEP_1)
	v_fmac_f32_e32 v11, s30, v10
	global_store_b32 v[14:15], v11, off offset:192
	s_branch .LBB309_2
.LBB309_10:
	s_sendmsg sendmsg(MSG_DEALLOC_VGPRS)
	s_endpgm
	.section	.rodata,"a",@progbits
	.p2align	6, 0x0
	.amdhsa_kernel _ZN12_GLOBAL__N_127rocblas_gemm_batched_kernelIfLi16ELi16ELi64ELi64ELi4ELi64ELi4ELi4ELi64ELc78ELc84EKfS1_fEEvlllT_PT11_llS4_llS2_PT12_llPT13_lli
		.amdhsa_group_segment_fixed_size 2048
		.amdhsa_private_segment_fixed_size 0
		.amdhsa_kernarg_size 140
		.amdhsa_user_sgpr_count 2
		.amdhsa_user_sgpr_dispatch_ptr 0
		.amdhsa_user_sgpr_queue_ptr 0
		.amdhsa_user_sgpr_kernarg_segment_ptr 1
		.amdhsa_user_sgpr_dispatch_id 0
		.amdhsa_user_sgpr_kernarg_preload_length 0
		.amdhsa_user_sgpr_kernarg_preload_offset 0
		.amdhsa_user_sgpr_private_segment_size 0
		.amdhsa_wavefront_size32 1
		.amdhsa_uses_dynamic_stack 0
		.amdhsa_enable_private_segment 0
		.amdhsa_system_sgpr_workgroup_id_x 1
		.amdhsa_system_sgpr_workgroup_id_y 1
		.amdhsa_system_sgpr_workgroup_id_z 1
		.amdhsa_system_sgpr_workgroup_info 0
		.amdhsa_system_vgpr_workitem_id 1
		.amdhsa_next_free_vgpr 74
		.amdhsa_next_free_sgpr 38
		.amdhsa_named_barrier_count 0
		.amdhsa_reserve_vcc 1
		.amdhsa_float_round_mode_32 0
		.amdhsa_float_round_mode_16_64 0
		.amdhsa_float_denorm_mode_32 3
		.amdhsa_float_denorm_mode_16_64 3
		.amdhsa_fp16_overflow 0
		.amdhsa_memory_ordered 1
		.amdhsa_forward_progress 1
		.amdhsa_inst_pref_size 19
		.amdhsa_round_robin_scheduling 0
		.amdhsa_exception_fp_ieee_invalid_op 0
		.amdhsa_exception_fp_denorm_src 0
		.amdhsa_exception_fp_ieee_div_zero 0
		.amdhsa_exception_fp_ieee_overflow 0
		.amdhsa_exception_fp_ieee_underflow 0
		.amdhsa_exception_fp_ieee_inexact 0
		.amdhsa_exception_int_div_zero 0
	.end_amdhsa_kernel
	.section	.text._ZN12_GLOBAL__N_127rocblas_gemm_batched_kernelIfLi16ELi16ELi64ELi64ELi4ELi64ELi4ELi4ELi64ELc78ELc84EKfS1_fEEvlllT_PT11_llS4_llS2_PT12_llPT13_lli,"axG",@progbits,_ZN12_GLOBAL__N_127rocblas_gemm_batched_kernelIfLi16ELi16ELi64ELi64ELi4ELi64ELi4ELi4ELi64ELc78ELc84EKfS1_fEEvlllT_PT11_llS4_llS2_PT12_llPT13_lli,comdat
.Lfunc_end309:
	.size	_ZN12_GLOBAL__N_127rocblas_gemm_batched_kernelIfLi16ELi16ELi64ELi64ELi4ELi64ELi4ELi4ELi64ELc78ELc84EKfS1_fEEvlllT_PT11_llS4_llS2_PT12_llPT13_lli, .Lfunc_end309-_ZN12_GLOBAL__N_127rocblas_gemm_batched_kernelIfLi16ELi16ELi64ELi64ELi4ELi64ELi4ELi4ELi64ELc78ELc84EKfS1_fEEvlllT_PT11_llS4_llS2_PT12_llPT13_lli
                                        ; -- End function
	.set _ZN12_GLOBAL__N_127rocblas_gemm_batched_kernelIfLi16ELi16ELi64ELi64ELi4ELi64ELi4ELi4ELi64ELc78ELc84EKfS1_fEEvlllT_PT11_llS4_llS2_PT12_llPT13_lli.num_vgpr, 74
	.set _ZN12_GLOBAL__N_127rocblas_gemm_batched_kernelIfLi16ELi16ELi64ELi64ELi4ELi64ELi4ELi4ELi64ELc78ELc84EKfS1_fEEvlllT_PT11_llS4_llS2_PT12_llPT13_lli.num_agpr, 0
	.set _ZN12_GLOBAL__N_127rocblas_gemm_batched_kernelIfLi16ELi16ELi64ELi64ELi4ELi64ELi4ELi4ELi64ELc78ELc84EKfS1_fEEvlllT_PT11_llS4_llS2_PT12_llPT13_lli.numbered_sgpr, 38
	.set _ZN12_GLOBAL__N_127rocblas_gemm_batched_kernelIfLi16ELi16ELi64ELi64ELi4ELi64ELi4ELi4ELi64ELc78ELc84EKfS1_fEEvlllT_PT11_llS4_llS2_PT12_llPT13_lli.num_named_barrier, 0
	.set _ZN12_GLOBAL__N_127rocblas_gemm_batched_kernelIfLi16ELi16ELi64ELi64ELi4ELi64ELi4ELi4ELi64ELc78ELc84EKfS1_fEEvlllT_PT11_llS4_llS2_PT12_llPT13_lli.private_seg_size, 0
	.set _ZN12_GLOBAL__N_127rocblas_gemm_batched_kernelIfLi16ELi16ELi64ELi64ELi4ELi64ELi4ELi4ELi64ELc78ELc84EKfS1_fEEvlllT_PT11_llS4_llS2_PT12_llPT13_lli.uses_vcc, 1
	.set _ZN12_GLOBAL__N_127rocblas_gemm_batched_kernelIfLi16ELi16ELi64ELi64ELi4ELi64ELi4ELi4ELi64ELc78ELc84EKfS1_fEEvlllT_PT11_llS4_llS2_PT12_llPT13_lli.uses_flat_scratch, 0
	.set _ZN12_GLOBAL__N_127rocblas_gemm_batched_kernelIfLi16ELi16ELi64ELi64ELi4ELi64ELi4ELi4ELi64ELc78ELc84EKfS1_fEEvlllT_PT11_llS4_llS2_PT12_llPT13_lli.has_dyn_sized_stack, 0
	.set _ZN12_GLOBAL__N_127rocblas_gemm_batched_kernelIfLi16ELi16ELi64ELi64ELi4ELi64ELi4ELi4ELi64ELc78ELc84EKfS1_fEEvlllT_PT11_llS4_llS2_PT12_llPT13_lli.has_recursion, 0
	.set _ZN12_GLOBAL__N_127rocblas_gemm_batched_kernelIfLi16ELi16ELi64ELi64ELi4ELi64ELi4ELi4ELi64ELc78ELc84EKfS1_fEEvlllT_PT11_llS4_llS2_PT12_llPT13_lli.has_indirect_call, 0
	.section	.AMDGPU.csdata,"",@progbits
; Kernel info:
; codeLenInByte = 2328
; TotalNumSgprs: 40
; NumVgprs: 74
; ScratchSize: 0
; MemoryBound: 0
; FloatMode: 240
; IeeeMode: 1
; LDSByteSize: 2048 bytes/workgroup (compile time only)
; SGPRBlocks: 0
; VGPRBlocks: 4
; NumSGPRsForWavesPerEU: 40
; NumVGPRsForWavesPerEU: 74
; NamedBarCnt: 0
; Occupancy: 12
; WaveLimiterHint : 0
; COMPUTE_PGM_RSRC2:SCRATCH_EN: 0
; COMPUTE_PGM_RSRC2:USER_SGPR: 2
; COMPUTE_PGM_RSRC2:TRAP_HANDLER: 0
; COMPUTE_PGM_RSRC2:TGID_X_EN: 1
; COMPUTE_PGM_RSRC2:TGID_Y_EN: 1
; COMPUTE_PGM_RSRC2:TGID_Z_EN: 1
; COMPUTE_PGM_RSRC2:TIDIG_COMP_CNT: 1
	.section	.text._ZN12_GLOBAL__N_127rocblas_gemm_batched_kernelIfLi16ELi16ELi64ELi64ELi4ELi64ELi4ELi4ELi64ELc84ELc84EKfS1_fEEvlllT_PT11_llS4_llS2_PT12_llPT13_lli,"axG",@progbits,_ZN12_GLOBAL__N_127rocblas_gemm_batched_kernelIfLi16ELi16ELi64ELi64ELi4ELi64ELi4ELi4ELi64ELc84ELc84EKfS1_fEEvlllT_PT11_llS4_llS2_PT12_llPT13_lli,comdat
	.globl	_ZN12_GLOBAL__N_127rocblas_gemm_batched_kernelIfLi16ELi16ELi64ELi64ELi4ELi64ELi4ELi4ELi64ELc84ELc84EKfS1_fEEvlllT_PT11_llS4_llS2_PT12_llPT13_lli ; -- Begin function _ZN12_GLOBAL__N_127rocblas_gemm_batched_kernelIfLi16ELi16ELi64ELi64ELi4ELi64ELi4ELi4ELi64ELc84ELc84EKfS1_fEEvlllT_PT11_llS4_llS2_PT12_llPT13_lli
	.p2align	8
	.type	_ZN12_GLOBAL__N_127rocblas_gemm_batched_kernelIfLi16ELi16ELi64ELi64ELi4ELi64ELi4ELi4ELi64ELc84ELc84EKfS1_fEEvlllT_PT11_llS4_llS2_PT12_llPT13_lli,@function
_ZN12_GLOBAL__N_127rocblas_gemm_batched_kernelIfLi16ELi16ELi64ELi64ELi4ELi64ELi4ELi4ELi64ELc84ELc84EKfS1_fEEvlllT_PT11_llS4_llS2_PT12_llPT13_lli: ; @_ZN12_GLOBAL__N_127rocblas_gemm_batched_kernelIfLi16ELi16ELi64ELi64ELi4ELi64ELi4ELi4ELi64ELc84ELc84EKfS1_fEEvlllT_PT11_llS4_llS2_PT12_llPT13_lli
; %bb.0:
	s_load_b32 s31, s[0:1], 0x88
	s_bfe_u32 s2, ttmp6, 0x40014
	s_lshr_b32 s3, ttmp7, 16
	s_add_co_i32 s2, s2, 1
	s_bfe_u32 s4, ttmp6, 0x40008
	s_mul_i32 s2, s3, s2
	s_getreg_b32 s20, hwreg(HW_REG_IB_STS2, 6, 4)
	s_add_co_i32 s4, s4, s2
	s_cmp_eq_u32 s20, 0
	s_cselect_b32 s2, s3, s4
	s_mov_b32 s3, 0
	s_wait_kmcnt 0x0
	s_cmp_ge_i32 s2, s31
	s_cbranch_scc1 .LBB310_10
; %bb.1:
	s_bfe_u32 s21, ttmp6, 0x4000c
	s_bfe_u32 s23, ttmp6, 0x40010
	s_add_co_i32 s21, s21, 1
	s_and_b32 s28, ttmp7, 0xffff
	s_add_co_i32 s23, s23, 1
	v_bfe_u32 v4, v0, 10, 10
	s_and_b32 s22, ttmp6, 15
	s_mul_i32 s21, ttmp9, s21
	s_mul_i32 s23, s28, s23
	s_bfe_u32 s29, ttmp6, 0x40004
	s_add_co_i32 s22, s22, s21
	s_add_co_i32 s29, s29, s23
	s_cmp_eq_u32 s20, 0
	v_and_b32_e32 v2, 0x3ff, v0
	v_dual_mov_b32 v5, 0 :: v_dual_lshlrev_b32 v16, 4, v4
	s_cselect_b32 s20, ttmp9, s22
	s_clause 0x2
	s_load_b256 s[12:19], s[0:1], 0x20
	s_load_b128 s[24:27], s[0:1], 0x40
	s_load_b256 s[4:11], s[0:1], 0x58
	s_cselect_b32 s22, s28, s29
	s_ashr_i32 s21, s20, 31
	s_lshl_b32 s34, s22, 6
	s_lshl_b64 s[36:37], s[20:21], 6
	v_add_nc_u32_e32 v1, v16, v2
	s_load_b128 s[20:23], s[0:1], 0x78
	s_mov_b32 s35, s3
	v_mov_b32_e32 v9, s37
	v_add_nc_u64_e32 v[6:7], s[34:35], v[4:5]
	v_and_b32_e32 v3, 63, v1
	s_clause 0x1
	s_load_b32 s33, s[0:1], 0x50
	s_load_b96 s[28:30], s[0:1], 0x10
	v_add_nc_u32_e32 v33, 0x400, v16
	v_dual_lshlrev_b32 v32, 2, v2 :: v_dual_bitop2_b32 v8, s36, v3 bitop3:0x54
	v_dual_lshrrev_b32 v10, 2, v1 :: v_dual_bitop2_b32 v4, 3, v0 bitop3:0x40
	v_mov_b32_e32 v11, v5
	s_wait_kmcnt 0x0
	s_delay_alu instid0(VALU_DEP_3)
	v_mul_u64_e32 v[8:9], s[14:15], v[8:9]
	v_mul_u64_e32 v[12:13], s[6:7], v[6:7]
	v_lshlrev_b32_e32 v17, 2, v4
	v_mad_nc_u64_u32 v[14:15], s24, v4, v[10:11]
	v_lshrrev_b32_e32 v11, 6, v1
	v_mul_u64_e32 v[0:1], s[20:21], v[6:7]
	v_dual_mov_b32 v3, v5 :: v_dual_lshlrev_b32 v6, 2, v3
	s_cmp_eq_f32 s33, 0
	v_cmp_gt_i64_e64 s0, s[28:29], 0
	s_delay_alu instid0(VALU_DEP_2)
	v_lshl_or_b32 v30, v11, 8, v6
	v_mad_u32 v15, s25, v4, v15
	v_lshl_or_b32 v4, v10, 4, v17
	s_cselect_b32 s1, -1, 0
	s_lshl_b64 s[14:15], s[20:21], 4
	s_lshl_b64 s[20:21], s[6:7], 4
	;; [unrolled: 1-line block ×3, first 2 shown]
	v_add_nc_u32_e32 v31, 0x400, v4
	v_lshlrev_b32_e32 v4, 2, v11
	v_add_nc_u64_e32 v[10:11], s[36:37], v[2:3]
	s_lshl_b64 s[14:15], s[14:15], 2
	v_add_nc_u64_e32 v[6:7], s[34:35], v[14:15]
	s_delay_alu instid0(VALU_DEP_3) | instskip(SKIP_2) | instid1(VALU_DEP_4)
	v_lshl_add_u64 v[8:9], v[8:9], 2, v[4:5]
	v_lshl_add_u64 v[2:3], v[12:13], 2, s[4:5]
	v_cndmask_b32_e64 v12, 0, 1, s0
	v_lshl_add_u64 v[4:5], v[6:7], 2, s[18:19]
	s_lshl_b64 s[4:5], s[26:27], 2
	v_add_nc_u64_e32 v[6:7], s[12:13], v[8:9]
	v_lshlrev_b64_e32 v[8:9], 2, v[10:11]
	v_cmp_ne_u32_e64 s0, 1, v12
	s_lshl_b64 s[12:13], s[16:17], 2
	s_lshl_b64 s[16:17], s[20:21], 2
	s_branch .LBB310_3
.LBB310_2:                              ;   in Loop: Header=BB310_3 Depth=1
	s_add_co_i32 s2, s2, 0x10000
	s_delay_alu instid0(SALU_CYCLE_1)
	s_cmp_lt_i32 s2, s31
	s_cbranch_scc0 .LBB310_10
.LBB310_3:                              ; =>This Loop Header: Depth=1
                                        ;     Child Loop BB310_5 Depth 2
	v_dual_mov_b32 v25, 0 :: v_dual_mov_b32 v24, 0
	v_dual_mov_b32 v23, 0 :: v_dual_mov_b32 v22, 0
	;; [unrolled: 1-line block ×3, first 2 shown]
	s_wait_xcnt 0x6
	v_dual_mov_b32 v19, 0 :: v_dual_mov_b32 v18, 0
	s_wait_xcnt 0x1
	v_dual_mov_b32 v17, 0 :: v_dual_mov_b32 v16, 0
	;; [unrolled: 2-line block ×3, first 2 shown]
	v_dual_mov_b32 v13, 0 :: v_dual_mov_b32 v12, 0
	v_dual_mov_b32 v11, 0 :: v_dual_mov_b32 v10, 0
	s_and_b32 vcc_lo, exec_lo, s0
	s_cbranch_vccnz .LBB310_6
; %bb.4:                                ;   in Loop: Header=BB310_3 Depth=1
	v_mad_nc_u64_u32 v[26:27], s4, s2, v[4:5]
	v_mad_nc_u64_u32 v[28:29], s12, s2, v[6:7]
	v_mov_b32_e32 v10, 0
	s_mov_b64 s[18:19], 0
	s_delay_alu instid0(VALU_DEP_1)
	v_dual_mov_b32 v11, v10 :: v_dual_mov_b32 v12, v10
	v_dual_mov_b32 v13, v10 :: v_dual_mov_b32 v14, v10
	v_mad_u32 v27, s5, s2, v27
	v_mad_u32 v29, s13, s2, v29
	v_dual_mov_b32 v15, v10 :: v_dual_mov_b32 v16, v10
	v_dual_mov_b32 v17, v10 :: v_dual_mov_b32 v18, v10
	;; [unrolled: 1-line block ×5, first 2 shown]
	v_mov_b32_e32 v25, v10
.LBB310_5:                              ;   Parent Loop BB310_3 Depth=1
                                        ; =>  This Inner Loop Header: Depth=2
	global_load_b32 v34, v[28:29], off
	global_load_b32 v35, v[26:27], off
	s_add_nc_u64 s[18:19], s[18:19], 4
	s_wait_xcnt 0x0
	v_add_nc_u64_e32 v[26:27], s[6:7], v[26:27]
	v_cmp_lt_i64_e64 s20, s[18:19], s[28:29]
	v_add_nc_u64_e32 v[28:29], 16, v[28:29]
	s_wait_loadcnt 0x1
	ds_store_b32 v30, v34
	s_wait_loadcnt 0x0
	ds_store_b32 v31, v35
	s_wait_dscnt 0x0
	s_barrier_signal -1
	s_barrier_wait -1
	ds_load_2addr_b32 v[50:51], v32 offset1:16
	ds_load_2addr_b32 v[52:53], v32 offset0:64 offset1:80
	ds_load_2addr_b32 v[54:55], v32 offset0:128 offset1:144
	;; [unrolled: 1-line block ×6, first 2 shown]
	ds_load_b128 v[34:37], v33
	ds_load_b128 v[38:41], v33 offset:256
	ds_load_2addr_b32 v[64:65], v32 offset0:224 offset1:240
	ds_load_b128 v[42:45], v33 offset:512
	ds_load_b128 v[46:49], v33 offset:768
	s_and_b32 vcc_lo, exec_lo, s20
	s_wait_dscnt 0x0
	s_barrier_signal -1
	s_barrier_wait -1
	v_dual_mov_b32 v66, v51 :: v_dual_mov_b32 v67, v50
	v_dual_mov_b32 v50, v53 :: v_dual_mov_b32 v51, v52
	;; [unrolled: 1-line block ×6, first 2 shown]
	v_pk_fma_f32 v[24:25], v[66:67], v[34:35], v[24:25] op_sel_hi:[1,0,1]
	v_pk_fma_f32 v[20:21], v[66:67], v[38:39], v[20:21] op_sel_hi:[1,0,1]
	s_delay_alu instid0(VALU_DEP_4)
	v_pk_fma_f32 v[22:23], v[56:57], v[34:35], v[22:23] op_sel_hi:[1,0,1]
	v_pk_fma_f32 v[16:17], v[66:67], v[42:43], v[16:17] op_sel_hi:[1,0,1]
	;; [unrolled: 1-line block ×6, first 2 shown]
	v_dual_mov_b32 v60, v63 :: v_dual_mov_b32 v61, v62
	v_pk_fma_f32 v[24:25], v[50:51], v[34:35], v[24:25] op_sel:[0,1,0]
	v_pk_fma_f32 v[22:23], v[58:59], v[34:35], v[22:23] op_sel:[0,1,0]
	;; [unrolled: 1-line block ×8, first 2 shown]
	v_dual_mov_b32 v62, v37 :: v_dual_mov_b32 v68, v65
	v_dual_mov_b32 v69, v64 :: v_dual_mov_b32 v64, v41
	;; [unrolled: 1-line block ×3, first 2 shown]
	v_pk_fma_f32 v[24:25], v[52:53], v[36:37], v[24:25] op_sel_hi:[1,0,1]
	v_pk_fma_f32 v[22:23], v[60:61], v[36:37], v[22:23] op_sel_hi:[1,0,1]
	;; [unrolled: 1-line block ×16, first 2 shown]
	s_cbranch_vccnz .LBB310_5
.LBB310_6:                              ;   in Loop: Header=BB310_3 Depth=1
	s_mul_u64 s[18:19], s[22:23], s[2:3]
	s_and_not1_b32 vcc_lo, exec_lo, s1
	s_lshl_b64 s[18:19], s[18:19], 2
	s_delay_alu instid0(SALU_CYCLE_1) | instskip(NEXT) | instid1(SALU_CYCLE_1)
	s_add_nc_u64 s[18:19], s[10:11], s[18:19]
	v_lshl_add_u64 v[26:27], v[0:1], 2, s[18:19]
	s_delay_alu instid0(VALU_DEP_1)
	v_add_nc_u64_e32 v[28:29], v[26:27], v[8:9]
	v_add_nc_u64_e32 v[26:27], s[14:15], v[26:27]
	s_cbranch_vccnz .LBB310_8
; %bb.7:                                ;   in Loop: Header=BB310_3 Depth=1
	v_dual_mul_f32 v36, s30, v25 :: v_dual_mul_f32 v37, s30, v24
	s_delay_alu instid0(VALU_DEP_2)
	v_add_nc_u64_e32 v[34:35], s[14:15], v[26:27]
	v_dual_mul_f32 v38, s30, v23 :: v_dual_mul_f32 v39, s30, v22
	s_clause 0x3
	global_store_b32 v[28:29], v36, off
	global_store_b32 v[28:29], v37, off offset:64
	global_store_b32 v[28:29], v38, off offset:128
	;; [unrolled: 1-line block ×3, first 2 shown]
	s_wait_xcnt 0x2
	v_add_nc_u64_e32 v[36:37], v[26:27], v[8:9]
	v_dual_mul_f32 v40, s30, v21 :: v_dual_mul_f32 v41, s30, v20
	s_wait_xcnt 0x0
	v_add_nc_u64_e32 v[38:39], v[34:35], v[8:9]
	v_add_nc_u64_e32 v[34:35], s[14:15], v[34:35]
	v_dual_mul_f32 v42, s30, v19 :: v_dual_mul_f32 v43, s30, v18
	s_clause 0x3
	global_store_b32 v[36:37], v40, off
	global_store_b32 v[36:37], v41, off offset:64
	global_store_b32 v[36:37], v42, off offset:128
	;; [unrolled: 1-line block ×3, first 2 shown]
	s_wait_xcnt 0x0
	v_dual_mul_f32 v36, s30, v17 :: v_dual_mul_f32 v37, s30, v16
	v_dual_mul_f32 v40, s30, v15 :: v_dual_mul_f32 v41, s30, v14
	v_add_nc_u64_e32 v[34:35], v[34:35], v[8:9]
	s_clause 0x3
	global_store_b32 v[38:39], v36, off
	global_store_b32 v[38:39], v37, off offset:64
	global_store_b32 v[38:39], v40, off offset:128
	;; [unrolled: 1-line block ×3, first 2 shown]
	s_wait_xcnt 0x2
	v_dual_mul_f32 v36, s30, v13 :: v_dual_mul_f32 v37, s30, v12
	s_wait_xcnt 0x0
	v_dual_mul_f32 v38, s30, v11 :: v_dual_mul_f32 v39, s30, v10
	s_clause 0x3
	global_store_b32 v[34:35], v36, off
	global_store_b32 v[34:35], v37, off offset:64
	global_store_b32 v[34:35], v38, off offset:128
	;; [unrolled: 1-line block ×3, first 2 shown]
	s_cbranch_execnz .LBB310_2
	s_branch .LBB310_9
.LBB310_8:                              ;   in Loop: Header=BB310_3 Depth=1
.LBB310_9:                              ;   in Loop: Header=BB310_3 Depth=1
	s_mul_u64 s[18:19], s[8:9], s[2:3]
	s_wait_xcnt 0x0
	v_lshl_add_u64 v[34:35], s[18:19], 2, v[2:3]
	s_delay_alu instid0(VALU_DEP_1) | instskip(SKIP_3) | instid1(VALU_DEP_1)
	v_add_nc_u64_e32 v[36:37], v[34:35], v[8:9]
	global_load_b32 v38, v[36:37], off
	s_wait_loadcnt 0x0
	v_mul_f32_e32 v38, s33, v38
	v_fmac_f32_e32 v38, s30, v25
	global_store_b32 v[28:29], v38, off
	global_load_b32 v25, v[36:37], off offset:64
	s_wait_loadcnt 0x0
	v_mul_f32_e32 v25, s33, v25
	s_delay_alu instid0(VALU_DEP_1) | instskip(SKIP_4) | instid1(VALU_DEP_1)
	v_fmac_f32_e32 v25, s30, v24
	global_store_b32 v[28:29], v25, off offset:64
	global_load_b32 v24, v[36:37], off offset:128
	s_wait_loadcnt 0x0
	v_mul_f32_e32 v24, s33, v24
	v_fmac_f32_e32 v24, s30, v23
	global_store_b32 v[28:29], v24, off offset:128
	global_load_b32 v23, v[36:37], off offset:192
	s_wait_xcnt 0x1
	v_add_nc_u64_e32 v[24:25], s[16:17], v[34:35]
	s_delay_alu instid0(VALU_DEP_1) | instskip(SKIP_2) | instid1(VALU_DEP_1)
	v_add_nc_u64_e32 v[34:35], v[24:25], v[8:9]
	s_wait_loadcnt 0x0
	v_mul_f32_e32 v23, s33, v23
	v_fmac_f32_e32 v23, s30, v22
	global_store_b32 v[28:29], v23, off offset:192
	global_load_b32 v22, v[34:35], off
	s_wait_loadcnt 0x0
	s_wait_xcnt 0x1
	v_mul_f32_e32 v28, s33, v22
	v_add_nc_u64_e32 v[22:23], v[26:27], v[8:9]
	s_delay_alu instid0(VALU_DEP_2) | instskip(SKIP_4) | instid1(VALU_DEP_1)
	v_fmac_f32_e32 v28, s30, v21
	global_store_b32 v[22:23], v28, off
	global_load_b32 v21, v[34:35], off offset:64
	s_wait_loadcnt 0x0
	v_mul_f32_e32 v21, s33, v21
	v_fmac_f32_e32 v21, s30, v20
	global_store_b32 v[22:23], v21, off offset:64
	global_load_b32 v20, v[34:35], off offset:128
	s_wait_loadcnt 0x0
	v_mul_f32_e32 v20, s33, v20
	s_delay_alu instid0(VALU_DEP_1) | instskip(SKIP_4) | instid1(VALU_DEP_1)
	v_fmac_f32_e32 v20, s30, v19
	global_store_b32 v[22:23], v20, off offset:128
	global_load_b32 v19, v[34:35], off offset:192
	s_wait_xcnt 0x1
	v_add_nc_u64_e32 v[20:21], s[16:17], v[24:25]
	v_add_nc_u64_e32 v[24:25], v[20:21], v[8:9]
	s_wait_loadcnt 0x0
	v_mul_f32_e32 v19, s33, v19
	s_delay_alu instid0(VALU_DEP_1)
	v_fmac_f32_e32 v19, s30, v18
	global_store_b32 v[22:23], v19, off offset:192
	global_load_b32 v22, v[24:25], off
	v_add_nc_u64_e32 v[18:19], s[14:15], v[26:27]
	s_wait_loadcnt 0x0
	v_mul_f32_e32 v26, s33, v22
	s_delay_alu instid0(VALU_DEP_2) | instskip(NEXT) | instid1(VALU_DEP_2)
	v_add_nc_u64_e32 v[22:23], v[18:19], v[8:9]
	v_fmac_f32_e32 v26, s30, v17
	global_store_b32 v[22:23], v26, off
	global_load_b32 v17, v[24:25], off offset:64
	s_wait_loadcnt 0x0
	v_mul_f32_e32 v17, s33, v17
	s_delay_alu instid0(VALU_DEP_1) | instskip(SKIP_4) | instid1(VALU_DEP_1)
	v_fmac_f32_e32 v17, s30, v16
	global_store_b32 v[22:23], v17, off offset:64
	global_load_b32 v16, v[24:25], off offset:128
	s_wait_loadcnt 0x0
	v_mul_f32_e32 v16, s33, v16
	v_fmac_f32_e32 v16, s30, v15
	global_store_b32 v[22:23], v16, off offset:128
	global_load_b32 v15, v[24:25], off offset:192
	s_wait_xcnt 0x1
	v_add_nc_u64_e32 v[16:17], s[16:17], v[20:21]
	s_delay_alu instid0(VALU_DEP_1) | instskip(SKIP_2) | instid1(VALU_DEP_1)
	v_add_nc_u64_e32 v[16:17], v[16:17], v[8:9]
	s_wait_loadcnt 0x0
	v_mul_f32_e32 v15, s33, v15
	v_fmac_f32_e32 v15, s30, v14
	global_store_b32 v[22:23], v15, off offset:192
	global_load_b32 v20, v[16:17], off
	s_wait_xcnt 0x1
	v_add_nc_u64_e32 v[14:15], s[14:15], v[18:19]
	s_delay_alu instid0(VALU_DEP_1) | instskip(SKIP_2) | instid1(VALU_DEP_1)
	v_add_nc_u64_e32 v[14:15], v[14:15], v[8:9]
	s_wait_loadcnt 0x0
	v_mul_f32_e32 v18, s33, v20
	v_fmac_f32_e32 v18, s30, v13
	global_store_b32 v[14:15], v18, off
	global_load_b32 v13, v[16:17], off offset:64
	s_wait_loadcnt 0x0
	v_mul_f32_e32 v13, s33, v13
	s_delay_alu instid0(VALU_DEP_1) | instskip(SKIP_4) | instid1(VALU_DEP_1)
	v_fmac_f32_e32 v13, s30, v12
	global_store_b32 v[14:15], v13, off offset:64
	global_load_b32 v12, v[16:17], off offset:128
	s_wait_loadcnt 0x0
	v_mul_f32_e32 v12, s33, v12
	v_fmac_f32_e32 v12, s30, v11
	global_store_b32 v[14:15], v12, off offset:128
	global_load_b32 v11, v[16:17], off offset:192
	s_wait_loadcnt 0x0
	v_mul_f32_e32 v11, s33, v11
	s_delay_alu instid0(VALU_DEP_1)
	v_fmac_f32_e32 v11, s30, v10
	global_store_b32 v[14:15], v11, off offset:192
	s_branch .LBB310_2
.LBB310_10:
	s_sendmsg sendmsg(MSG_DEALLOC_VGPRS)
	s_endpgm
	.section	.rodata,"a",@progbits
	.p2align	6, 0x0
	.amdhsa_kernel _ZN12_GLOBAL__N_127rocblas_gemm_batched_kernelIfLi16ELi16ELi64ELi64ELi4ELi64ELi4ELi4ELi64ELc84ELc84EKfS1_fEEvlllT_PT11_llS4_llS2_PT12_llPT13_lli
		.amdhsa_group_segment_fixed_size 2048
		.amdhsa_private_segment_fixed_size 0
		.amdhsa_kernarg_size 140
		.amdhsa_user_sgpr_count 2
		.amdhsa_user_sgpr_dispatch_ptr 0
		.amdhsa_user_sgpr_queue_ptr 0
		.amdhsa_user_sgpr_kernarg_segment_ptr 1
		.amdhsa_user_sgpr_dispatch_id 0
		.amdhsa_user_sgpr_kernarg_preload_length 0
		.amdhsa_user_sgpr_kernarg_preload_offset 0
		.amdhsa_user_sgpr_private_segment_size 0
		.amdhsa_wavefront_size32 1
		.amdhsa_uses_dynamic_stack 0
		.amdhsa_enable_private_segment 0
		.amdhsa_system_sgpr_workgroup_id_x 1
		.amdhsa_system_sgpr_workgroup_id_y 1
		.amdhsa_system_sgpr_workgroup_id_z 1
		.amdhsa_system_sgpr_workgroup_info 0
		.amdhsa_system_vgpr_workitem_id 1
		.amdhsa_next_free_vgpr 74
		.amdhsa_next_free_sgpr 38
		.amdhsa_named_barrier_count 0
		.amdhsa_reserve_vcc 1
		.amdhsa_float_round_mode_32 0
		.amdhsa_float_round_mode_16_64 0
		.amdhsa_float_denorm_mode_32 3
		.amdhsa_float_denorm_mode_16_64 3
		.amdhsa_fp16_overflow 0
		.amdhsa_memory_ordered 1
		.amdhsa_forward_progress 1
		.amdhsa_inst_pref_size 19
		.amdhsa_round_robin_scheduling 0
		.amdhsa_exception_fp_ieee_invalid_op 0
		.amdhsa_exception_fp_denorm_src 0
		.amdhsa_exception_fp_ieee_div_zero 0
		.amdhsa_exception_fp_ieee_overflow 0
		.amdhsa_exception_fp_ieee_underflow 0
		.amdhsa_exception_fp_ieee_inexact 0
		.amdhsa_exception_int_div_zero 0
	.end_amdhsa_kernel
	.section	.text._ZN12_GLOBAL__N_127rocblas_gemm_batched_kernelIfLi16ELi16ELi64ELi64ELi4ELi64ELi4ELi4ELi64ELc84ELc84EKfS1_fEEvlllT_PT11_llS4_llS2_PT12_llPT13_lli,"axG",@progbits,_ZN12_GLOBAL__N_127rocblas_gemm_batched_kernelIfLi16ELi16ELi64ELi64ELi4ELi64ELi4ELi4ELi64ELc84ELc84EKfS1_fEEvlllT_PT11_llS4_llS2_PT12_llPT13_lli,comdat
.Lfunc_end310:
	.size	_ZN12_GLOBAL__N_127rocblas_gemm_batched_kernelIfLi16ELi16ELi64ELi64ELi4ELi64ELi4ELi4ELi64ELc84ELc84EKfS1_fEEvlllT_PT11_llS4_llS2_PT12_llPT13_lli, .Lfunc_end310-_ZN12_GLOBAL__N_127rocblas_gemm_batched_kernelIfLi16ELi16ELi64ELi64ELi4ELi64ELi4ELi4ELi64ELc84ELc84EKfS1_fEEvlllT_PT11_llS4_llS2_PT12_llPT13_lli
                                        ; -- End function
	.set _ZN12_GLOBAL__N_127rocblas_gemm_batched_kernelIfLi16ELi16ELi64ELi64ELi4ELi64ELi4ELi4ELi64ELc84ELc84EKfS1_fEEvlllT_PT11_llS4_llS2_PT12_llPT13_lli.num_vgpr, 74
	.set _ZN12_GLOBAL__N_127rocblas_gemm_batched_kernelIfLi16ELi16ELi64ELi64ELi4ELi64ELi4ELi4ELi64ELc84ELc84EKfS1_fEEvlllT_PT11_llS4_llS2_PT12_llPT13_lli.num_agpr, 0
	.set _ZN12_GLOBAL__N_127rocblas_gemm_batched_kernelIfLi16ELi16ELi64ELi64ELi4ELi64ELi4ELi4ELi64ELc84ELc84EKfS1_fEEvlllT_PT11_llS4_llS2_PT12_llPT13_lli.numbered_sgpr, 38
	.set _ZN12_GLOBAL__N_127rocblas_gemm_batched_kernelIfLi16ELi16ELi64ELi64ELi4ELi64ELi4ELi4ELi64ELc84ELc84EKfS1_fEEvlllT_PT11_llS4_llS2_PT12_llPT13_lli.num_named_barrier, 0
	.set _ZN12_GLOBAL__N_127rocblas_gemm_batched_kernelIfLi16ELi16ELi64ELi64ELi4ELi64ELi4ELi4ELi64ELc84ELc84EKfS1_fEEvlllT_PT11_llS4_llS2_PT12_llPT13_lli.private_seg_size, 0
	.set _ZN12_GLOBAL__N_127rocblas_gemm_batched_kernelIfLi16ELi16ELi64ELi64ELi4ELi64ELi4ELi4ELi64ELc84ELc84EKfS1_fEEvlllT_PT11_llS4_llS2_PT12_llPT13_lli.uses_vcc, 1
	.set _ZN12_GLOBAL__N_127rocblas_gemm_batched_kernelIfLi16ELi16ELi64ELi64ELi4ELi64ELi4ELi4ELi64ELc84ELc84EKfS1_fEEvlllT_PT11_llS4_llS2_PT12_llPT13_lli.uses_flat_scratch, 0
	.set _ZN12_GLOBAL__N_127rocblas_gemm_batched_kernelIfLi16ELi16ELi64ELi64ELi4ELi64ELi4ELi4ELi64ELc84ELc84EKfS1_fEEvlllT_PT11_llS4_llS2_PT12_llPT13_lli.has_dyn_sized_stack, 0
	.set _ZN12_GLOBAL__N_127rocblas_gemm_batched_kernelIfLi16ELi16ELi64ELi64ELi4ELi64ELi4ELi4ELi64ELc84ELc84EKfS1_fEEvlllT_PT11_llS4_llS2_PT12_llPT13_lli.has_recursion, 0
	.set _ZN12_GLOBAL__N_127rocblas_gemm_batched_kernelIfLi16ELi16ELi64ELi64ELi4ELi64ELi4ELi4ELi64ELc84ELc84EKfS1_fEEvlllT_PT11_llS4_llS2_PT12_llPT13_lli.has_indirect_call, 0
	.section	.AMDGPU.csdata,"",@progbits
; Kernel info:
; codeLenInByte = 2324
; TotalNumSgprs: 40
; NumVgprs: 74
; ScratchSize: 0
; MemoryBound: 0
; FloatMode: 240
; IeeeMode: 1
; LDSByteSize: 2048 bytes/workgroup (compile time only)
; SGPRBlocks: 0
; VGPRBlocks: 4
; NumSGPRsForWavesPerEU: 40
; NumVGPRsForWavesPerEU: 74
; NamedBarCnt: 0
; Occupancy: 12
; WaveLimiterHint : 0
; COMPUTE_PGM_RSRC2:SCRATCH_EN: 0
; COMPUTE_PGM_RSRC2:USER_SGPR: 2
; COMPUTE_PGM_RSRC2:TRAP_HANDLER: 0
; COMPUTE_PGM_RSRC2:TGID_X_EN: 1
; COMPUTE_PGM_RSRC2:TGID_Y_EN: 1
; COMPUTE_PGM_RSRC2:TGID_Z_EN: 1
; COMPUTE_PGM_RSRC2:TIDIG_COMP_CNT: 1
	.section	.text._ZN12_GLOBAL__N_127rocblas_gemm_batched_kernelIfLi16ELi16ELi64ELi64ELi4ELi64ELi4ELi4ELi64ELc67ELc67EKfS1_fEEvlllT_PT11_llS4_llS2_PT12_llPT13_lli,"axG",@progbits,_ZN12_GLOBAL__N_127rocblas_gemm_batched_kernelIfLi16ELi16ELi64ELi64ELi4ELi64ELi4ELi4ELi64ELc67ELc67EKfS1_fEEvlllT_PT11_llS4_llS2_PT12_llPT13_lli,comdat
	.globl	_ZN12_GLOBAL__N_127rocblas_gemm_batched_kernelIfLi16ELi16ELi64ELi64ELi4ELi64ELi4ELi4ELi64ELc67ELc67EKfS1_fEEvlllT_PT11_llS4_llS2_PT12_llPT13_lli ; -- Begin function _ZN12_GLOBAL__N_127rocblas_gemm_batched_kernelIfLi16ELi16ELi64ELi64ELi4ELi64ELi4ELi4ELi64ELc67ELc67EKfS1_fEEvlllT_PT11_llS4_llS2_PT12_llPT13_lli
	.p2align	8
	.type	_ZN12_GLOBAL__N_127rocblas_gemm_batched_kernelIfLi16ELi16ELi64ELi64ELi4ELi64ELi4ELi4ELi64ELc67ELc67EKfS1_fEEvlllT_PT11_llS4_llS2_PT12_llPT13_lli,@function
_ZN12_GLOBAL__N_127rocblas_gemm_batched_kernelIfLi16ELi16ELi64ELi64ELi4ELi64ELi4ELi4ELi64ELc67ELc67EKfS1_fEEvlllT_PT11_llS4_llS2_PT12_llPT13_lli: ; @_ZN12_GLOBAL__N_127rocblas_gemm_batched_kernelIfLi16ELi16ELi64ELi64ELi4ELi64ELi4ELi4ELi64ELc67ELc67EKfS1_fEEvlllT_PT11_llS4_llS2_PT12_llPT13_lli
; %bb.0:
	s_load_b32 s31, s[0:1], 0x88
	s_bfe_u32 s2, ttmp6, 0x40014
	s_lshr_b32 s3, ttmp7, 16
	s_add_co_i32 s2, s2, 1
	s_bfe_u32 s4, ttmp6, 0x40008
	s_mul_i32 s2, s3, s2
	s_getreg_b32 s20, hwreg(HW_REG_IB_STS2, 6, 4)
	s_add_co_i32 s4, s4, s2
	s_cmp_eq_u32 s20, 0
	s_cselect_b32 s2, s3, s4
	s_mov_b32 s3, 0
	s_wait_kmcnt 0x0
	s_cmp_ge_i32 s2, s31
	s_cbranch_scc1 .LBB311_10
; %bb.1:
	s_bfe_u32 s21, ttmp6, 0x4000c
	s_bfe_u32 s23, ttmp6, 0x40010
	s_add_co_i32 s21, s21, 1
	s_and_b32 s28, ttmp7, 0xffff
	s_add_co_i32 s23, s23, 1
	v_bfe_u32 v4, v0, 10, 10
	s_and_b32 s22, ttmp6, 15
	s_mul_i32 s21, ttmp9, s21
	s_mul_i32 s23, s28, s23
	s_bfe_u32 s29, ttmp6, 0x40004
	s_add_co_i32 s22, s22, s21
	s_add_co_i32 s29, s29, s23
	s_cmp_eq_u32 s20, 0
	v_and_b32_e32 v2, 0x3ff, v0
	v_dual_mov_b32 v5, 0 :: v_dual_lshlrev_b32 v16, 4, v4
	s_cselect_b32 s20, ttmp9, s22
	s_clause 0x2
	s_load_b256 s[12:19], s[0:1], 0x20
	s_load_b128 s[24:27], s[0:1], 0x40
	s_load_b256 s[4:11], s[0:1], 0x58
	s_cselect_b32 s22, s28, s29
	s_ashr_i32 s21, s20, 31
	s_lshl_b32 s34, s22, 6
	s_lshl_b64 s[36:37], s[20:21], 6
	v_add_nc_u32_e32 v1, v16, v2
	s_load_b128 s[20:23], s[0:1], 0x78
	s_mov_b32 s35, s3
	v_mov_b32_e32 v9, s37
	v_add_nc_u64_e32 v[6:7], s[34:35], v[4:5]
	v_and_b32_e32 v3, 63, v1
	s_clause 0x1
	s_load_b32 s33, s[0:1], 0x50
	s_load_b96 s[28:30], s[0:1], 0x10
	v_add_nc_u32_e32 v33, 0x400, v16
	v_dual_lshlrev_b32 v32, 2, v2 :: v_dual_bitop2_b32 v8, s36, v3 bitop3:0x54
	v_dual_lshrrev_b32 v10, 2, v1 :: v_dual_bitop2_b32 v4, 3, v0 bitop3:0x40
	v_mov_b32_e32 v11, v5
	s_wait_kmcnt 0x0
	s_delay_alu instid0(VALU_DEP_3)
	v_mul_u64_e32 v[8:9], s[14:15], v[8:9]
	v_mul_u64_e32 v[12:13], s[6:7], v[6:7]
	v_lshlrev_b32_e32 v17, 2, v4
	v_mad_nc_u64_u32 v[14:15], s24, v4, v[10:11]
	v_lshrrev_b32_e32 v11, 6, v1
	v_mul_u64_e32 v[0:1], s[20:21], v[6:7]
	v_dual_mov_b32 v3, v5 :: v_dual_lshlrev_b32 v6, 2, v3
	s_cmp_eq_f32 s33, 0
	v_cmp_gt_i64_e64 s0, s[28:29], 0
	s_delay_alu instid0(VALU_DEP_2)
	v_lshl_or_b32 v30, v11, 8, v6
	v_mad_u32 v15, s25, v4, v15
	v_lshl_or_b32 v4, v10, 4, v17
	s_cselect_b32 s1, -1, 0
	s_lshl_b64 s[14:15], s[20:21], 4
	s_lshl_b64 s[20:21], s[6:7], 4
	;; [unrolled: 1-line block ×3, first 2 shown]
	v_add_nc_u32_e32 v31, 0x400, v4
	v_lshlrev_b32_e32 v4, 2, v11
	v_add_nc_u64_e32 v[10:11], s[36:37], v[2:3]
	s_lshl_b64 s[14:15], s[14:15], 2
	v_add_nc_u64_e32 v[6:7], s[34:35], v[14:15]
	s_delay_alu instid0(VALU_DEP_3) | instskip(SKIP_2) | instid1(VALU_DEP_4)
	v_lshl_add_u64 v[8:9], v[8:9], 2, v[4:5]
	v_lshl_add_u64 v[2:3], v[12:13], 2, s[4:5]
	v_cndmask_b32_e64 v12, 0, 1, s0
	v_lshl_add_u64 v[4:5], v[6:7], 2, s[18:19]
	s_lshl_b64 s[4:5], s[26:27], 2
	v_add_nc_u64_e32 v[6:7], s[12:13], v[8:9]
	v_lshlrev_b64_e32 v[8:9], 2, v[10:11]
	v_cmp_ne_u32_e64 s0, 1, v12
	s_lshl_b64 s[12:13], s[16:17], 2
	s_lshl_b64 s[16:17], s[20:21], 2
	s_branch .LBB311_3
.LBB311_2:                              ;   in Loop: Header=BB311_3 Depth=1
	s_add_co_i32 s2, s2, 0x10000
	s_delay_alu instid0(SALU_CYCLE_1)
	s_cmp_lt_i32 s2, s31
	s_cbranch_scc0 .LBB311_10
.LBB311_3:                              ; =>This Loop Header: Depth=1
                                        ;     Child Loop BB311_5 Depth 2
	v_dual_mov_b32 v25, 0 :: v_dual_mov_b32 v24, 0
	v_dual_mov_b32 v23, 0 :: v_dual_mov_b32 v22, 0
	;; [unrolled: 1-line block ×3, first 2 shown]
	s_wait_xcnt 0x6
	v_dual_mov_b32 v19, 0 :: v_dual_mov_b32 v18, 0
	s_wait_xcnt 0x1
	v_dual_mov_b32 v17, 0 :: v_dual_mov_b32 v16, 0
	;; [unrolled: 2-line block ×3, first 2 shown]
	v_dual_mov_b32 v13, 0 :: v_dual_mov_b32 v12, 0
	v_dual_mov_b32 v11, 0 :: v_dual_mov_b32 v10, 0
	s_and_b32 vcc_lo, exec_lo, s0
	s_cbranch_vccnz .LBB311_6
; %bb.4:                                ;   in Loop: Header=BB311_3 Depth=1
	v_mad_nc_u64_u32 v[26:27], s4, s2, v[4:5]
	v_mad_nc_u64_u32 v[28:29], s12, s2, v[6:7]
	v_mov_b32_e32 v10, 0
	s_mov_b64 s[18:19], 0
	s_delay_alu instid0(VALU_DEP_1)
	v_dual_mov_b32 v11, v10 :: v_dual_mov_b32 v12, v10
	v_dual_mov_b32 v13, v10 :: v_dual_mov_b32 v14, v10
	v_mad_u32 v27, s5, s2, v27
	v_mad_u32 v29, s13, s2, v29
	v_dual_mov_b32 v15, v10 :: v_dual_mov_b32 v16, v10
	v_dual_mov_b32 v17, v10 :: v_dual_mov_b32 v18, v10
	;; [unrolled: 1-line block ×5, first 2 shown]
	v_mov_b32_e32 v25, v10
.LBB311_5:                              ;   Parent Loop BB311_3 Depth=1
                                        ; =>  This Inner Loop Header: Depth=2
	global_load_b32 v34, v[28:29], off
	global_load_b32 v35, v[26:27], off
	s_add_nc_u64 s[18:19], s[18:19], 4
	s_wait_xcnt 0x0
	v_add_nc_u64_e32 v[26:27], s[6:7], v[26:27]
	v_cmp_lt_i64_e64 s20, s[18:19], s[28:29]
	v_add_nc_u64_e32 v[28:29], 16, v[28:29]
	s_wait_loadcnt 0x1
	ds_store_b32 v30, v34
	s_wait_loadcnt 0x0
	ds_store_b32 v31, v35
	s_wait_dscnt 0x0
	s_barrier_signal -1
	s_barrier_wait -1
	ds_load_2addr_b32 v[50:51], v32 offset1:16
	ds_load_2addr_b32 v[52:53], v32 offset0:64 offset1:80
	ds_load_2addr_b32 v[54:55], v32 offset0:128 offset1:144
	;; [unrolled: 1-line block ×6, first 2 shown]
	ds_load_b128 v[34:37], v33
	ds_load_b128 v[38:41], v33 offset:256
	ds_load_2addr_b32 v[64:65], v32 offset0:224 offset1:240
	ds_load_b128 v[42:45], v33 offset:512
	ds_load_b128 v[46:49], v33 offset:768
	s_and_b32 vcc_lo, exec_lo, s20
	s_wait_dscnt 0x0
	s_barrier_signal -1
	s_barrier_wait -1
	v_dual_mov_b32 v66, v51 :: v_dual_mov_b32 v67, v50
	v_dual_mov_b32 v50, v53 :: v_dual_mov_b32 v51, v52
	v_dual_mov_b32 v52, v55 :: v_dual_mov_b32 v53, v54
	v_dual_mov_b32 v54, v57 :: v_dual_mov_b32 v55, v56
	v_dual_mov_b32 v56, v59 :: v_dual_mov_b32 v57, v58
	v_dual_mov_b32 v58, v61 :: v_dual_mov_b32 v59, v60
	v_pk_fma_f32 v[24:25], v[66:67], v[34:35], v[24:25] op_sel_hi:[1,0,1]
	v_pk_fma_f32 v[20:21], v[66:67], v[38:39], v[20:21] op_sel_hi:[1,0,1]
	s_delay_alu instid0(VALU_DEP_4)
	v_pk_fma_f32 v[22:23], v[56:57], v[34:35], v[22:23] op_sel_hi:[1,0,1]
	v_pk_fma_f32 v[16:17], v[66:67], v[42:43], v[16:17] op_sel_hi:[1,0,1]
	;; [unrolled: 1-line block ×6, first 2 shown]
	v_dual_mov_b32 v60, v63 :: v_dual_mov_b32 v61, v62
	v_pk_fma_f32 v[24:25], v[50:51], v[34:35], v[24:25] op_sel:[0,1,0]
	v_pk_fma_f32 v[22:23], v[58:59], v[34:35], v[22:23] op_sel:[0,1,0]
	;; [unrolled: 1-line block ×8, first 2 shown]
	v_dual_mov_b32 v62, v37 :: v_dual_mov_b32 v68, v65
	v_dual_mov_b32 v69, v64 :: v_dual_mov_b32 v64, v41
	;; [unrolled: 1-line block ×3, first 2 shown]
	v_pk_fma_f32 v[24:25], v[52:53], v[36:37], v[24:25] op_sel_hi:[1,0,1]
	v_pk_fma_f32 v[22:23], v[60:61], v[36:37], v[22:23] op_sel_hi:[1,0,1]
	;; [unrolled: 1-line block ×16, first 2 shown]
	s_cbranch_vccnz .LBB311_5
.LBB311_6:                              ;   in Loop: Header=BB311_3 Depth=1
	s_mul_u64 s[18:19], s[22:23], s[2:3]
	s_and_not1_b32 vcc_lo, exec_lo, s1
	s_lshl_b64 s[18:19], s[18:19], 2
	s_delay_alu instid0(SALU_CYCLE_1) | instskip(NEXT) | instid1(SALU_CYCLE_1)
	s_add_nc_u64 s[18:19], s[10:11], s[18:19]
	v_lshl_add_u64 v[26:27], v[0:1], 2, s[18:19]
	s_delay_alu instid0(VALU_DEP_1)
	v_add_nc_u64_e32 v[28:29], v[26:27], v[8:9]
	v_add_nc_u64_e32 v[26:27], s[14:15], v[26:27]
	s_cbranch_vccnz .LBB311_8
; %bb.7:                                ;   in Loop: Header=BB311_3 Depth=1
	v_dual_mul_f32 v36, s30, v25 :: v_dual_mul_f32 v37, s30, v24
	s_delay_alu instid0(VALU_DEP_2)
	v_add_nc_u64_e32 v[34:35], s[14:15], v[26:27]
	v_dual_mul_f32 v38, s30, v23 :: v_dual_mul_f32 v39, s30, v22
	s_clause 0x3
	global_store_b32 v[28:29], v36, off
	global_store_b32 v[28:29], v37, off offset:64
	global_store_b32 v[28:29], v38, off offset:128
	;; [unrolled: 1-line block ×3, first 2 shown]
	s_wait_xcnt 0x2
	v_add_nc_u64_e32 v[36:37], v[26:27], v[8:9]
	v_dual_mul_f32 v40, s30, v21 :: v_dual_mul_f32 v41, s30, v20
	s_wait_xcnt 0x0
	v_add_nc_u64_e32 v[38:39], v[34:35], v[8:9]
	v_add_nc_u64_e32 v[34:35], s[14:15], v[34:35]
	v_dual_mul_f32 v42, s30, v19 :: v_dual_mul_f32 v43, s30, v18
	s_clause 0x3
	global_store_b32 v[36:37], v40, off
	global_store_b32 v[36:37], v41, off offset:64
	global_store_b32 v[36:37], v42, off offset:128
	;; [unrolled: 1-line block ×3, first 2 shown]
	s_wait_xcnt 0x0
	v_dual_mul_f32 v36, s30, v17 :: v_dual_mul_f32 v37, s30, v16
	v_dual_mul_f32 v40, s30, v15 :: v_dual_mul_f32 v41, s30, v14
	v_add_nc_u64_e32 v[34:35], v[34:35], v[8:9]
	s_clause 0x3
	global_store_b32 v[38:39], v36, off
	global_store_b32 v[38:39], v37, off offset:64
	global_store_b32 v[38:39], v40, off offset:128
	;; [unrolled: 1-line block ×3, first 2 shown]
	s_wait_xcnt 0x2
	v_dual_mul_f32 v36, s30, v13 :: v_dual_mul_f32 v37, s30, v12
	s_wait_xcnt 0x0
	v_dual_mul_f32 v38, s30, v11 :: v_dual_mul_f32 v39, s30, v10
	s_clause 0x3
	global_store_b32 v[34:35], v36, off
	global_store_b32 v[34:35], v37, off offset:64
	global_store_b32 v[34:35], v38, off offset:128
	;; [unrolled: 1-line block ×3, first 2 shown]
	s_cbranch_execnz .LBB311_2
	s_branch .LBB311_9
.LBB311_8:                              ;   in Loop: Header=BB311_3 Depth=1
.LBB311_9:                              ;   in Loop: Header=BB311_3 Depth=1
	s_mul_u64 s[18:19], s[8:9], s[2:3]
	s_wait_xcnt 0x0
	v_lshl_add_u64 v[34:35], s[18:19], 2, v[2:3]
	s_delay_alu instid0(VALU_DEP_1) | instskip(SKIP_3) | instid1(VALU_DEP_1)
	v_add_nc_u64_e32 v[36:37], v[34:35], v[8:9]
	global_load_b32 v38, v[36:37], off
	s_wait_loadcnt 0x0
	v_mul_f32_e32 v38, s33, v38
	v_fmac_f32_e32 v38, s30, v25
	global_store_b32 v[28:29], v38, off
	global_load_b32 v25, v[36:37], off offset:64
	s_wait_loadcnt 0x0
	v_mul_f32_e32 v25, s33, v25
	s_delay_alu instid0(VALU_DEP_1) | instskip(SKIP_4) | instid1(VALU_DEP_1)
	v_fmac_f32_e32 v25, s30, v24
	global_store_b32 v[28:29], v25, off offset:64
	global_load_b32 v24, v[36:37], off offset:128
	s_wait_loadcnt 0x0
	v_mul_f32_e32 v24, s33, v24
	v_fmac_f32_e32 v24, s30, v23
	global_store_b32 v[28:29], v24, off offset:128
	global_load_b32 v23, v[36:37], off offset:192
	s_wait_xcnt 0x1
	v_add_nc_u64_e32 v[24:25], s[16:17], v[34:35]
	s_delay_alu instid0(VALU_DEP_1) | instskip(SKIP_2) | instid1(VALU_DEP_1)
	v_add_nc_u64_e32 v[34:35], v[24:25], v[8:9]
	s_wait_loadcnt 0x0
	v_mul_f32_e32 v23, s33, v23
	v_fmac_f32_e32 v23, s30, v22
	global_store_b32 v[28:29], v23, off offset:192
	global_load_b32 v22, v[34:35], off
	s_wait_loadcnt 0x0
	s_wait_xcnt 0x1
	v_mul_f32_e32 v28, s33, v22
	v_add_nc_u64_e32 v[22:23], v[26:27], v[8:9]
	s_delay_alu instid0(VALU_DEP_2) | instskip(SKIP_4) | instid1(VALU_DEP_1)
	v_fmac_f32_e32 v28, s30, v21
	global_store_b32 v[22:23], v28, off
	global_load_b32 v21, v[34:35], off offset:64
	s_wait_loadcnt 0x0
	v_mul_f32_e32 v21, s33, v21
	v_fmac_f32_e32 v21, s30, v20
	global_store_b32 v[22:23], v21, off offset:64
	global_load_b32 v20, v[34:35], off offset:128
	s_wait_loadcnt 0x0
	v_mul_f32_e32 v20, s33, v20
	s_delay_alu instid0(VALU_DEP_1) | instskip(SKIP_4) | instid1(VALU_DEP_1)
	v_fmac_f32_e32 v20, s30, v19
	global_store_b32 v[22:23], v20, off offset:128
	global_load_b32 v19, v[34:35], off offset:192
	s_wait_xcnt 0x1
	v_add_nc_u64_e32 v[20:21], s[16:17], v[24:25]
	v_add_nc_u64_e32 v[24:25], v[20:21], v[8:9]
	s_wait_loadcnt 0x0
	v_mul_f32_e32 v19, s33, v19
	s_delay_alu instid0(VALU_DEP_1)
	v_fmac_f32_e32 v19, s30, v18
	global_store_b32 v[22:23], v19, off offset:192
	global_load_b32 v22, v[24:25], off
	v_add_nc_u64_e32 v[18:19], s[14:15], v[26:27]
	s_wait_loadcnt 0x0
	v_mul_f32_e32 v26, s33, v22
	s_delay_alu instid0(VALU_DEP_2) | instskip(NEXT) | instid1(VALU_DEP_2)
	v_add_nc_u64_e32 v[22:23], v[18:19], v[8:9]
	v_fmac_f32_e32 v26, s30, v17
	global_store_b32 v[22:23], v26, off
	global_load_b32 v17, v[24:25], off offset:64
	s_wait_loadcnt 0x0
	v_mul_f32_e32 v17, s33, v17
	s_delay_alu instid0(VALU_DEP_1) | instskip(SKIP_4) | instid1(VALU_DEP_1)
	v_fmac_f32_e32 v17, s30, v16
	global_store_b32 v[22:23], v17, off offset:64
	global_load_b32 v16, v[24:25], off offset:128
	s_wait_loadcnt 0x0
	v_mul_f32_e32 v16, s33, v16
	v_fmac_f32_e32 v16, s30, v15
	global_store_b32 v[22:23], v16, off offset:128
	global_load_b32 v15, v[24:25], off offset:192
	s_wait_xcnt 0x1
	v_add_nc_u64_e32 v[16:17], s[16:17], v[20:21]
	s_delay_alu instid0(VALU_DEP_1) | instskip(SKIP_2) | instid1(VALU_DEP_1)
	v_add_nc_u64_e32 v[16:17], v[16:17], v[8:9]
	s_wait_loadcnt 0x0
	v_mul_f32_e32 v15, s33, v15
	v_fmac_f32_e32 v15, s30, v14
	global_store_b32 v[22:23], v15, off offset:192
	global_load_b32 v20, v[16:17], off
	s_wait_xcnt 0x1
	v_add_nc_u64_e32 v[14:15], s[14:15], v[18:19]
	s_delay_alu instid0(VALU_DEP_1) | instskip(SKIP_2) | instid1(VALU_DEP_1)
	v_add_nc_u64_e32 v[14:15], v[14:15], v[8:9]
	s_wait_loadcnt 0x0
	v_mul_f32_e32 v18, s33, v20
	v_fmac_f32_e32 v18, s30, v13
	global_store_b32 v[14:15], v18, off
	global_load_b32 v13, v[16:17], off offset:64
	s_wait_loadcnt 0x0
	v_mul_f32_e32 v13, s33, v13
	s_delay_alu instid0(VALU_DEP_1) | instskip(SKIP_4) | instid1(VALU_DEP_1)
	v_fmac_f32_e32 v13, s30, v12
	global_store_b32 v[14:15], v13, off offset:64
	global_load_b32 v12, v[16:17], off offset:128
	s_wait_loadcnt 0x0
	v_mul_f32_e32 v12, s33, v12
	v_fmac_f32_e32 v12, s30, v11
	global_store_b32 v[14:15], v12, off offset:128
	global_load_b32 v11, v[16:17], off offset:192
	s_wait_loadcnt 0x0
	v_mul_f32_e32 v11, s33, v11
	s_delay_alu instid0(VALU_DEP_1)
	v_fmac_f32_e32 v11, s30, v10
	global_store_b32 v[14:15], v11, off offset:192
	s_branch .LBB311_2
.LBB311_10:
	s_sendmsg sendmsg(MSG_DEALLOC_VGPRS)
	s_endpgm
	.section	.rodata,"a",@progbits
	.p2align	6, 0x0
	.amdhsa_kernel _ZN12_GLOBAL__N_127rocblas_gemm_batched_kernelIfLi16ELi16ELi64ELi64ELi4ELi64ELi4ELi4ELi64ELc67ELc67EKfS1_fEEvlllT_PT11_llS4_llS2_PT12_llPT13_lli
		.amdhsa_group_segment_fixed_size 2048
		.amdhsa_private_segment_fixed_size 0
		.amdhsa_kernarg_size 140
		.amdhsa_user_sgpr_count 2
		.amdhsa_user_sgpr_dispatch_ptr 0
		.amdhsa_user_sgpr_queue_ptr 0
		.amdhsa_user_sgpr_kernarg_segment_ptr 1
		.amdhsa_user_sgpr_dispatch_id 0
		.amdhsa_user_sgpr_kernarg_preload_length 0
		.amdhsa_user_sgpr_kernarg_preload_offset 0
		.amdhsa_user_sgpr_private_segment_size 0
		.amdhsa_wavefront_size32 1
		.amdhsa_uses_dynamic_stack 0
		.amdhsa_enable_private_segment 0
		.amdhsa_system_sgpr_workgroup_id_x 1
		.amdhsa_system_sgpr_workgroup_id_y 1
		.amdhsa_system_sgpr_workgroup_id_z 1
		.amdhsa_system_sgpr_workgroup_info 0
		.amdhsa_system_vgpr_workitem_id 1
		.amdhsa_next_free_vgpr 74
		.amdhsa_next_free_sgpr 38
		.amdhsa_named_barrier_count 0
		.amdhsa_reserve_vcc 1
		.amdhsa_float_round_mode_32 0
		.amdhsa_float_round_mode_16_64 0
		.amdhsa_float_denorm_mode_32 3
		.amdhsa_float_denorm_mode_16_64 3
		.amdhsa_fp16_overflow 0
		.amdhsa_memory_ordered 1
		.amdhsa_forward_progress 1
		.amdhsa_inst_pref_size 19
		.amdhsa_round_robin_scheduling 0
		.amdhsa_exception_fp_ieee_invalid_op 0
		.amdhsa_exception_fp_denorm_src 0
		.amdhsa_exception_fp_ieee_div_zero 0
		.amdhsa_exception_fp_ieee_overflow 0
		.amdhsa_exception_fp_ieee_underflow 0
		.amdhsa_exception_fp_ieee_inexact 0
		.amdhsa_exception_int_div_zero 0
	.end_amdhsa_kernel
	.section	.text._ZN12_GLOBAL__N_127rocblas_gemm_batched_kernelIfLi16ELi16ELi64ELi64ELi4ELi64ELi4ELi4ELi64ELc67ELc67EKfS1_fEEvlllT_PT11_llS4_llS2_PT12_llPT13_lli,"axG",@progbits,_ZN12_GLOBAL__N_127rocblas_gemm_batched_kernelIfLi16ELi16ELi64ELi64ELi4ELi64ELi4ELi4ELi64ELc67ELc67EKfS1_fEEvlllT_PT11_llS4_llS2_PT12_llPT13_lli,comdat
.Lfunc_end311:
	.size	_ZN12_GLOBAL__N_127rocblas_gemm_batched_kernelIfLi16ELi16ELi64ELi64ELi4ELi64ELi4ELi4ELi64ELc67ELc67EKfS1_fEEvlllT_PT11_llS4_llS2_PT12_llPT13_lli, .Lfunc_end311-_ZN12_GLOBAL__N_127rocblas_gemm_batched_kernelIfLi16ELi16ELi64ELi64ELi4ELi64ELi4ELi4ELi64ELc67ELc67EKfS1_fEEvlllT_PT11_llS4_llS2_PT12_llPT13_lli
                                        ; -- End function
	.set _ZN12_GLOBAL__N_127rocblas_gemm_batched_kernelIfLi16ELi16ELi64ELi64ELi4ELi64ELi4ELi4ELi64ELc67ELc67EKfS1_fEEvlllT_PT11_llS4_llS2_PT12_llPT13_lli.num_vgpr, 74
	.set _ZN12_GLOBAL__N_127rocblas_gemm_batched_kernelIfLi16ELi16ELi64ELi64ELi4ELi64ELi4ELi4ELi64ELc67ELc67EKfS1_fEEvlllT_PT11_llS4_llS2_PT12_llPT13_lli.num_agpr, 0
	.set _ZN12_GLOBAL__N_127rocblas_gemm_batched_kernelIfLi16ELi16ELi64ELi64ELi4ELi64ELi4ELi4ELi64ELc67ELc67EKfS1_fEEvlllT_PT11_llS4_llS2_PT12_llPT13_lli.numbered_sgpr, 38
	.set _ZN12_GLOBAL__N_127rocblas_gemm_batched_kernelIfLi16ELi16ELi64ELi64ELi4ELi64ELi4ELi4ELi64ELc67ELc67EKfS1_fEEvlllT_PT11_llS4_llS2_PT12_llPT13_lli.num_named_barrier, 0
	.set _ZN12_GLOBAL__N_127rocblas_gemm_batched_kernelIfLi16ELi16ELi64ELi64ELi4ELi64ELi4ELi4ELi64ELc67ELc67EKfS1_fEEvlllT_PT11_llS4_llS2_PT12_llPT13_lli.private_seg_size, 0
	.set _ZN12_GLOBAL__N_127rocblas_gemm_batched_kernelIfLi16ELi16ELi64ELi64ELi4ELi64ELi4ELi4ELi64ELc67ELc67EKfS1_fEEvlllT_PT11_llS4_llS2_PT12_llPT13_lli.uses_vcc, 1
	.set _ZN12_GLOBAL__N_127rocblas_gemm_batched_kernelIfLi16ELi16ELi64ELi64ELi4ELi64ELi4ELi4ELi64ELc67ELc67EKfS1_fEEvlllT_PT11_llS4_llS2_PT12_llPT13_lli.uses_flat_scratch, 0
	.set _ZN12_GLOBAL__N_127rocblas_gemm_batched_kernelIfLi16ELi16ELi64ELi64ELi4ELi64ELi4ELi4ELi64ELc67ELc67EKfS1_fEEvlllT_PT11_llS4_llS2_PT12_llPT13_lli.has_dyn_sized_stack, 0
	.set _ZN12_GLOBAL__N_127rocblas_gemm_batched_kernelIfLi16ELi16ELi64ELi64ELi4ELi64ELi4ELi4ELi64ELc67ELc67EKfS1_fEEvlllT_PT11_llS4_llS2_PT12_llPT13_lli.has_recursion, 0
	.set _ZN12_GLOBAL__N_127rocblas_gemm_batched_kernelIfLi16ELi16ELi64ELi64ELi4ELi64ELi4ELi4ELi64ELc67ELc67EKfS1_fEEvlllT_PT11_llS4_llS2_PT12_llPT13_lli.has_indirect_call, 0
	.section	.AMDGPU.csdata,"",@progbits
; Kernel info:
; codeLenInByte = 2324
; TotalNumSgprs: 40
; NumVgprs: 74
; ScratchSize: 0
; MemoryBound: 0
; FloatMode: 240
; IeeeMode: 1
; LDSByteSize: 2048 bytes/workgroup (compile time only)
; SGPRBlocks: 0
; VGPRBlocks: 4
; NumSGPRsForWavesPerEU: 40
; NumVGPRsForWavesPerEU: 74
; NamedBarCnt: 0
; Occupancy: 12
; WaveLimiterHint : 0
; COMPUTE_PGM_RSRC2:SCRATCH_EN: 0
; COMPUTE_PGM_RSRC2:USER_SGPR: 2
; COMPUTE_PGM_RSRC2:TRAP_HANDLER: 0
; COMPUTE_PGM_RSRC2:TGID_X_EN: 1
; COMPUTE_PGM_RSRC2:TGID_Y_EN: 1
; COMPUTE_PGM_RSRC2:TGID_Z_EN: 1
; COMPUTE_PGM_RSRC2:TIDIG_COMP_CNT: 1
	.section	.text._ZN12_GLOBAL__N_127rocblas_gemm_batched_kernelIfLi16ELi16ELi64ELi64ELi4ELi64ELi4ELi4ELi64ELc67ELc78EKfS1_fEEvlllT_PT11_llS4_llS2_PT12_llPT13_lli,"axG",@progbits,_ZN12_GLOBAL__N_127rocblas_gemm_batched_kernelIfLi16ELi16ELi64ELi64ELi4ELi64ELi4ELi4ELi64ELc67ELc78EKfS1_fEEvlllT_PT11_llS4_llS2_PT12_llPT13_lli,comdat
	.globl	_ZN12_GLOBAL__N_127rocblas_gemm_batched_kernelIfLi16ELi16ELi64ELi64ELi4ELi64ELi4ELi4ELi64ELc67ELc78EKfS1_fEEvlllT_PT11_llS4_llS2_PT12_llPT13_lli ; -- Begin function _ZN12_GLOBAL__N_127rocblas_gemm_batched_kernelIfLi16ELi16ELi64ELi64ELi4ELi64ELi4ELi4ELi64ELc67ELc78EKfS1_fEEvlllT_PT11_llS4_llS2_PT12_llPT13_lli
	.p2align	8
	.type	_ZN12_GLOBAL__N_127rocblas_gemm_batched_kernelIfLi16ELi16ELi64ELi64ELi4ELi64ELi4ELi4ELi64ELc67ELc78EKfS1_fEEvlllT_PT11_llS4_llS2_PT12_llPT13_lli,@function
_ZN12_GLOBAL__N_127rocblas_gemm_batched_kernelIfLi16ELi16ELi64ELi64ELi4ELi64ELi4ELi4ELi64ELc67ELc78EKfS1_fEEvlllT_PT11_llS4_llS2_PT12_llPT13_lli: ; @_ZN12_GLOBAL__N_127rocblas_gemm_batched_kernelIfLi16ELi16ELi64ELi64ELi4ELi64ELi4ELi4ELi64ELc67ELc78EKfS1_fEEvlllT_PT11_llS4_llS2_PT12_llPT13_lli
; %bb.0:
	s_load_b32 s31, s[0:1], 0x88
	s_bfe_u32 s2, ttmp6, 0x40014
	s_lshr_b32 s3, ttmp7, 16
	s_add_co_i32 s2, s2, 1
	s_bfe_u32 s4, ttmp6, 0x40008
	s_mul_i32 s2, s3, s2
	s_getreg_b32 s28, hwreg(HW_REG_IB_STS2, 6, 4)
	s_add_co_i32 s4, s4, s2
	s_cmp_eq_u32 s28, 0
	s_cselect_b32 s2, s3, s4
	s_mov_b32 s3, 0
	s_wait_kmcnt 0x0
	s_cmp_ge_i32 s2, s31
	s_cbranch_scc1 .LBB312_10
; %bb.1:
	v_bfe_u32 v2, v0, 10, 10
	v_and_b32_e32 v4, 0x3ff, v0
	s_clause 0x1
	s_load_b256 s[12:19], s[0:1], 0x20
	s_load_b128 s[24:27], s[0:1], 0x40
	s_bfe_u32 s30, ttmp6, 0x4000c
	s_bfe_u32 s34, ttmp6, 0x40010
	v_dual_mov_b32 v3, 0 :: v_dual_lshlrev_b32 v16, 4, v2
	s_and_b32 s33, ttmp7, 0xffff
	s_add_co_i32 s30, s30, 1
	s_add_co_i32 s34, s34, 1
	s_delay_alu instid0(VALU_DEP_1)
	v_dual_add_nc_u32 v17, v16, v4 :: v_dual_mov_b32 v7, v3
	s_and_b32 s29, ttmp6, 15
	s_mul_i32 s30, ttmp9, s30
	s_mul_i32 s34, s33, s34
	s_bfe_u32 s35, ttmp6, 0x40004
	s_add_co_i32 s29, s29, s30
	s_add_co_i32 s35, s35, s34
	s_clause 0x1
	s_load_b128 s[20:23], s[0:1], 0x78
	s_load_b256 s[4:11], s[0:1], 0x58
	s_cmp_eq_u32 s28, 0
	v_dual_lshrrev_b32 v6, 2, v17 :: v_dual_bitop2_b32 v18, 63, v17 bitop3:0x40
	s_cselect_b32 s28, ttmp9, s29
	s_cselect_b32 s30, s33, s35
	s_ashr_i32 s29, s28, 31
	s_lshl_b32 s34, s30, 6
	s_mov_b32 s35, s3
	s_lshl_b64 s[36:37], s[28:29], 6
	v_add_nc_u64_e32 v[8:9], s[34:35], v[6:7]
	v_dual_mov_b32 v11, s37 :: v_dual_bitop2_b32 v10, s36, v18 bitop3:0x54
	v_add_nc_u64_e32 v[12:13], s[34:35], v[2:3]
	s_clause 0x1
	s_load_b32 s33, s[0:1], 0x50
	s_load_b96 s[28:30], s[0:1], 0x10
	v_dual_mov_b32 v5, v3 :: v_dual_lshlrev_b32 v2, 2, v0
	s_wait_kmcnt 0x0
	v_mul_u64_e32 v[10:11], s[14:15], v[10:11]
	v_mul_u64_e32 v[8:9], s[24:25], v[8:9]
	;; [unrolled: 1-line block ×4, first 2 shown]
	v_dual_mov_b32 v13, v3 :: v_dual_lshrrev_b32 v19, 6, v17
	v_dual_lshlrev_b32 v30, 2, v4 :: v_dual_bitop2_b32 v12, 12, v2 bitop3:0x40
	v_lshlrev_b32_e32 v18, 2, v18
	v_add_nc_u32_e32 v31, 0x400, v16
	s_delay_alu instid0(VALU_DEP_4)
	v_lshlrev_b32_e32 v2, 2, v19
	v_add_nc_u64_e32 v[16:17], s[36:37], v[4:5]
	v_lshl_or_b32 v20, v6, 4, v12
	v_lshl_or_b32 v32, v19, 8, v18
	s_cmp_eq_f32 s33, 0
	v_cmp_gt_i64_e64 s0, s[28:29], 0
	s_delay_alu instid0(VALU_DEP_3)
	v_add_nc_u32_e32 v33, 0x400, v20
	s_cselect_b32 s1, -1, 0
	s_lshl_b64 s[14:15], s[20:21], 4
	s_lshl_b64 s[20:21], s[6:7], 4
	;; [unrolled: 1-line block ×3, first 2 shown]
	v_cndmask_b32_e64 v21, 0, 1, s0
	s_delay_alu instid0(VALU_DEP_1)
	v_cmp_ne_u32_e64 s0, 1, v21
	v_lshl_add_u64 v[4:5], v[10:11], 2, v[2:3]
	v_lshl_add_u64 v[6:7], v[8:9], 2, v[12:13]
	v_lshlrev_b64_e32 v[8:9], 2, v[16:17]
	v_lshl_add_u64 v[2:3], v[14:15], 2, s[4:5]
	s_lshl_b64 s[4:5], s[26:27], 2
	v_add_nc_u64_e32 v[4:5], s[12:13], v[4:5]
	v_add_nc_u64_e32 v[6:7], s[18:19], v[6:7]
	s_lshl_b64 s[12:13], s[14:15], 2
	s_lshl_b64 s[14:15], s[20:21], 2
	s_branch .LBB312_3
.LBB312_2:                              ;   in Loop: Header=BB312_3 Depth=1
	s_add_co_i32 s2, s2, 0x10000
	s_delay_alu instid0(SALU_CYCLE_1)
	s_cmp_lt_i32 s2, s31
	s_cbranch_scc0 .LBB312_10
.LBB312_3:                              ; =>This Loop Header: Depth=1
                                        ;     Child Loop BB312_5 Depth 2
	v_dual_mov_b32 v25, 0 :: v_dual_mov_b32 v24, 0
	v_dual_mov_b32 v23, 0 :: v_dual_mov_b32 v22, 0
	;; [unrolled: 1-line block ×3, first 2 shown]
	s_wait_xcnt 0x6
	v_dual_mov_b32 v19, 0 :: v_dual_mov_b32 v18, 0
	s_wait_xcnt 0x1
	v_dual_mov_b32 v17, 0 :: v_dual_mov_b32 v16, 0
	;; [unrolled: 2-line block ×3, first 2 shown]
	v_dual_mov_b32 v13, 0 :: v_dual_mov_b32 v12, 0
	v_dual_mov_b32 v11, 0 :: v_dual_mov_b32 v10, 0
	s_and_b32 vcc_lo, exec_lo, s0
	s_cbranch_vccnz .LBB312_6
; %bb.4:                                ;   in Loop: Header=BB312_3 Depth=1
	v_mad_nc_u64_u32 v[26:27], s4, s2, v[6:7]
	v_mad_nc_u64_u32 v[28:29], s6, s2, v[4:5]
	v_mov_b32_e32 v10, 0
	s_mov_b64 s[16:17], 0
	s_delay_alu instid0(VALU_DEP_1)
	v_dual_mov_b32 v11, v10 :: v_dual_mov_b32 v12, v10
	v_dual_mov_b32 v13, v10 :: v_dual_mov_b32 v14, v10
	v_mad_u32 v27, s5, s2, v27
	v_mad_u32 v29, s7, s2, v29
	v_dual_mov_b32 v15, v10 :: v_dual_mov_b32 v16, v10
	v_dual_mov_b32 v17, v10 :: v_dual_mov_b32 v18, v10
	;; [unrolled: 1-line block ×5, first 2 shown]
	v_mov_b32_e32 v25, v10
.LBB312_5:                              ;   Parent Loop BB312_3 Depth=1
                                        ; =>  This Inner Loop Header: Depth=2
	global_load_b32 v34, v[28:29], off
	global_load_b32 v35, v[26:27], off
	s_add_nc_u64 s[16:17], s[16:17], 4
	s_wait_xcnt 0x0
	v_add_nc_u64_e32 v[26:27], 16, v[26:27]
	v_cmp_lt_i64_e64 s18, s[16:17], s[28:29]
	v_add_nc_u64_e32 v[28:29], 16, v[28:29]
	s_wait_loadcnt 0x1
	ds_store_b32 v32, v34
	s_wait_loadcnt 0x0
	ds_store_b32 v33, v35
	s_wait_dscnt 0x0
	s_barrier_signal -1
	s_barrier_wait -1
	ds_load_2addr_b32 v[50:51], v30 offset1:16
	ds_load_2addr_b32 v[52:53], v30 offset0:64 offset1:80
	ds_load_2addr_b32 v[54:55], v30 offset0:128 offset1:144
	;; [unrolled: 1-line block ×6, first 2 shown]
	ds_load_b128 v[34:37], v31
	ds_load_b128 v[38:41], v31 offset:256
	ds_load_2addr_b32 v[64:65], v30 offset0:224 offset1:240
	ds_load_b128 v[42:45], v31 offset:512
	ds_load_b128 v[46:49], v31 offset:768
	s_and_b32 vcc_lo, exec_lo, s18
	s_wait_dscnt 0x0
	s_barrier_signal -1
	s_barrier_wait -1
	v_dual_mov_b32 v66, v51 :: v_dual_mov_b32 v67, v50
	v_dual_mov_b32 v50, v53 :: v_dual_mov_b32 v51, v52
	;; [unrolled: 1-line block ×6, first 2 shown]
	v_pk_fma_f32 v[24:25], v[66:67], v[34:35], v[24:25] op_sel_hi:[1,0,1]
	v_pk_fma_f32 v[20:21], v[66:67], v[38:39], v[20:21] op_sel_hi:[1,0,1]
	s_delay_alu instid0(VALU_DEP_4)
	v_pk_fma_f32 v[22:23], v[56:57], v[34:35], v[22:23] op_sel_hi:[1,0,1]
	v_pk_fma_f32 v[16:17], v[66:67], v[42:43], v[16:17] op_sel_hi:[1,0,1]
	;; [unrolled: 1-line block ×6, first 2 shown]
	v_dual_mov_b32 v60, v63 :: v_dual_mov_b32 v61, v62
	v_pk_fma_f32 v[24:25], v[50:51], v[34:35], v[24:25] op_sel:[0,1,0]
	v_pk_fma_f32 v[22:23], v[58:59], v[34:35], v[22:23] op_sel:[0,1,0]
	;; [unrolled: 1-line block ×8, first 2 shown]
	v_dual_mov_b32 v62, v37 :: v_dual_mov_b32 v68, v65
	v_dual_mov_b32 v69, v64 :: v_dual_mov_b32 v64, v41
	;; [unrolled: 1-line block ×3, first 2 shown]
	v_pk_fma_f32 v[24:25], v[52:53], v[36:37], v[24:25] op_sel_hi:[1,0,1]
	v_pk_fma_f32 v[22:23], v[60:61], v[36:37], v[22:23] op_sel_hi:[1,0,1]
	;; [unrolled: 1-line block ×16, first 2 shown]
	s_cbranch_vccnz .LBB312_5
.LBB312_6:                              ;   in Loop: Header=BB312_3 Depth=1
	s_mul_u64 s[16:17], s[22:23], s[2:3]
	s_and_not1_b32 vcc_lo, exec_lo, s1
	s_lshl_b64 s[16:17], s[16:17], 2
	s_delay_alu instid0(SALU_CYCLE_1) | instskip(NEXT) | instid1(SALU_CYCLE_1)
	s_add_nc_u64 s[16:17], s[10:11], s[16:17]
	v_lshl_add_u64 v[26:27], v[0:1], 2, s[16:17]
	s_delay_alu instid0(VALU_DEP_1)
	v_add_nc_u64_e32 v[28:29], v[26:27], v[8:9]
	v_add_nc_u64_e32 v[26:27], s[12:13], v[26:27]
	s_cbranch_vccnz .LBB312_8
; %bb.7:                                ;   in Loop: Header=BB312_3 Depth=1
	v_dual_mul_f32 v36, s30, v25 :: v_dual_mul_f32 v37, s30, v24
	s_delay_alu instid0(VALU_DEP_2)
	v_add_nc_u64_e32 v[34:35], s[12:13], v[26:27]
	v_dual_mul_f32 v38, s30, v23 :: v_dual_mul_f32 v39, s30, v22
	s_clause 0x3
	global_store_b32 v[28:29], v36, off
	global_store_b32 v[28:29], v37, off offset:64
	global_store_b32 v[28:29], v38, off offset:128
	;; [unrolled: 1-line block ×3, first 2 shown]
	s_wait_xcnt 0x2
	v_add_nc_u64_e32 v[36:37], v[26:27], v[8:9]
	v_dual_mul_f32 v40, s30, v21 :: v_dual_mul_f32 v41, s30, v20
	s_wait_xcnt 0x0
	v_add_nc_u64_e32 v[38:39], v[34:35], v[8:9]
	v_add_nc_u64_e32 v[34:35], s[12:13], v[34:35]
	v_dual_mul_f32 v42, s30, v19 :: v_dual_mul_f32 v43, s30, v18
	s_clause 0x3
	global_store_b32 v[36:37], v40, off
	global_store_b32 v[36:37], v41, off offset:64
	global_store_b32 v[36:37], v42, off offset:128
	;; [unrolled: 1-line block ×3, first 2 shown]
	s_wait_xcnt 0x0
	v_dual_mul_f32 v36, s30, v17 :: v_dual_mul_f32 v37, s30, v16
	v_dual_mul_f32 v40, s30, v15 :: v_dual_mul_f32 v41, s30, v14
	v_add_nc_u64_e32 v[34:35], v[34:35], v[8:9]
	s_clause 0x3
	global_store_b32 v[38:39], v36, off
	global_store_b32 v[38:39], v37, off offset:64
	global_store_b32 v[38:39], v40, off offset:128
	;; [unrolled: 1-line block ×3, first 2 shown]
	s_wait_xcnt 0x2
	v_dual_mul_f32 v36, s30, v13 :: v_dual_mul_f32 v37, s30, v12
	s_wait_xcnt 0x0
	v_dual_mul_f32 v38, s30, v11 :: v_dual_mul_f32 v39, s30, v10
	s_clause 0x3
	global_store_b32 v[34:35], v36, off
	global_store_b32 v[34:35], v37, off offset:64
	global_store_b32 v[34:35], v38, off offset:128
	;; [unrolled: 1-line block ×3, first 2 shown]
	s_cbranch_execnz .LBB312_2
	s_branch .LBB312_9
.LBB312_8:                              ;   in Loop: Header=BB312_3 Depth=1
.LBB312_9:                              ;   in Loop: Header=BB312_3 Depth=1
	s_mul_u64 s[16:17], s[8:9], s[2:3]
	s_wait_xcnt 0x0
	v_lshl_add_u64 v[34:35], s[16:17], 2, v[2:3]
	s_delay_alu instid0(VALU_DEP_1) | instskip(SKIP_3) | instid1(VALU_DEP_1)
	v_add_nc_u64_e32 v[36:37], v[34:35], v[8:9]
	global_load_b32 v38, v[36:37], off
	s_wait_loadcnt 0x0
	v_mul_f32_e32 v38, s33, v38
	v_fmac_f32_e32 v38, s30, v25
	global_store_b32 v[28:29], v38, off
	global_load_b32 v25, v[36:37], off offset:64
	s_wait_loadcnt 0x0
	v_mul_f32_e32 v25, s33, v25
	s_delay_alu instid0(VALU_DEP_1) | instskip(SKIP_4) | instid1(VALU_DEP_1)
	v_fmac_f32_e32 v25, s30, v24
	global_store_b32 v[28:29], v25, off offset:64
	global_load_b32 v24, v[36:37], off offset:128
	s_wait_loadcnt 0x0
	v_mul_f32_e32 v24, s33, v24
	v_fmac_f32_e32 v24, s30, v23
	global_store_b32 v[28:29], v24, off offset:128
	global_load_b32 v23, v[36:37], off offset:192
	s_wait_xcnt 0x1
	v_add_nc_u64_e32 v[24:25], s[14:15], v[34:35]
	s_delay_alu instid0(VALU_DEP_1) | instskip(SKIP_2) | instid1(VALU_DEP_1)
	v_add_nc_u64_e32 v[34:35], v[24:25], v[8:9]
	s_wait_loadcnt 0x0
	v_mul_f32_e32 v23, s33, v23
	v_fmac_f32_e32 v23, s30, v22
	global_store_b32 v[28:29], v23, off offset:192
	global_load_b32 v22, v[34:35], off
	s_wait_loadcnt 0x0
	s_wait_xcnt 0x1
	v_mul_f32_e32 v28, s33, v22
	v_add_nc_u64_e32 v[22:23], v[26:27], v[8:9]
	s_delay_alu instid0(VALU_DEP_2) | instskip(SKIP_4) | instid1(VALU_DEP_1)
	v_fmac_f32_e32 v28, s30, v21
	global_store_b32 v[22:23], v28, off
	global_load_b32 v21, v[34:35], off offset:64
	s_wait_loadcnt 0x0
	v_mul_f32_e32 v21, s33, v21
	v_fmac_f32_e32 v21, s30, v20
	global_store_b32 v[22:23], v21, off offset:64
	global_load_b32 v20, v[34:35], off offset:128
	s_wait_loadcnt 0x0
	v_mul_f32_e32 v20, s33, v20
	s_delay_alu instid0(VALU_DEP_1) | instskip(SKIP_4) | instid1(VALU_DEP_1)
	v_fmac_f32_e32 v20, s30, v19
	global_store_b32 v[22:23], v20, off offset:128
	global_load_b32 v19, v[34:35], off offset:192
	s_wait_xcnt 0x1
	v_add_nc_u64_e32 v[20:21], s[14:15], v[24:25]
	v_add_nc_u64_e32 v[24:25], v[20:21], v[8:9]
	s_wait_loadcnt 0x0
	v_mul_f32_e32 v19, s33, v19
	s_delay_alu instid0(VALU_DEP_1)
	v_fmac_f32_e32 v19, s30, v18
	global_store_b32 v[22:23], v19, off offset:192
	global_load_b32 v22, v[24:25], off
	v_add_nc_u64_e32 v[18:19], s[12:13], v[26:27]
	s_wait_loadcnt 0x0
	v_mul_f32_e32 v26, s33, v22
	s_delay_alu instid0(VALU_DEP_2) | instskip(NEXT) | instid1(VALU_DEP_2)
	v_add_nc_u64_e32 v[22:23], v[18:19], v[8:9]
	v_fmac_f32_e32 v26, s30, v17
	global_store_b32 v[22:23], v26, off
	global_load_b32 v17, v[24:25], off offset:64
	s_wait_loadcnt 0x0
	v_mul_f32_e32 v17, s33, v17
	s_delay_alu instid0(VALU_DEP_1) | instskip(SKIP_4) | instid1(VALU_DEP_1)
	v_fmac_f32_e32 v17, s30, v16
	global_store_b32 v[22:23], v17, off offset:64
	global_load_b32 v16, v[24:25], off offset:128
	s_wait_loadcnt 0x0
	v_mul_f32_e32 v16, s33, v16
	v_fmac_f32_e32 v16, s30, v15
	global_store_b32 v[22:23], v16, off offset:128
	global_load_b32 v15, v[24:25], off offset:192
	s_wait_xcnt 0x1
	v_add_nc_u64_e32 v[16:17], s[14:15], v[20:21]
	s_delay_alu instid0(VALU_DEP_1) | instskip(SKIP_2) | instid1(VALU_DEP_1)
	v_add_nc_u64_e32 v[16:17], v[16:17], v[8:9]
	s_wait_loadcnt 0x0
	v_mul_f32_e32 v15, s33, v15
	v_fmac_f32_e32 v15, s30, v14
	global_store_b32 v[22:23], v15, off offset:192
	global_load_b32 v20, v[16:17], off
	s_wait_xcnt 0x1
	v_add_nc_u64_e32 v[14:15], s[12:13], v[18:19]
	s_delay_alu instid0(VALU_DEP_1) | instskip(SKIP_2) | instid1(VALU_DEP_1)
	v_add_nc_u64_e32 v[14:15], v[14:15], v[8:9]
	s_wait_loadcnt 0x0
	v_mul_f32_e32 v18, s33, v20
	v_fmac_f32_e32 v18, s30, v13
	global_store_b32 v[14:15], v18, off
	global_load_b32 v13, v[16:17], off offset:64
	s_wait_loadcnt 0x0
	v_mul_f32_e32 v13, s33, v13
	s_delay_alu instid0(VALU_DEP_1) | instskip(SKIP_4) | instid1(VALU_DEP_1)
	v_fmac_f32_e32 v13, s30, v12
	global_store_b32 v[14:15], v13, off offset:64
	global_load_b32 v12, v[16:17], off offset:128
	s_wait_loadcnt 0x0
	v_mul_f32_e32 v12, s33, v12
	v_fmac_f32_e32 v12, s30, v11
	global_store_b32 v[14:15], v12, off offset:128
	global_load_b32 v11, v[16:17], off offset:192
	s_wait_loadcnt 0x0
	v_mul_f32_e32 v11, s33, v11
	s_delay_alu instid0(VALU_DEP_1)
	v_fmac_f32_e32 v11, s30, v10
	global_store_b32 v[14:15], v11, off offset:192
	s_branch .LBB312_2
.LBB312_10:
	s_sendmsg sendmsg(MSG_DEALLOC_VGPRS)
	s_endpgm
	.section	.rodata,"a",@progbits
	.p2align	6, 0x0
	.amdhsa_kernel _ZN12_GLOBAL__N_127rocblas_gemm_batched_kernelIfLi16ELi16ELi64ELi64ELi4ELi64ELi4ELi4ELi64ELc67ELc78EKfS1_fEEvlllT_PT11_llS4_llS2_PT12_llPT13_lli
		.amdhsa_group_segment_fixed_size 2048
		.amdhsa_private_segment_fixed_size 0
		.amdhsa_kernarg_size 140
		.amdhsa_user_sgpr_count 2
		.amdhsa_user_sgpr_dispatch_ptr 0
		.amdhsa_user_sgpr_queue_ptr 0
		.amdhsa_user_sgpr_kernarg_segment_ptr 1
		.amdhsa_user_sgpr_dispatch_id 0
		.amdhsa_user_sgpr_kernarg_preload_length 0
		.amdhsa_user_sgpr_kernarg_preload_offset 0
		.amdhsa_user_sgpr_private_segment_size 0
		.amdhsa_wavefront_size32 1
		.amdhsa_uses_dynamic_stack 0
		.amdhsa_enable_private_segment 0
		.amdhsa_system_sgpr_workgroup_id_x 1
		.amdhsa_system_sgpr_workgroup_id_y 1
		.amdhsa_system_sgpr_workgroup_id_z 1
		.amdhsa_system_sgpr_workgroup_info 0
		.amdhsa_system_vgpr_workitem_id 1
		.amdhsa_next_free_vgpr 74
		.amdhsa_next_free_sgpr 38
		.amdhsa_named_barrier_count 0
		.amdhsa_reserve_vcc 1
		.amdhsa_float_round_mode_32 0
		.amdhsa_float_round_mode_16_64 0
		.amdhsa_float_denorm_mode_32 3
		.amdhsa_float_denorm_mode_16_64 3
		.amdhsa_fp16_overflow 0
		.amdhsa_memory_ordered 1
		.amdhsa_forward_progress 1
		.amdhsa_inst_pref_size 19
		.amdhsa_round_robin_scheduling 0
		.amdhsa_exception_fp_ieee_invalid_op 0
		.amdhsa_exception_fp_denorm_src 0
		.amdhsa_exception_fp_ieee_div_zero 0
		.amdhsa_exception_fp_ieee_overflow 0
		.amdhsa_exception_fp_ieee_underflow 0
		.amdhsa_exception_fp_ieee_inexact 0
		.amdhsa_exception_int_div_zero 0
	.end_amdhsa_kernel
	.section	.text._ZN12_GLOBAL__N_127rocblas_gemm_batched_kernelIfLi16ELi16ELi64ELi64ELi4ELi64ELi4ELi4ELi64ELc67ELc78EKfS1_fEEvlllT_PT11_llS4_llS2_PT12_llPT13_lli,"axG",@progbits,_ZN12_GLOBAL__N_127rocblas_gemm_batched_kernelIfLi16ELi16ELi64ELi64ELi4ELi64ELi4ELi4ELi64ELc67ELc78EKfS1_fEEvlllT_PT11_llS4_llS2_PT12_llPT13_lli,comdat
.Lfunc_end312:
	.size	_ZN12_GLOBAL__N_127rocblas_gemm_batched_kernelIfLi16ELi16ELi64ELi64ELi4ELi64ELi4ELi4ELi64ELc67ELc78EKfS1_fEEvlllT_PT11_llS4_llS2_PT12_llPT13_lli, .Lfunc_end312-_ZN12_GLOBAL__N_127rocblas_gemm_batched_kernelIfLi16ELi16ELi64ELi64ELi4ELi64ELi4ELi4ELi64ELc67ELc78EKfS1_fEEvlllT_PT11_llS4_llS2_PT12_llPT13_lli
                                        ; -- End function
	.set _ZN12_GLOBAL__N_127rocblas_gemm_batched_kernelIfLi16ELi16ELi64ELi64ELi4ELi64ELi4ELi4ELi64ELc67ELc78EKfS1_fEEvlllT_PT11_llS4_llS2_PT12_llPT13_lli.num_vgpr, 74
	.set _ZN12_GLOBAL__N_127rocblas_gemm_batched_kernelIfLi16ELi16ELi64ELi64ELi4ELi64ELi4ELi4ELi64ELc67ELc78EKfS1_fEEvlllT_PT11_llS4_llS2_PT12_llPT13_lli.num_agpr, 0
	.set _ZN12_GLOBAL__N_127rocblas_gemm_batched_kernelIfLi16ELi16ELi64ELi64ELi4ELi64ELi4ELi4ELi64ELc67ELc78EKfS1_fEEvlllT_PT11_llS4_llS2_PT12_llPT13_lli.numbered_sgpr, 38
	.set _ZN12_GLOBAL__N_127rocblas_gemm_batched_kernelIfLi16ELi16ELi64ELi64ELi4ELi64ELi4ELi4ELi64ELc67ELc78EKfS1_fEEvlllT_PT11_llS4_llS2_PT12_llPT13_lli.num_named_barrier, 0
	.set _ZN12_GLOBAL__N_127rocblas_gemm_batched_kernelIfLi16ELi16ELi64ELi64ELi4ELi64ELi4ELi4ELi64ELc67ELc78EKfS1_fEEvlllT_PT11_llS4_llS2_PT12_llPT13_lli.private_seg_size, 0
	.set _ZN12_GLOBAL__N_127rocblas_gemm_batched_kernelIfLi16ELi16ELi64ELi64ELi4ELi64ELi4ELi4ELi64ELc67ELc78EKfS1_fEEvlllT_PT11_llS4_llS2_PT12_llPT13_lli.uses_vcc, 1
	.set _ZN12_GLOBAL__N_127rocblas_gemm_batched_kernelIfLi16ELi16ELi64ELi64ELi4ELi64ELi4ELi4ELi64ELc67ELc78EKfS1_fEEvlllT_PT11_llS4_llS2_PT12_llPT13_lli.uses_flat_scratch, 0
	.set _ZN12_GLOBAL__N_127rocblas_gemm_batched_kernelIfLi16ELi16ELi64ELi64ELi4ELi64ELi4ELi4ELi64ELc67ELc78EKfS1_fEEvlllT_PT11_llS4_llS2_PT12_llPT13_lli.has_dyn_sized_stack, 0
	.set _ZN12_GLOBAL__N_127rocblas_gemm_batched_kernelIfLi16ELi16ELi64ELi64ELi4ELi64ELi4ELi4ELi64ELc67ELc78EKfS1_fEEvlllT_PT11_llS4_llS2_PT12_llPT13_lli.has_recursion, 0
	.set _ZN12_GLOBAL__N_127rocblas_gemm_batched_kernelIfLi16ELi16ELi64ELi64ELi4ELi64ELi4ELi4ELi64ELc67ELc78EKfS1_fEEvlllT_PT11_llS4_llS2_PT12_llPT13_lli.has_indirect_call, 0
	.section	.AMDGPU.csdata,"",@progbits
; Kernel info:
; codeLenInByte = 2336
; TotalNumSgprs: 40
; NumVgprs: 74
; ScratchSize: 0
; MemoryBound: 0
; FloatMode: 240
; IeeeMode: 1
; LDSByteSize: 2048 bytes/workgroup (compile time only)
; SGPRBlocks: 0
; VGPRBlocks: 4
; NumSGPRsForWavesPerEU: 40
; NumVGPRsForWavesPerEU: 74
; NamedBarCnt: 0
; Occupancy: 12
; WaveLimiterHint : 0
; COMPUTE_PGM_RSRC2:SCRATCH_EN: 0
; COMPUTE_PGM_RSRC2:USER_SGPR: 2
; COMPUTE_PGM_RSRC2:TRAP_HANDLER: 0
; COMPUTE_PGM_RSRC2:TGID_X_EN: 1
; COMPUTE_PGM_RSRC2:TGID_Y_EN: 1
; COMPUTE_PGM_RSRC2:TGID_Z_EN: 1
; COMPUTE_PGM_RSRC2:TIDIG_COMP_CNT: 1
	.section	.text._ZN12_GLOBAL__N_127rocblas_gemm_batched_kernelIfLi16ELi16ELi64ELi64ELi4ELi64ELi4ELi4ELi64ELc67ELc84EKfS1_fEEvlllT_PT11_llS4_llS2_PT12_llPT13_lli,"axG",@progbits,_ZN12_GLOBAL__N_127rocblas_gemm_batched_kernelIfLi16ELi16ELi64ELi64ELi4ELi64ELi4ELi4ELi64ELc67ELc84EKfS1_fEEvlllT_PT11_llS4_llS2_PT12_llPT13_lli,comdat
	.globl	_ZN12_GLOBAL__N_127rocblas_gemm_batched_kernelIfLi16ELi16ELi64ELi64ELi4ELi64ELi4ELi4ELi64ELc67ELc84EKfS1_fEEvlllT_PT11_llS4_llS2_PT12_llPT13_lli ; -- Begin function _ZN12_GLOBAL__N_127rocblas_gemm_batched_kernelIfLi16ELi16ELi64ELi64ELi4ELi64ELi4ELi4ELi64ELc67ELc84EKfS1_fEEvlllT_PT11_llS4_llS2_PT12_llPT13_lli
	.p2align	8
	.type	_ZN12_GLOBAL__N_127rocblas_gemm_batched_kernelIfLi16ELi16ELi64ELi64ELi4ELi64ELi4ELi4ELi64ELc67ELc84EKfS1_fEEvlllT_PT11_llS4_llS2_PT12_llPT13_lli,@function
_ZN12_GLOBAL__N_127rocblas_gemm_batched_kernelIfLi16ELi16ELi64ELi64ELi4ELi64ELi4ELi4ELi64ELc67ELc84EKfS1_fEEvlllT_PT11_llS4_llS2_PT12_llPT13_lli: ; @_ZN12_GLOBAL__N_127rocblas_gemm_batched_kernelIfLi16ELi16ELi64ELi64ELi4ELi64ELi4ELi4ELi64ELc67ELc84EKfS1_fEEvlllT_PT11_llS4_llS2_PT12_llPT13_lli
; %bb.0:
	s_load_b32 s31, s[0:1], 0x88
	s_bfe_u32 s2, ttmp6, 0x40014
	s_lshr_b32 s3, ttmp7, 16
	s_add_co_i32 s2, s2, 1
	s_bfe_u32 s4, ttmp6, 0x40008
	s_mul_i32 s2, s3, s2
	s_getreg_b32 s20, hwreg(HW_REG_IB_STS2, 6, 4)
	s_add_co_i32 s4, s4, s2
	s_cmp_eq_u32 s20, 0
	s_cselect_b32 s2, s3, s4
	s_mov_b32 s3, 0
	s_wait_kmcnt 0x0
	s_cmp_ge_i32 s2, s31
	s_cbranch_scc1 .LBB313_10
; %bb.1:
	s_bfe_u32 s21, ttmp6, 0x4000c
	s_bfe_u32 s23, ttmp6, 0x40010
	s_add_co_i32 s21, s21, 1
	s_and_b32 s28, ttmp7, 0xffff
	s_add_co_i32 s23, s23, 1
	v_bfe_u32 v4, v0, 10, 10
	s_and_b32 s22, ttmp6, 15
	s_mul_i32 s21, ttmp9, s21
	s_mul_i32 s23, s28, s23
	s_bfe_u32 s29, ttmp6, 0x40004
	s_add_co_i32 s22, s22, s21
	s_add_co_i32 s29, s29, s23
	s_cmp_eq_u32 s20, 0
	v_and_b32_e32 v2, 0x3ff, v0
	v_dual_mov_b32 v5, 0 :: v_dual_lshlrev_b32 v16, 4, v4
	s_cselect_b32 s20, ttmp9, s22
	s_clause 0x2
	s_load_b256 s[12:19], s[0:1], 0x20
	s_load_b128 s[24:27], s[0:1], 0x40
	s_load_b256 s[4:11], s[0:1], 0x58
	s_cselect_b32 s22, s28, s29
	s_ashr_i32 s21, s20, 31
	s_lshl_b32 s34, s22, 6
	s_lshl_b64 s[36:37], s[20:21], 6
	v_add_nc_u32_e32 v1, v16, v2
	s_load_b128 s[20:23], s[0:1], 0x78
	s_mov_b32 s35, s3
	v_mov_b32_e32 v9, s37
	v_add_nc_u64_e32 v[6:7], s[34:35], v[4:5]
	v_and_b32_e32 v3, 63, v1
	s_clause 0x1
	s_load_b32 s33, s[0:1], 0x50
	s_load_b96 s[28:30], s[0:1], 0x10
	v_add_nc_u32_e32 v33, 0x400, v16
	v_dual_lshlrev_b32 v32, 2, v2 :: v_dual_bitop2_b32 v8, s36, v3 bitop3:0x54
	v_dual_lshrrev_b32 v10, 2, v1 :: v_dual_bitop2_b32 v4, 3, v0 bitop3:0x40
	v_mov_b32_e32 v11, v5
	s_wait_kmcnt 0x0
	s_delay_alu instid0(VALU_DEP_3)
	v_mul_u64_e32 v[8:9], s[14:15], v[8:9]
	v_mul_u64_e32 v[12:13], s[6:7], v[6:7]
	v_lshlrev_b32_e32 v17, 2, v4
	v_mad_nc_u64_u32 v[14:15], s24, v4, v[10:11]
	v_lshrrev_b32_e32 v11, 6, v1
	v_mul_u64_e32 v[0:1], s[20:21], v[6:7]
	v_dual_mov_b32 v3, v5 :: v_dual_lshlrev_b32 v6, 2, v3
	s_cmp_eq_f32 s33, 0
	v_cmp_gt_i64_e64 s0, s[28:29], 0
	s_delay_alu instid0(VALU_DEP_2)
	v_lshl_or_b32 v30, v11, 8, v6
	v_mad_u32 v15, s25, v4, v15
	v_lshl_or_b32 v4, v10, 4, v17
	s_cselect_b32 s1, -1, 0
	s_lshl_b64 s[14:15], s[20:21], 4
	s_lshl_b64 s[20:21], s[6:7], 4
	;; [unrolled: 1-line block ×3, first 2 shown]
	v_add_nc_u32_e32 v31, 0x400, v4
	v_lshlrev_b32_e32 v4, 2, v11
	v_add_nc_u64_e32 v[10:11], s[36:37], v[2:3]
	s_lshl_b64 s[14:15], s[14:15], 2
	v_add_nc_u64_e32 v[6:7], s[34:35], v[14:15]
	s_delay_alu instid0(VALU_DEP_3) | instskip(SKIP_2) | instid1(VALU_DEP_4)
	v_lshl_add_u64 v[8:9], v[8:9], 2, v[4:5]
	v_lshl_add_u64 v[2:3], v[12:13], 2, s[4:5]
	v_cndmask_b32_e64 v12, 0, 1, s0
	v_lshl_add_u64 v[4:5], v[6:7], 2, s[18:19]
	s_lshl_b64 s[4:5], s[26:27], 2
	v_add_nc_u64_e32 v[6:7], s[12:13], v[8:9]
	v_lshlrev_b64_e32 v[8:9], 2, v[10:11]
	v_cmp_ne_u32_e64 s0, 1, v12
	s_lshl_b64 s[12:13], s[16:17], 2
	s_lshl_b64 s[16:17], s[20:21], 2
	s_branch .LBB313_3
.LBB313_2:                              ;   in Loop: Header=BB313_3 Depth=1
	s_add_co_i32 s2, s2, 0x10000
	s_delay_alu instid0(SALU_CYCLE_1)
	s_cmp_lt_i32 s2, s31
	s_cbranch_scc0 .LBB313_10
.LBB313_3:                              ; =>This Loop Header: Depth=1
                                        ;     Child Loop BB313_5 Depth 2
	v_dual_mov_b32 v25, 0 :: v_dual_mov_b32 v24, 0
	v_dual_mov_b32 v23, 0 :: v_dual_mov_b32 v22, 0
	;; [unrolled: 1-line block ×3, first 2 shown]
	s_wait_xcnt 0x6
	v_dual_mov_b32 v19, 0 :: v_dual_mov_b32 v18, 0
	s_wait_xcnt 0x1
	v_dual_mov_b32 v17, 0 :: v_dual_mov_b32 v16, 0
	s_wait_xcnt 0x0
	v_dual_mov_b32 v15, 0 :: v_dual_mov_b32 v14, 0
	v_dual_mov_b32 v13, 0 :: v_dual_mov_b32 v12, 0
	v_dual_mov_b32 v11, 0 :: v_dual_mov_b32 v10, 0
	s_and_b32 vcc_lo, exec_lo, s0
	s_cbranch_vccnz .LBB313_6
; %bb.4:                                ;   in Loop: Header=BB313_3 Depth=1
	v_mad_nc_u64_u32 v[26:27], s4, s2, v[4:5]
	v_mad_nc_u64_u32 v[28:29], s12, s2, v[6:7]
	v_mov_b32_e32 v10, 0
	s_mov_b64 s[18:19], 0
	s_delay_alu instid0(VALU_DEP_1)
	v_dual_mov_b32 v11, v10 :: v_dual_mov_b32 v12, v10
	v_dual_mov_b32 v13, v10 :: v_dual_mov_b32 v14, v10
	v_mad_u32 v27, s5, s2, v27
	v_mad_u32 v29, s13, s2, v29
	v_dual_mov_b32 v15, v10 :: v_dual_mov_b32 v16, v10
	v_dual_mov_b32 v17, v10 :: v_dual_mov_b32 v18, v10
	;; [unrolled: 1-line block ×5, first 2 shown]
	v_mov_b32_e32 v25, v10
.LBB313_5:                              ;   Parent Loop BB313_3 Depth=1
                                        ; =>  This Inner Loop Header: Depth=2
	global_load_b32 v34, v[28:29], off
	global_load_b32 v35, v[26:27], off
	s_add_nc_u64 s[18:19], s[18:19], 4
	s_wait_xcnt 0x0
	v_add_nc_u64_e32 v[26:27], s[6:7], v[26:27]
	v_cmp_lt_i64_e64 s20, s[18:19], s[28:29]
	v_add_nc_u64_e32 v[28:29], 16, v[28:29]
	s_wait_loadcnt 0x1
	ds_store_b32 v30, v34
	s_wait_loadcnt 0x0
	ds_store_b32 v31, v35
	s_wait_dscnt 0x0
	s_barrier_signal -1
	s_barrier_wait -1
	ds_load_2addr_b32 v[50:51], v32 offset1:16
	ds_load_2addr_b32 v[52:53], v32 offset0:64 offset1:80
	ds_load_2addr_b32 v[54:55], v32 offset0:128 offset1:144
	;; [unrolled: 1-line block ×6, first 2 shown]
	ds_load_b128 v[34:37], v33
	ds_load_b128 v[38:41], v33 offset:256
	ds_load_2addr_b32 v[64:65], v32 offset0:224 offset1:240
	ds_load_b128 v[42:45], v33 offset:512
	ds_load_b128 v[46:49], v33 offset:768
	s_and_b32 vcc_lo, exec_lo, s20
	s_wait_dscnt 0x0
	s_barrier_signal -1
	s_barrier_wait -1
	v_dual_mov_b32 v66, v51 :: v_dual_mov_b32 v67, v50
	v_dual_mov_b32 v50, v53 :: v_dual_mov_b32 v51, v52
	v_dual_mov_b32 v52, v55 :: v_dual_mov_b32 v53, v54
	v_dual_mov_b32 v54, v57 :: v_dual_mov_b32 v55, v56
	v_dual_mov_b32 v56, v59 :: v_dual_mov_b32 v57, v58
	v_dual_mov_b32 v58, v61 :: v_dual_mov_b32 v59, v60
	v_pk_fma_f32 v[24:25], v[66:67], v[34:35], v[24:25] op_sel_hi:[1,0,1]
	v_pk_fma_f32 v[20:21], v[66:67], v[38:39], v[20:21] op_sel_hi:[1,0,1]
	s_delay_alu instid0(VALU_DEP_4)
	v_pk_fma_f32 v[22:23], v[56:57], v[34:35], v[22:23] op_sel_hi:[1,0,1]
	v_pk_fma_f32 v[16:17], v[66:67], v[42:43], v[16:17] op_sel_hi:[1,0,1]
	;; [unrolled: 1-line block ×6, first 2 shown]
	v_dual_mov_b32 v60, v63 :: v_dual_mov_b32 v61, v62
	v_pk_fma_f32 v[24:25], v[50:51], v[34:35], v[24:25] op_sel:[0,1,0]
	v_pk_fma_f32 v[22:23], v[58:59], v[34:35], v[22:23] op_sel:[0,1,0]
	;; [unrolled: 1-line block ×8, first 2 shown]
	v_dual_mov_b32 v62, v37 :: v_dual_mov_b32 v68, v65
	v_dual_mov_b32 v69, v64 :: v_dual_mov_b32 v64, v41
	;; [unrolled: 1-line block ×3, first 2 shown]
	v_pk_fma_f32 v[24:25], v[52:53], v[36:37], v[24:25] op_sel_hi:[1,0,1]
	v_pk_fma_f32 v[22:23], v[60:61], v[36:37], v[22:23] op_sel_hi:[1,0,1]
	;; [unrolled: 1-line block ×16, first 2 shown]
	s_cbranch_vccnz .LBB313_5
.LBB313_6:                              ;   in Loop: Header=BB313_3 Depth=1
	s_mul_u64 s[18:19], s[22:23], s[2:3]
	s_and_not1_b32 vcc_lo, exec_lo, s1
	s_lshl_b64 s[18:19], s[18:19], 2
	s_delay_alu instid0(SALU_CYCLE_1) | instskip(NEXT) | instid1(SALU_CYCLE_1)
	s_add_nc_u64 s[18:19], s[10:11], s[18:19]
	v_lshl_add_u64 v[26:27], v[0:1], 2, s[18:19]
	s_delay_alu instid0(VALU_DEP_1)
	v_add_nc_u64_e32 v[28:29], v[26:27], v[8:9]
	v_add_nc_u64_e32 v[26:27], s[14:15], v[26:27]
	s_cbranch_vccnz .LBB313_8
; %bb.7:                                ;   in Loop: Header=BB313_3 Depth=1
	v_dual_mul_f32 v36, s30, v25 :: v_dual_mul_f32 v37, s30, v24
	s_delay_alu instid0(VALU_DEP_2)
	v_add_nc_u64_e32 v[34:35], s[14:15], v[26:27]
	v_dual_mul_f32 v38, s30, v23 :: v_dual_mul_f32 v39, s30, v22
	s_clause 0x3
	global_store_b32 v[28:29], v36, off
	global_store_b32 v[28:29], v37, off offset:64
	global_store_b32 v[28:29], v38, off offset:128
	;; [unrolled: 1-line block ×3, first 2 shown]
	s_wait_xcnt 0x2
	v_add_nc_u64_e32 v[36:37], v[26:27], v[8:9]
	v_dual_mul_f32 v40, s30, v21 :: v_dual_mul_f32 v41, s30, v20
	s_wait_xcnt 0x0
	v_add_nc_u64_e32 v[38:39], v[34:35], v[8:9]
	v_add_nc_u64_e32 v[34:35], s[14:15], v[34:35]
	v_dual_mul_f32 v42, s30, v19 :: v_dual_mul_f32 v43, s30, v18
	s_clause 0x3
	global_store_b32 v[36:37], v40, off
	global_store_b32 v[36:37], v41, off offset:64
	global_store_b32 v[36:37], v42, off offset:128
	;; [unrolled: 1-line block ×3, first 2 shown]
	s_wait_xcnt 0x0
	v_dual_mul_f32 v36, s30, v17 :: v_dual_mul_f32 v37, s30, v16
	v_dual_mul_f32 v40, s30, v15 :: v_dual_mul_f32 v41, s30, v14
	v_add_nc_u64_e32 v[34:35], v[34:35], v[8:9]
	s_clause 0x3
	global_store_b32 v[38:39], v36, off
	global_store_b32 v[38:39], v37, off offset:64
	global_store_b32 v[38:39], v40, off offset:128
	;; [unrolled: 1-line block ×3, first 2 shown]
	s_wait_xcnt 0x2
	v_dual_mul_f32 v36, s30, v13 :: v_dual_mul_f32 v37, s30, v12
	s_wait_xcnt 0x0
	v_dual_mul_f32 v38, s30, v11 :: v_dual_mul_f32 v39, s30, v10
	s_clause 0x3
	global_store_b32 v[34:35], v36, off
	global_store_b32 v[34:35], v37, off offset:64
	global_store_b32 v[34:35], v38, off offset:128
	;; [unrolled: 1-line block ×3, first 2 shown]
	s_cbranch_execnz .LBB313_2
	s_branch .LBB313_9
.LBB313_8:                              ;   in Loop: Header=BB313_3 Depth=1
.LBB313_9:                              ;   in Loop: Header=BB313_3 Depth=1
	s_mul_u64 s[18:19], s[8:9], s[2:3]
	s_wait_xcnt 0x0
	v_lshl_add_u64 v[34:35], s[18:19], 2, v[2:3]
	s_delay_alu instid0(VALU_DEP_1) | instskip(SKIP_3) | instid1(VALU_DEP_1)
	v_add_nc_u64_e32 v[36:37], v[34:35], v[8:9]
	global_load_b32 v38, v[36:37], off
	s_wait_loadcnt 0x0
	v_mul_f32_e32 v38, s33, v38
	v_fmac_f32_e32 v38, s30, v25
	global_store_b32 v[28:29], v38, off
	global_load_b32 v25, v[36:37], off offset:64
	s_wait_loadcnt 0x0
	v_mul_f32_e32 v25, s33, v25
	s_delay_alu instid0(VALU_DEP_1) | instskip(SKIP_4) | instid1(VALU_DEP_1)
	v_fmac_f32_e32 v25, s30, v24
	global_store_b32 v[28:29], v25, off offset:64
	global_load_b32 v24, v[36:37], off offset:128
	s_wait_loadcnt 0x0
	v_mul_f32_e32 v24, s33, v24
	v_fmac_f32_e32 v24, s30, v23
	global_store_b32 v[28:29], v24, off offset:128
	global_load_b32 v23, v[36:37], off offset:192
	s_wait_xcnt 0x1
	v_add_nc_u64_e32 v[24:25], s[16:17], v[34:35]
	s_delay_alu instid0(VALU_DEP_1) | instskip(SKIP_2) | instid1(VALU_DEP_1)
	v_add_nc_u64_e32 v[34:35], v[24:25], v[8:9]
	s_wait_loadcnt 0x0
	v_mul_f32_e32 v23, s33, v23
	v_fmac_f32_e32 v23, s30, v22
	global_store_b32 v[28:29], v23, off offset:192
	global_load_b32 v22, v[34:35], off
	s_wait_loadcnt 0x0
	s_wait_xcnt 0x1
	v_mul_f32_e32 v28, s33, v22
	v_add_nc_u64_e32 v[22:23], v[26:27], v[8:9]
	s_delay_alu instid0(VALU_DEP_2) | instskip(SKIP_4) | instid1(VALU_DEP_1)
	v_fmac_f32_e32 v28, s30, v21
	global_store_b32 v[22:23], v28, off
	global_load_b32 v21, v[34:35], off offset:64
	s_wait_loadcnt 0x0
	v_mul_f32_e32 v21, s33, v21
	v_fmac_f32_e32 v21, s30, v20
	global_store_b32 v[22:23], v21, off offset:64
	global_load_b32 v20, v[34:35], off offset:128
	s_wait_loadcnt 0x0
	v_mul_f32_e32 v20, s33, v20
	s_delay_alu instid0(VALU_DEP_1) | instskip(SKIP_4) | instid1(VALU_DEP_1)
	v_fmac_f32_e32 v20, s30, v19
	global_store_b32 v[22:23], v20, off offset:128
	global_load_b32 v19, v[34:35], off offset:192
	s_wait_xcnt 0x1
	v_add_nc_u64_e32 v[20:21], s[16:17], v[24:25]
	v_add_nc_u64_e32 v[24:25], v[20:21], v[8:9]
	s_wait_loadcnt 0x0
	v_mul_f32_e32 v19, s33, v19
	s_delay_alu instid0(VALU_DEP_1)
	v_fmac_f32_e32 v19, s30, v18
	global_store_b32 v[22:23], v19, off offset:192
	global_load_b32 v22, v[24:25], off
	v_add_nc_u64_e32 v[18:19], s[14:15], v[26:27]
	s_wait_loadcnt 0x0
	v_mul_f32_e32 v26, s33, v22
	s_delay_alu instid0(VALU_DEP_2) | instskip(NEXT) | instid1(VALU_DEP_2)
	v_add_nc_u64_e32 v[22:23], v[18:19], v[8:9]
	v_fmac_f32_e32 v26, s30, v17
	global_store_b32 v[22:23], v26, off
	global_load_b32 v17, v[24:25], off offset:64
	s_wait_loadcnt 0x0
	v_mul_f32_e32 v17, s33, v17
	s_delay_alu instid0(VALU_DEP_1) | instskip(SKIP_4) | instid1(VALU_DEP_1)
	v_fmac_f32_e32 v17, s30, v16
	global_store_b32 v[22:23], v17, off offset:64
	global_load_b32 v16, v[24:25], off offset:128
	s_wait_loadcnt 0x0
	v_mul_f32_e32 v16, s33, v16
	v_fmac_f32_e32 v16, s30, v15
	global_store_b32 v[22:23], v16, off offset:128
	global_load_b32 v15, v[24:25], off offset:192
	s_wait_xcnt 0x1
	v_add_nc_u64_e32 v[16:17], s[16:17], v[20:21]
	s_delay_alu instid0(VALU_DEP_1) | instskip(SKIP_2) | instid1(VALU_DEP_1)
	v_add_nc_u64_e32 v[16:17], v[16:17], v[8:9]
	s_wait_loadcnt 0x0
	v_mul_f32_e32 v15, s33, v15
	v_fmac_f32_e32 v15, s30, v14
	global_store_b32 v[22:23], v15, off offset:192
	global_load_b32 v20, v[16:17], off
	s_wait_xcnt 0x1
	v_add_nc_u64_e32 v[14:15], s[14:15], v[18:19]
	s_delay_alu instid0(VALU_DEP_1) | instskip(SKIP_2) | instid1(VALU_DEP_1)
	v_add_nc_u64_e32 v[14:15], v[14:15], v[8:9]
	s_wait_loadcnt 0x0
	v_mul_f32_e32 v18, s33, v20
	v_fmac_f32_e32 v18, s30, v13
	global_store_b32 v[14:15], v18, off
	global_load_b32 v13, v[16:17], off offset:64
	s_wait_loadcnt 0x0
	v_mul_f32_e32 v13, s33, v13
	s_delay_alu instid0(VALU_DEP_1) | instskip(SKIP_4) | instid1(VALU_DEP_1)
	v_fmac_f32_e32 v13, s30, v12
	global_store_b32 v[14:15], v13, off offset:64
	global_load_b32 v12, v[16:17], off offset:128
	s_wait_loadcnt 0x0
	v_mul_f32_e32 v12, s33, v12
	v_fmac_f32_e32 v12, s30, v11
	global_store_b32 v[14:15], v12, off offset:128
	global_load_b32 v11, v[16:17], off offset:192
	s_wait_loadcnt 0x0
	v_mul_f32_e32 v11, s33, v11
	s_delay_alu instid0(VALU_DEP_1)
	v_fmac_f32_e32 v11, s30, v10
	global_store_b32 v[14:15], v11, off offset:192
	s_branch .LBB313_2
.LBB313_10:
	s_sendmsg sendmsg(MSG_DEALLOC_VGPRS)
	s_endpgm
	.section	.rodata,"a",@progbits
	.p2align	6, 0x0
	.amdhsa_kernel _ZN12_GLOBAL__N_127rocblas_gemm_batched_kernelIfLi16ELi16ELi64ELi64ELi4ELi64ELi4ELi4ELi64ELc67ELc84EKfS1_fEEvlllT_PT11_llS4_llS2_PT12_llPT13_lli
		.amdhsa_group_segment_fixed_size 2048
		.amdhsa_private_segment_fixed_size 0
		.amdhsa_kernarg_size 140
		.amdhsa_user_sgpr_count 2
		.amdhsa_user_sgpr_dispatch_ptr 0
		.amdhsa_user_sgpr_queue_ptr 0
		.amdhsa_user_sgpr_kernarg_segment_ptr 1
		.amdhsa_user_sgpr_dispatch_id 0
		.amdhsa_user_sgpr_kernarg_preload_length 0
		.amdhsa_user_sgpr_kernarg_preload_offset 0
		.amdhsa_user_sgpr_private_segment_size 0
		.amdhsa_wavefront_size32 1
		.amdhsa_uses_dynamic_stack 0
		.amdhsa_enable_private_segment 0
		.amdhsa_system_sgpr_workgroup_id_x 1
		.amdhsa_system_sgpr_workgroup_id_y 1
		.amdhsa_system_sgpr_workgroup_id_z 1
		.amdhsa_system_sgpr_workgroup_info 0
		.amdhsa_system_vgpr_workitem_id 1
		.amdhsa_next_free_vgpr 74
		.amdhsa_next_free_sgpr 38
		.amdhsa_named_barrier_count 0
		.amdhsa_reserve_vcc 1
		.amdhsa_float_round_mode_32 0
		.amdhsa_float_round_mode_16_64 0
		.amdhsa_float_denorm_mode_32 3
		.amdhsa_float_denorm_mode_16_64 3
		.amdhsa_fp16_overflow 0
		.amdhsa_memory_ordered 1
		.amdhsa_forward_progress 1
		.amdhsa_inst_pref_size 19
		.amdhsa_round_robin_scheduling 0
		.amdhsa_exception_fp_ieee_invalid_op 0
		.amdhsa_exception_fp_denorm_src 0
		.amdhsa_exception_fp_ieee_div_zero 0
		.amdhsa_exception_fp_ieee_overflow 0
		.amdhsa_exception_fp_ieee_underflow 0
		.amdhsa_exception_fp_ieee_inexact 0
		.amdhsa_exception_int_div_zero 0
	.end_amdhsa_kernel
	.section	.text._ZN12_GLOBAL__N_127rocblas_gemm_batched_kernelIfLi16ELi16ELi64ELi64ELi4ELi64ELi4ELi4ELi64ELc67ELc84EKfS1_fEEvlllT_PT11_llS4_llS2_PT12_llPT13_lli,"axG",@progbits,_ZN12_GLOBAL__N_127rocblas_gemm_batched_kernelIfLi16ELi16ELi64ELi64ELi4ELi64ELi4ELi4ELi64ELc67ELc84EKfS1_fEEvlllT_PT11_llS4_llS2_PT12_llPT13_lli,comdat
.Lfunc_end313:
	.size	_ZN12_GLOBAL__N_127rocblas_gemm_batched_kernelIfLi16ELi16ELi64ELi64ELi4ELi64ELi4ELi4ELi64ELc67ELc84EKfS1_fEEvlllT_PT11_llS4_llS2_PT12_llPT13_lli, .Lfunc_end313-_ZN12_GLOBAL__N_127rocblas_gemm_batched_kernelIfLi16ELi16ELi64ELi64ELi4ELi64ELi4ELi4ELi64ELc67ELc84EKfS1_fEEvlllT_PT11_llS4_llS2_PT12_llPT13_lli
                                        ; -- End function
	.set _ZN12_GLOBAL__N_127rocblas_gemm_batched_kernelIfLi16ELi16ELi64ELi64ELi4ELi64ELi4ELi4ELi64ELc67ELc84EKfS1_fEEvlllT_PT11_llS4_llS2_PT12_llPT13_lli.num_vgpr, 74
	.set _ZN12_GLOBAL__N_127rocblas_gemm_batched_kernelIfLi16ELi16ELi64ELi64ELi4ELi64ELi4ELi4ELi64ELc67ELc84EKfS1_fEEvlllT_PT11_llS4_llS2_PT12_llPT13_lli.num_agpr, 0
	.set _ZN12_GLOBAL__N_127rocblas_gemm_batched_kernelIfLi16ELi16ELi64ELi64ELi4ELi64ELi4ELi4ELi64ELc67ELc84EKfS1_fEEvlllT_PT11_llS4_llS2_PT12_llPT13_lli.numbered_sgpr, 38
	.set _ZN12_GLOBAL__N_127rocblas_gemm_batched_kernelIfLi16ELi16ELi64ELi64ELi4ELi64ELi4ELi4ELi64ELc67ELc84EKfS1_fEEvlllT_PT11_llS4_llS2_PT12_llPT13_lli.num_named_barrier, 0
	.set _ZN12_GLOBAL__N_127rocblas_gemm_batched_kernelIfLi16ELi16ELi64ELi64ELi4ELi64ELi4ELi4ELi64ELc67ELc84EKfS1_fEEvlllT_PT11_llS4_llS2_PT12_llPT13_lli.private_seg_size, 0
	.set _ZN12_GLOBAL__N_127rocblas_gemm_batched_kernelIfLi16ELi16ELi64ELi64ELi4ELi64ELi4ELi4ELi64ELc67ELc84EKfS1_fEEvlllT_PT11_llS4_llS2_PT12_llPT13_lli.uses_vcc, 1
	.set _ZN12_GLOBAL__N_127rocblas_gemm_batched_kernelIfLi16ELi16ELi64ELi64ELi4ELi64ELi4ELi4ELi64ELc67ELc84EKfS1_fEEvlllT_PT11_llS4_llS2_PT12_llPT13_lli.uses_flat_scratch, 0
	.set _ZN12_GLOBAL__N_127rocblas_gemm_batched_kernelIfLi16ELi16ELi64ELi64ELi4ELi64ELi4ELi4ELi64ELc67ELc84EKfS1_fEEvlllT_PT11_llS4_llS2_PT12_llPT13_lli.has_dyn_sized_stack, 0
	.set _ZN12_GLOBAL__N_127rocblas_gemm_batched_kernelIfLi16ELi16ELi64ELi64ELi4ELi64ELi4ELi4ELi64ELc67ELc84EKfS1_fEEvlllT_PT11_llS4_llS2_PT12_llPT13_lli.has_recursion, 0
	.set _ZN12_GLOBAL__N_127rocblas_gemm_batched_kernelIfLi16ELi16ELi64ELi64ELi4ELi64ELi4ELi4ELi64ELc67ELc84EKfS1_fEEvlllT_PT11_llS4_llS2_PT12_llPT13_lli.has_indirect_call, 0
	.section	.AMDGPU.csdata,"",@progbits
; Kernel info:
; codeLenInByte = 2324
; TotalNumSgprs: 40
; NumVgprs: 74
; ScratchSize: 0
; MemoryBound: 0
; FloatMode: 240
; IeeeMode: 1
; LDSByteSize: 2048 bytes/workgroup (compile time only)
; SGPRBlocks: 0
; VGPRBlocks: 4
; NumSGPRsForWavesPerEU: 40
; NumVGPRsForWavesPerEU: 74
; NamedBarCnt: 0
; Occupancy: 12
; WaveLimiterHint : 0
; COMPUTE_PGM_RSRC2:SCRATCH_EN: 0
; COMPUTE_PGM_RSRC2:USER_SGPR: 2
; COMPUTE_PGM_RSRC2:TRAP_HANDLER: 0
; COMPUTE_PGM_RSRC2:TGID_X_EN: 1
; COMPUTE_PGM_RSRC2:TGID_Y_EN: 1
; COMPUTE_PGM_RSRC2:TGID_Z_EN: 1
; COMPUTE_PGM_RSRC2:TIDIG_COMP_CNT: 1
	.section	.text._ZN12_GLOBAL__N_127rocblas_gemm_batched_kernelIfLi16ELi16ELi64ELi64ELi4ELi64ELi4ELi4ELi64ELc78ELc67EKfS1_fEEvlllT_PT11_llS4_llS2_PT12_llPT13_lli,"axG",@progbits,_ZN12_GLOBAL__N_127rocblas_gemm_batched_kernelIfLi16ELi16ELi64ELi64ELi4ELi64ELi4ELi4ELi64ELc78ELc67EKfS1_fEEvlllT_PT11_llS4_llS2_PT12_llPT13_lli,comdat
	.globl	_ZN12_GLOBAL__N_127rocblas_gemm_batched_kernelIfLi16ELi16ELi64ELi64ELi4ELi64ELi4ELi4ELi64ELc78ELc67EKfS1_fEEvlllT_PT11_llS4_llS2_PT12_llPT13_lli ; -- Begin function _ZN12_GLOBAL__N_127rocblas_gemm_batched_kernelIfLi16ELi16ELi64ELi64ELi4ELi64ELi4ELi4ELi64ELc78ELc67EKfS1_fEEvlllT_PT11_llS4_llS2_PT12_llPT13_lli
	.p2align	8
	.type	_ZN12_GLOBAL__N_127rocblas_gemm_batched_kernelIfLi16ELi16ELi64ELi64ELi4ELi64ELi4ELi4ELi64ELc78ELc67EKfS1_fEEvlllT_PT11_llS4_llS2_PT12_llPT13_lli,@function
_ZN12_GLOBAL__N_127rocblas_gemm_batched_kernelIfLi16ELi16ELi64ELi64ELi4ELi64ELi4ELi4ELi64ELc78ELc67EKfS1_fEEvlllT_PT11_llS4_llS2_PT12_llPT13_lli: ; @_ZN12_GLOBAL__N_127rocblas_gemm_batched_kernelIfLi16ELi16ELi64ELi64ELi4ELi64ELi4ELi4ELi64ELc78ELc67EKfS1_fEEvlllT_PT11_llS4_llS2_PT12_llPT13_lli
; %bb.0:
	s_load_b32 s31, s[0:1], 0x88
	s_bfe_u32 s2, ttmp6, 0x40014
	s_lshr_b32 s3, ttmp7, 16
	s_add_co_i32 s2, s2, 1
	s_bfe_u32 s4, ttmp6, 0x40008
	s_mul_i32 s2, s3, s2
	s_getreg_b32 s20, hwreg(HW_REG_IB_STS2, 6, 4)
	s_add_co_i32 s4, s4, s2
	s_cmp_eq_u32 s20, 0
	s_cselect_b32 s2, s3, s4
	s_mov_b32 s3, 0
	s_wait_kmcnt 0x0
	s_cmp_ge_i32 s2, s31
	s_cbranch_scc1 .LBB314_10
; %bb.1:
	s_bfe_u32 s21, ttmp6, 0x4000c
	s_bfe_u32 s23, ttmp6, 0x40010
	s_clause 0x2
	s_load_b256 s[12:19], s[0:1], 0x20
	s_load_b128 s[24:27], s[0:1], 0x40
	s_load_b256 s[4:11], s[0:1], 0x58
	s_add_co_i32 s21, s21, 1
	s_and_b32 s28, ttmp7, 0xffff
	s_add_co_i32 s23, s23, 1
	s_and_b32 s22, ttmp6, 15
	s_mul_i32 s21, ttmp9, s21
	s_mul_i32 s23, s28, s23
	s_bfe_u32 s29, ttmp6, 0x40004
	s_add_co_i32 s22, s22, s21
	s_add_co_i32 s29, s29, s23
	s_cmp_eq_u32 s20, 0
	v_bfe_u32 v2, v0, 10, 10
	v_mov_b32_e32 v3, 0
	s_cselect_b32 s20, s28, s29
	s_cselect_b32 s28, ttmp9, s22
	s_lshl_b32 s34, s20, 6
	s_load_b128 s[20:23], s[0:1], 0x78
	s_mov_b32 s35, s3
	v_and_b32_e32 v4, 0x3ff, v0
	v_lshlrev_b32_e32 v16, 4, v2
	v_add_nc_u64_e32 v[6:7], s[34:35], v[2:3]
	v_mov_b32_e32 v9, v3
	s_ashr_i32 s29, s28, 31
	s_load_b32 s33, s[0:1], 0x50
	v_add_nc_u32_e32 v1, v16, v4
	v_and_b32_e32 v5, 3, v0
	s_lshl_b64 s[36:37], s[28:29], 6
	s_wait_kmcnt 0x0
	v_mul_u64_e32 v[10:11], s[6:7], v[6:7]
	s_load_b96 s[28:30], s[0:1], 0x10
	v_dual_lshrrev_b32 v8, 2, v1 :: v_dual_lshrrev_b32 v17, 6, v1
	v_dual_lshlrev_b32 v32, 2, v4 :: v_dual_bitop2_b32 v2, 63, v1 bitop3:0x40
	v_add_nc_u32_e32 v33, 0x400, v16
	s_delay_alu instid0(VALU_DEP_3) | instskip(NEXT) | instid1(VALU_DEP_4)
	v_mad_nc_u64_u32 v[12:13], s24, v5, v[8:9]
	v_mad_nc_u64_u32 v[14:15], s14, v17, s[36:37]
	v_mul_u64_e32 v[0:1], s[20:21], v[6:7]
	v_dual_lshlrev_b32 v9, 2, v5 :: v_dual_lshlrev_b32 v6, 2, v2
	s_delay_alu instid0(VALU_DEP_1) | instskip(NEXT) | instid1(VALU_DEP_2)
	v_lshl_or_b32 v7, v8, 4, v9
	v_lshl_or_b32 v30, v17, 8, v6
	s_cmp_eq_f32 s33, 0
	v_mad_u32 v13, s25, v5, v13
	v_mad_u32 v15, s15, v17, v15
	v_mov_b32_e32 v5, v3
	s_wait_kmcnt 0x0
	v_cmp_gt_i64_e64 s0, s[28:29], 0
	v_add_nc_u32_e32 v31, 0x400, v7
	s_cselect_b32 s1, -1, 0
	s_lshl_b64 s[20:21], s[20:21], 4
	v_add_nc_u64_e32 v[8:9], s[36:37], v[4:5]
	s_lshl_b64 s[14:15], s[14:15], 4
	v_add_nc_u64_e32 v[6:7], s[34:35], v[12:13]
	v_add_nc_u64_e32 v[12:13], v[14:15], v[2:3]
	s_lshl_b64 s[34:35], s[6:7], 4
	v_lshl_add_u64 v[2:3], v[10:11], 2, s[4:5]
	v_cndmask_b32_e64 v10, 0, 1, s0
	v_lshlrev_b64_e32 v[8:9], 2, v[8:9]
	s_lshl_b64 s[4:5], s[26:27], 2
	v_lshl_add_u64 v[4:5], v[6:7], 2, s[18:19]
	v_lshl_add_u64 v[6:7], v[12:13], 2, s[12:13]
	v_cmp_ne_u32_e64 s0, 1, v10
	s_lshl_b64 s[6:7], s[24:25], 4
	s_lshl_b64 s[12:13], s[16:17], 2
	;; [unrolled: 1-line block ×4, first 2 shown]
	s_branch .LBB314_3
.LBB314_2:                              ;   in Loop: Header=BB314_3 Depth=1
	s_add_co_i32 s2, s2, 0x10000
	s_delay_alu instid0(SALU_CYCLE_1)
	s_cmp_lt_i32 s2, s31
	s_cbranch_scc0 .LBB314_10
.LBB314_3:                              ; =>This Loop Header: Depth=1
                                        ;     Child Loop BB314_5 Depth 2
	v_dual_mov_b32 v25, 0 :: v_dual_mov_b32 v24, 0
	v_dual_mov_b32 v23, 0 :: v_dual_mov_b32 v22, 0
	v_dual_mov_b32 v21, 0 :: v_dual_mov_b32 v20, 0
	s_wait_xcnt 0x6
	v_dual_mov_b32 v19, 0 :: v_dual_mov_b32 v18, 0
	s_wait_xcnt 0x1
	v_dual_mov_b32 v17, 0 :: v_dual_mov_b32 v16, 0
	s_wait_xcnt 0x0
	v_dual_mov_b32 v15, 0 :: v_dual_mov_b32 v14, 0
	v_dual_mov_b32 v13, 0 :: v_dual_mov_b32 v12, 0
	v_dual_mov_b32 v11, 0 :: v_dual_mov_b32 v10, 0
	s_and_b32 vcc_lo, exec_lo, s0
	s_cbranch_vccnz .LBB314_6
; %bb.4:                                ;   in Loop: Header=BB314_3 Depth=1
	v_mad_nc_u64_u32 v[26:27], s4, s2, v[4:5]
	v_mad_nc_u64_u32 v[28:29], s12, s2, v[6:7]
	v_mov_b32_e32 v10, 0
	s_mov_b64 s[20:21], 0
	s_delay_alu instid0(VALU_DEP_1)
	v_dual_mov_b32 v11, v10 :: v_dual_mov_b32 v12, v10
	v_dual_mov_b32 v13, v10 :: v_dual_mov_b32 v14, v10
	v_mad_u32 v27, s5, s2, v27
	v_mad_u32 v29, s13, s2, v29
	v_dual_mov_b32 v15, v10 :: v_dual_mov_b32 v16, v10
	v_dual_mov_b32 v17, v10 :: v_dual_mov_b32 v18, v10
	;; [unrolled: 1-line block ×5, first 2 shown]
	v_mov_b32_e32 v25, v10
.LBB314_5:                              ;   Parent Loop BB314_3 Depth=1
                                        ; =>  This Inner Loop Header: Depth=2
	global_load_b32 v34, v[28:29], off
	global_load_b32 v35, v[26:27], off
	s_add_nc_u64 s[20:21], s[20:21], 4
	s_wait_xcnt 0x0
	v_add_nc_u64_e32 v[26:27], s[6:7], v[26:27]
	v_cmp_lt_i64_e64 s24, s[20:21], s[28:29]
	v_add_nc_u64_e32 v[28:29], s[14:15], v[28:29]
	s_wait_loadcnt 0x1
	ds_store_b32 v30, v34
	s_wait_loadcnt 0x0
	ds_store_b32 v31, v35
	s_wait_dscnt 0x0
	s_barrier_signal -1
	s_barrier_wait -1
	ds_load_2addr_b32 v[50:51], v32 offset1:16
	ds_load_2addr_b32 v[52:53], v32 offset0:64 offset1:80
	ds_load_2addr_b32 v[54:55], v32 offset0:128 offset1:144
	;; [unrolled: 1-line block ×6, first 2 shown]
	ds_load_b128 v[34:37], v33
	ds_load_b128 v[38:41], v33 offset:256
	ds_load_2addr_b32 v[64:65], v32 offset0:224 offset1:240
	ds_load_b128 v[42:45], v33 offset:512
	ds_load_b128 v[46:49], v33 offset:768
	s_and_b32 vcc_lo, exec_lo, s24
	s_wait_dscnt 0x0
	s_barrier_signal -1
	s_barrier_wait -1
	v_dual_mov_b32 v66, v51 :: v_dual_mov_b32 v67, v50
	v_dual_mov_b32 v50, v53 :: v_dual_mov_b32 v51, v52
	;; [unrolled: 1-line block ×6, first 2 shown]
	v_pk_fma_f32 v[24:25], v[66:67], v[34:35], v[24:25] op_sel_hi:[1,0,1]
	v_pk_fma_f32 v[20:21], v[66:67], v[38:39], v[20:21] op_sel_hi:[1,0,1]
	s_delay_alu instid0(VALU_DEP_4)
	v_pk_fma_f32 v[22:23], v[56:57], v[34:35], v[22:23] op_sel_hi:[1,0,1]
	v_pk_fma_f32 v[16:17], v[66:67], v[42:43], v[16:17] op_sel_hi:[1,0,1]
	;; [unrolled: 1-line block ×6, first 2 shown]
	v_dual_mov_b32 v60, v63 :: v_dual_mov_b32 v61, v62
	v_pk_fma_f32 v[24:25], v[50:51], v[34:35], v[24:25] op_sel:[0,1,0]
	v_pk_fma_f32 v[22:23], v[58:59], v[34:35], v[22:23] op_sel:[0,1,0]
	;; [unrolled: 1-line block ×8, first 2 shown]
	v_dual_mov_b32 v62, v37 :: v_dual_mov_b32 v68, v65
	v_dual_mov_b32 v69, v64 :: v_dual_mov_b32 v64, v41
	;; [unrolled: 1-line block ×3, first 2 shown]
	v_pk_fma_f32 v[24:25], v[52:53], v[36:37], v[24:25] op_sel_hi:[1,0,1]
	v_pk_fma_f32 v[22:23], v[60:61], v[36:37], v[22:23] op_sel_hi:[1,0,1]
	;; [unrolled: 1-line block ×16, first 2 shown]
	s_cbranch_vccnz .LBB314_5
.LBB314_6:                              ;   in Loop: Header=BB314_3 Depth=1
	s_mul_u64 s[20:21], s[22:23], s[2:3]
	s_and_not1_b32 vcc_lo, exec_lo, s1
	s_lshl_b64 s[20:21], s[20:21], 2
	s_delay_alu instid0(SALU_CYCLE_1) | instskip(NEXT) | instid1(SALU_CYCLE_1)
	s_add_nc_u64 s[20:21], s[10:11], s[20:21]
	v_lshl_add_u64 v[26:27], v[0:1], 2, s[20:21]
	s_delay_alu instid0(VALU_DEP_1)
	v_add_nc_u64_e32 v[28:29], v[26:27], v[8:9]
	v_add_nc_u64_e32 v[26:27], s[16:17], v[26:27]
	s_cbranch_vccnz .LBB314_8
; %bb.7:                                ;   in Loop: Header=BB314_3 Depth=1
	v_dual_mul_f32 v36, s30, v25 :: v_dual_mul_f32 v37, s30, v24
	s_delay_alu instid0(VALU_DEP_2)
	v_add_nc_u64_e32 v[34:35], s[16:17], v[26:27]
	v_dual_mul_f32 v38, s30, v23 :: v_dual_mul_f32 v39, s30, v22
	s_clause 0x3
	global_store_b32 v[28:29], v36, off
	global_store_b32 v[28:29], v37, off offset:64
	global_store_b32 v[28:29], v38, off offset:128
	;; [unrolled: 1-line block ×3, first 2 shown]
	s_wait_xcnt 0x2
	v_add_nc_u64_e32 v[36:37], v[26:27], v[8:9]
	v_dual_mul_f32 v40, s30, v21 :: v_dual_mul_f32 v41, s30, v20
	s_wait_xcnt 0x0
	v_add_nc_u64_e32 v[38:39], v[34:35], v[8:9]
	v_add_nc_u64_e32 v[34:35], s[16:17], v[34:35]
	v_dual_mul_f32 v42, s30, v19 :: v_dual_mul_f32 v43, s30, v18
	s_clause 0x3
	global_store_b32 v[36:37], v40, off
	global_store_b32 v[36:37], v41, off offset:64
	global_store_b32 v[36:37], v42, off offset:128
	;; [unrolled: 1-line block ×3, first 2 shown]
	s_wait_xcnt 0x0
	v_dual_mul_f32 v36, s30, v17 :: v_dual_mul_f32 v37, s30, v16
	v_dual_mul_f32 v40, s30, v15 :: v_dual_mul_f32 v41, s30, v14
	v_add_nc_u64_e32 v[34:35], v[34:35], v[8:9]
	s_clause 0x3
	global_store_b32 v[38:39], v36, off
	global_store_b32 v[38:39], v37, off offset:64
	global_store_b32 v[38:39], v40, off offset:128
	;; [unrolled: 1-line block ×3, first 2 shown]
	s_wait_xcnt 0x2
	v_dual_mul_f32 v36, s30, v13 :: v_dual_mul_f32 v37, s30, v12
	s_wait_xcnt 0x0
	v_dual_mul_f32 v38, s30, v11 :: v_dual_mul_f32 v39, s30, v10
	s_clause 0x3
	global_store_b32 v[34:35], v36, off
	global_store_b32 v[34:35], v37, off offset:64
	global_store_b32 v[34:35], v38, off offset:128
	;; [unrolled: 1-line block ×3, first 2 shown]
	s_cbranch_execnz .LBB314_2
	s_branch .LBB314_9
.LBB314_8:                              ;   in Loop: Header=BB314_3 Depth=1
.LBB314_9:                              ;   in Loop: Header=BB314_3 Depth=1
	s_mul_u64 s[20:21], s[8:9], s[2:3]
	s_wait_xcnt 0x0
	v_lshl_add_u64 v[34:35], s[20:21], 2, v[2:3]
	s_delay_alu instid0(VALU_DEP_1) | instskip(SKIP_3) | instid1(VALU_DEP_1)
	v_add_nc_u64_e32 v[36:37], v[34:35], v[8:9]
	global_load_b32 v38, v[36:37], off
	s_wait_loadcnt 0x0
	v_mul_f32_e32 v38, s33, v38
	v_fmac_f32_e32 v38, s30, v25
	global_store_b32 v[28:29], v38, off
	global_load_b32 v25, v[36:37], off offset:64
	s_wait_loadcnt 0x0
	v_mul_f32_e32 v25, s33, v25
	s_delay_alu instid0(VALU_DEP_1) | instskip(SKIP_4) | instid1(VALU_DEP_1)
	v_fmac_f32_e32 v25, s30, v24
	global_store_b32 v[28:29], v25, off offset:64
	global_load_b32 v24, v[36:37], off offset:128
	s_wait_loadcnt 0x0
	v_mul_f32_e32 v24, s33, v24
	v_fmac_f32_e32 v24, s30, v23
	global_store_b32 v[28:29], v24, off offset:128
	global_load_b32 v23, v[36:37], off offset:192
	s_wait_xcnt 0x1
	v_add_nc_u64_e32 v[24:25], s[18:19], v[34:35]
	s_delay_alu instid0(VALU_DEP_1) | instskip(SKIP_2) | instid1(VALU_DEP_1)
	v_add_nc_u64_e32 v[34:35], v[24:25], v[8:9]
	s_wait_loadcnt 0x0
	v_mul_f32_e32 v23, s33, v23
	v_fmac_f32_e32 v23, s30, v22
	global_store_b32 v[28:29], v23, off offset:192
	global_load_b32 v22, v[34:35], off
	s_wait_loadcnt 0x0
	s_wait_xcnt 0x1
	v_mul_f32_e32 v28, s33, v22
	v_add_nc_u64_e32 v[22:23], v[26:27], v[8:9]
	s_delay_alu instid0(VALU_DEP_2) | instskip(SKIP_4) | instid1(VALU_DEP_1)
	v_fmac_f32_e32 v28, s30, v21
	global_store_b32 v[22:23], v28, off
	global_load_b32 v21, v[34:35], off offset:64
	s_wait_loadcnt 0x0
	v_mul_f32_e32 v21, s33, v21
	v_fmac_f32_e32 v21, s30, v20
	global_store_b32 v[22:23], v21, off offset:64
	global_load_b32 v20, v[34:35], off offset:128
	s_wait_loadcnt 0x0
	v_mul_f32_e32 v20, s33, v20
	s_delay_alu instid0(VALU_DEP_1) | instskip(SKIP_4) | instid1(VALU_DEP_1)
	v_fmac_f32_e32 v20, s30, v19
	global_store_b32 v[22:23], v20, off offset:128
	global_load_b32 v19, v[34:35], off offset:192
	s_wait_xcnt 0x1
	v_add_nc_u64_e32 v[20:21], s[18:19], v[24:25]
	v_add_nc_u64_e32 v[24:25], v[20:21], v[8:9]
	s_wait_loadcnt 0x0
	v_mul_f32_e32 v19, s33, v19
	s_delay_alu instid0(VALU_DEP_1)
	v_fmac_f32_e32 v19, s30, v18
	global_store_b32 v[22:23], v19, off offset:192
	global_load_b32 v22, v[24:25], off
	v_add_nc_u64_e32 v[18:19], s[16:17], v[26:27]
	s_wait_loadcnt 0x0
	v_mul_f32_e32 v26, s33, v22
	s_delay_alu instid0(VALU_DEP_2) | instskip(NEXT) | instid1(VALU_DEP_2)
	v_add_nc_u64_e32 v[22:23], v[18:19], v[8:9]
	v_fmac_f32_e32 v26, s30, v17
	global_store_b32 v[22:23], v26, off
	global_load_b32 v17, v[24:25], off offset:64
	s_wait_loadcnt 0x0
	v_mul_f32_e32 v17, s33, v17
	s_delay_alu instid0(VALU_DEP_1) | instskip(SKIP_4) | instid1(VALU_DEP_1)
	v_fmac_f32_e32 v17, s30, v16
	global_store_b32 v[22:23], v17, off offset:64
	global_load_b32 v16, v[24:25], off offset:128
	s_wait_loadcnt 0x0
	v_mul_f32_e32 v16, s33, v16
	v_fmac_f32_e32 v16, s30, v15
	global_store_b32 v[22:23], v16, off offset:128
	global_load_b32 v15, v[24:25], off offset:192
	s_wait_xcnt 0x1
	v_add_nc_u64_e32 v[16:17], s[18:19], v[20:21]
	s_delay_alu instid0(VALU_DEP_1) | instskip(SKIP_2) | instid1(VALU_DEP_1)
	v_add_nc_u64_e32 v[16:17], v[16:17], v[8:9]
	s_wait_loadcnt 0x0
	v_mul_f32_e32 v15, s33, v15
	v_fmac_f32_e32 v15, s30, v14
	global_store_b32 v[22:23], v15, off offset:192
	global_load_b32 v20, v[16:17], off
	s_wait_xcnt 0x1
	v_add_nc_u64_e32 v[14:15], s[16:17], v[18:19]
	s_delay_alu instid0(VALU_DEP_1) | instskip(SKIP_2) | instid1(VALU_DEP_1)
	v_add_nc_u64_e32 v[14:15], v[14:15], v[8:9]
	s_wait_loadcnt 0x0
	v_mul_f32_e32 v18, s33, v20
	v_fmac_f32_e32 v18, s30, v13
	global_store_b32 v[14:15], v18, off
	global_load_b32 v13, v[16:17], off offset:64
	s_wait_loadcnt 0x0
	v_mul_f32_e32 v13, s33, v13
	s_delay_alu instid0(VALU_DEP_1) | instskip(SKIP_4) | instid1(VALU_DEP_1)
	v_fmac_f32_e32 v13, s30, v12
	global_store_b32 v[14:15], v13, off offset:64
	global_load_b32 v12, v[16:17], off offset:128
	s_wait_loadcnt 0x0
	v_mul_f32_e32 v12, s33, v12
	v_fmac_f32_e32 v12, s30, v11
	global_store_b32 v[14:15], v12, off offset:128
	global_load_b32 v11, v[16:17], off offset:192
	s_wait_loadcnt 0x0
	v_mul_f32_e32 v11, s33, v11
	s_delay_alu instid0(VALU_DEP_1)
	v_fmac_f32_e32 v11, s30, v10
	global_store_b32 v[14:15], v11, off offset:192
	s_branch .LBB314_2
.LBB314_10:
	s_sendmsg sendmsg(MSG_DEALLOC_VGPRS)
	s_endpgm
	.section	.rodata,"a",@progbits
	.p2align	6, 0x0
	.amdhsa_kernel _ZN12_GLOBAL__N_127rocblas_gemm_batched_kernelIfLi16ELi16ELi64ELi64ELi4ELi64ELi4ELi4ELi64ELc78ELc67EKfS1_fEEvlllT_PT11_llS4_llS2_PT12_llPT13_lli
		.amdhsa_group_segment_fixed_size 2048
		.amdhsa_private_segment_fixed_size 0
		.amdhsa_kernarg_size 140
		.amdhsa_user_sgpr_count 2
		.amdhsa_user_sgpr_dispatch_ptr 0
		.amdhsa_user_sgpr_queue_ptr 0
		.amdhsa_user_sgpr_kernarg_segment_ptr 1
		.amdhsa_user_sgpr_dispatch_id 0
		.amdhsa_user_sgpr_kernarg_preload_length 0
		.amdhsa_user_sgpr_kernarg_preload_offset 0
		.amdhsa_user_sgpr_private_segment_size 0
		.amdhsa_wavefront_size32 1
		.amdhsa_uses_dynamic_stack 0
		.amdhsa_enable_private_segment 0
		.amdhsa_system_sgpr_workgroup_id_x 1
		.amdhsa_system_sgpr_workgroup_id_y 1
		.amdhsa_system_sgpr_workgroup_id_z 1
		.amdhsa_system_sgpr_workgroup_info 0
		.amdhsa_system_vgpr_workitem_id 1
		.amdhsa_next_free_vgpr 74
		.amdhsa_next_free_sgpr 38
		.amdhsa_named_barrier_count 0
		.amdhsa_reserve_vcc 1
		.amdhsa_float_round_mode_32 0
		.amdhsa_float_round_mode_16_64 0
		.amdhsa_float_denorm_mode_32 3
		.amdhsa_float_denorm_mode_16_64 3
		.amdhsa_fp16_overflow 0
		.amdhsa_memory_ordered 1
		.amdhsa_forward_progress 1
		.amdhsa_inst_pref_size 19
		.amdhsa_round_robin_scheduling 0
		.amdhsa_exception_fp_ieee_invalid_op 0
		.amdhsa_exception_fp_denorm_src 0
		.amdhsa_exception_fp_ieee_div_zero 0
		.amdhsa_exception_fp_ieee_overflow 0
		.amdhsa_exception_fp_ieee_underflow 0
		.amdhsa_exception_fp_ieee_inexact 0
		.amdhsa_exception_int_div_zero 0
	.end_amdhsa_kernel
	.section	.text._ZN12_GLOBAL__N_127rocblas_gemm_batched_kernelIfLi16ELi16ELi64ELi64ELi4ELi64ELi4ELi4ELi64ELc78ELc67EKfS1_fEEvlllT_PT11_llS4_llS2_PT12_llPT13_lli,"axG",@progbits,_ZN12_GLOBAL__N_127rocblas_gemm_batched_kernelIfLi16ELi16ELi64ELi64ELi4ELi64ELi4ELi4ELi64ELc78ELc67EKfS1_fEEvlllT_PT11_llS4_llS2_PT12_llPT13_lli,comdat
.Lfunc_end314:
	.size	_ZN12_GLOBAL__N_127rocblas_gemm_batched_kernelIfLi16ELi16ELi64ELi64ELi4ELi64ELi4ELi4ELi64ELc78ELc67EKfS1_fEEvlllT_PT11_llS4_llS2_PT12_llPT13_lli, .Lfunc_end314-_ZN12_GLOBAL__N_127rocblas_gemm_batched_kernelIfLi16ELi16ELi64ELi64ELi4ELi64ELi4ELi4ELi64ELc78ELc67EKfS1_fEEvlllT_PT11_llS4_llS2_PT12_llPT13_lli
                                        ; -- End function
	.set _ZN12_GLOBAL__N_127rocblas_gemm_batched_kernelIfLi16ELi16ELi64ELi64ELi4ELi64ELi4ELi4ELi64ELc78ELc67EKfS1_fEEvlllT_PT11_llS4_llS2_PT12_llPT13_lli.num_vgpr, 74
	.set _ZN12_GLOBAL__N_127rocblas_gemm_batched_kernelIfLi16ELi16ELi64ELi64ELi4ELi64ELi4ELi4ELi64ELc78ELc67EKfS1_fEEvlllT_PT11_llS4_llS2_PT12_llPT13_lli.num_agpr, 0
	.set _ZN12_GLOBAL__N_127rocblas_gemm_batched_kernelIfLi16ELi16ELi64ELi64ELi4ELi64ELi4ELi4ELi64ELc78ELc67EKfS1_fEEvlllT_PT11_llS4_llS2_PT12_llPT13_lli.numbered_sgpr, 38
	.set _ZN12_GLOBAL__N_127rocblas_gemm_batched_kernelIfLi16ELi16ELi64ELi64ELi4ELi64ELi4ELi4ELi64ELc78ELc67EKfS1_fEEvlllT_PT11_llS4_llS2_PT12_llPT13_lli.num_named_barrier, 0
	.set _ZN12_GLOBAL__N_127rocblas_gemm_batched_kernelIfLi16ELi16ELi64ELi64ELi4ELi64ELi4ELi4ELi64ELc78ELc67EKfS1_fEEvlllT_PT11_llS4_llS2_PT12_llPT13_lli.private_seg_size, 0
	.set _ZN12_GLOBAL__N_127rocblas_gemm_batched_kernelIfLi16ELi16ELi64ELi64ELi4ELi64ELi4ELi4ELi64ELc78ELc67EKfS1_fEEvlllT_PT11_llS4_llS2_PT12_llPT13_lli.uses_vcc, 1
	.set _ZN12_GLOBAL__N_127rocblas_gemm_batched_kernelIfLi16ELi16ELi64ELi64ELi4ELi64ELi4ELi4ELi64ELc78ELc67EKfS1_fEEvlllT_PT11_llS4_llS2_PT12_llPT13_lli.uses_flat_scratch, 0
	.set _ZN12_GLOBAL__N_127rocblas_gemm_batched_kernelIfLi16ELi16ELi64ELi64ELi4ELi64ELi4ELi4ELi64ELc78ELc67EKfS1_fEEvlllT_PT11_llS4_llS2_PT12_llPT13_lli.has_dyn_sized_stack, 0
	.set _ZN12_GLOBAL__N_127rocblas_gemm_batched_kernelIfLi16ELi16ELi64ELi64ELi4ELi64ELi4ELi4ELi64ELc78ELc67EKfS1_fEEvlllT_PT11_llS4_llS2_PT12_llPT13_lli.has_recursion, 0
	.set _ZN12_GLOBAL__N_127rocblas_gemm_batched_kernelIfLi16ELi16ELi64ELi64ELi4ELi64ELi4ELi4ELi64ELc78ELc67EKfS1_fEEvlllT_PT11_llS4_llS2_PT12_llPT13_lli.has_indirect_call, 0
	.section	.AMDGPU.csdata,"",@progbits
; Kernel info:
; codeLenInByte = 2328
; TotalNumSgprs: 40
; NumVgprs: 74
; ScratchSize: 0
; MemoryBound: 0
; FloatMode: 240
; IeeeMode: 1
; LDSByteSize: 2048 bytes/workgroup (compile time only)
; SGPRBlocks: 0
; VGPRBlocks: 4
; NumSGPRsForWavesPerEU: 40
; NumVGPRsForWavesPerEU: 74
; NamedBarCnt: 0
; Occupancy: 12
; WaveLimiterHint : 0
; COMPUTE_PGM_RSRC2:SCRATCH_EN: 0
; COMPUTE_PGM_RSRC2:USER_SGPR: 2
; COMPUTE_PGM_RSRC2:TRAP_HANDLER: 0
; COMPUTE_PGM_RSRC2:TGID_X_EN: 1
; COMPUTE_PGM_RSRC2:TGID_Y_EN: 1
; COMPUTE_PGM_RSRC2:TGID_Z_EN: 1
; COMPUTE_PGM_RSRC2:TIDIG_COMP_CNT: 1
	.section	.text._ZN12_GLOBAL__N_127rocblas_gemm_batched_kernelIfLi16ELi16ELi64ELi64ELi4ELi64ELi4ELi4ELi64ELc84ELc67EKfS1_fEEvlllT_PT11_llS4_llS2_PT12_llPT13_lli,"axG",@progbits,_ZN12_GLOBAL__N_127rocblas_gemm_batched_kernelIfLi16ELi16ELi64ELi64ELi4ELi64ELi4ELi4ELi64ELc84ELc67EKfS1_fEEvlllT_PT11_llS4_llS2_PT12_llPT13_lli,comdat
	.globl	_ZN12_GLOBAL__N_127rocblas_gemm_batched_kernelIfLi16ELi16ELi64ELi64ELi4ELi64ELi4ELi4ELi64ELc84ELc67EKfS1_fEEvlllT_PT11_llS4_llS2_PT12_llPT13_lli ; -- Begin function _ZN12_GLOBAL__N_127rocblas_gemm_batched_kernelIfLi16ELi16ELi64ELi64ELi4ELi64ELi4ELi4ELi64ELc84ELc67EKfS1_fEEvlllT_PT11_llS4_llS2_PT12_llPT13_lli
	.p2align	8
	.type	_ZN12_GLOBAL__N_127rocblas_gemm_batched_kernelIfLi16ELi16ELi64ELi64ELi4ELi64ELi4ELi4ELi64ELc84ELc67EKfS1_fEEvlllT_PT11_llS4_llS2_PT12_llPT13_lli,@function
_ZN12_GLOBAL__N_127rocblas_gemm_batched_kernelIfLi16ELi16ELi64ELi64ELi4ELi64ELi4ELi4ELi64ELc84ELc67EKfS1_fEEvlllT_PT11_llS4_llS2_PT12_llPT13_lli: ; @_ZN12_GLOBAL__N_127rocblas_gemm_batched_kernelIfLi16ELi16ELi64ELi64ELi4ELi64ELi4ELi4ELi64ELc84ELc67EKfS1_fEEvlllT_PT11_llS4_llS2_PT12_llPT13_lli
; %bb.0:
	s_load_b32 s31, s[0:1], 0x88
	s_bfe_u32 s2, ttmp6, 0x40014
	s_lshr_b32 s3, ttmp7, 16
	s_add_co_i32 s2, s2, 1
	s_bfe_u32 s4, ttmp6, 0x40008
	s_mul_i32 s2, s3, s2
	s_getreg_b32 s20, hwreg(HW_REG_IB_STS2, 6, 4)
	s_add_co_i32 s4, s4, s2
	s_cmp_eq_u32 s20, 0
	s_cselect_b32 s2, s3, s4
	s_mov_b32 s3, 0
	s_wait_kmcnt 0x0
	s_cmp_ge_i32 s2, s31
	s_cbranch_scc1 .LBB315_10
; %bb.1:
	s_bfe_u32 s21, ttmp6, 0x4000c
	s_bfe_u32 s23, ttmp6, 0x40010
	s_add_co_i32 s21, s21, 1
	s_and_b32 s28, ttmp7, 0xffff
	s_add_co_i32 s23, s23, 1
	v_bfe_u32 v4, v0, 10, 10
	s_and_b32 s22, ttmp6, 15
	s_mul_i32 s21, ttmp9, s21
	s_mul_i32 s23, s28, s23
	s_bfe_u32 s29, ttmp6, 0x40004
	s_add_co_i32 s22, s22, s21
	s_add_co_i32 s29, s29, s23
	s_cmp_eq_u32 s20, 0
	v_and_b32_e32 v2, 0x3ff, v0
	v_dual_mov_b32 v5, 0 :: v_dual_lshlrev_b32 v16, 4, v4
	s_cselect_b32 s20, ttmp9, s22
	s_clause 0x2
	s_load_b256 s[12:19], s[0:1], 0x20
	s_load_b128 s[24:27], s[0:1], 0x40
	s_load_b256 s[4:11], s[0:1], 0x58
	s_cselect_b32 s22, s28, s29
	s_ashr_i32 s21, s20, 31
	s_lshl_b32 s34, s22, 6
	s_lshl_b64 s[36:37], s[20:21], 6
	v_add_nc_u32_e32 v1, v16, v2
	s_load_b128 s[20:23], s[0:1], 0x78
	s_mov_b32 s35, s3
	v_mov_b32_e32 v9, s37
	v_add_nc_u64_e32 v[6:7], s[34:35], v[4:5]
	v_and_b32_e32 v3, 63, v1
	s_clause 0x1
	s_load_b32 s33, s[0:1], 0x50
	s_load_b96 s[28:30], s[0:1], 0x10
	v_add_nc_u32_e32 v33, 0x400, v16
	v_dual_lshlrev_b32 v32, 2, v2 :: v_dual_bitop2_b32 v8, s36, v3 bitop3:0x54
	v_dual_lshrrev_b32 v10, 2, v1 :: v_dual_bitop2_b32 v4, 3, v0 bitop3:0x40
	v_mov_b32_e32 v11, v5
	s_wait_kmcnt 0x0
	s_delay_alu instid0(VALU_DEP_3)
	v_mul_u64_e32 v[8:9], s[14:15], v[8:9]
	v_mul_u64_e32 v[12:13], s[6:7], v[6:7]
	v_lshlrev_b32_e32 v17, 2, v4
	v_mad_nc_u64_u32 v[14:15], s24, v4, v[10:11]
	v_lshrrev_b32_e32 v11, 6, v1
	v_mul_u64_e32 v[0:1], s[20:21], v[6:7]
	v_dual_mov_b32 v3, v5 :: v_dual_lshlrev_b32 v6, 2, v3
	s_cmp_eq_f32 s33, 0
	v_cmp_gt_i64_e64 s0, s[28:29], 0
	s_delay_alu instid0(VALU_DEP_2)
	v_lshl_or_b32 v30, v11, 8, v6
	v_mad_u32 v15, s25, v4, v15
	v_lshl_or_b32 v4, v10, 4, v17
	s_cselect_b32 s1, -1, 0
	s_lshl_b64 s[14:15], s[20:21], 4
	s_lshl_b64 s[20:21], s[6:7], 4
	;; [unrolled: 1-line block ×3, first 2 shown]
	v_add_nc_u32_e32 v31, 0x400, v4
	v_lshlrev_b32_e32 v4, 2, v11
	v_add_nc_u64_e32 v[10:11], s[36:37], v[2:3]
	s_lshl_b64 s[14:15], s[14:15], 2
	v_add_nc_u64_e32 v[6:7], s[34:35], v[14:15]
	s_delay_alu instid0(VALU_DEP_3) | instskip(SKIP_2) | instid1(VALU_DEP_4)
	v_lshl_add_u64 v[8:9], v[8:9], 2, v[4:5]
	v_lshl_add_u64 v[2:3], v[12:13], 2, s[4:5]
	v_cndmask_b32_e64 v12, 0, 1, s0
	v_lshl_add_u64 v[4:5], v[6:7], 2, s[18:19]
	s_lshl_b64 s[4:5], s[26:27], 2
	v_add_nc_u64_e32 v[6:7], s[12:13], v[8:9]
	v_lshlrev_b64_e32 v[8:9], 2, v[10:11]
	v_cmp_ne_u32_e64 s0, 1, v12
	s_lshl_b64 s[12:13], s[16:17], 2
	s_lshl_b64 s[16:17], s[20:21], 2
	s_branch .LBB315_3
.LBB315_2:                              ;   in Loop: Header=BB315_3 Depth=1
	s_add_co_i32 s2, s2, 0x10000
	s_delay_alu instid0(SALU_CYCLE_1)
	s_cmp_lt_i32 s2, s31
	s_cbranch_scc0 .LBB315_10
.LBB315_3:                              ; =>This Loop Header: Depth=1
                                        ;     Child Loop BB315_5 Depth 2
	v_dual_mov_b32 v25, 0 :: v_dual_mov_b32 v24, 0
	v_dual_mov_b32 v23, 0 :: v_dual_mov_b32 v22, 0
	;; [unrolled: 1-line block ×3, first 2 shown]
	s_wait_xcnt 0x6
	v_dual_mov_b32 v19, 0 :: v_dual_mov_b32 v18, 0
	s_wait_xcnt 0x1
	v_dual_mov_b32 v17, 0 :: v_dual_mov_b32 v16, 0
	;; [unrolled: 2-line block ×3, first 2 shown]
	v_dual_mov_b32 v13, 0 :: v_dual_mov_b32 v12, 0
	v_dual_mov_b32 v11, 0 :: v_dual_mov_b32 v10, 0
	s_and_b32 vcc_lo, exec_lo, s0
	s_cbranch_vccnz .LBB315_6
; %bb.4:                                ;   in Loop: Header=BB315_3 Depth=1
	v_mad_nc_u64_u32 v[26:27], s4, s2, v[4:5]
	v_mad_nc_u64_u32 v[28:29], s12, s2, v[6:7]
	v_mov_b32_e32 v10, 0
	s_mov_b64 s[18:19], 0
	s_delay_alu instid0(VALU_DEP_1)
	v_dual_mov_b32 v11, v10 :: v_dual_mov_b32 v12, v10
	v_dual_mov_b32 v13, v10 :: v_dual_mov_b32 v14, v10
	v_mad_u32 v27, s5, s2, v27
	v_mad_u32 v29, s13, s2, v29
	v_dual_mov_b32 v15, v10 :: v_dual_mov_b32 v16, v10
	v_dual_mov_b32 v17, v10 :: v_dual_mov_b32 v18, v10
	v_dual_mov_b32 v19, v10 :: v_dual_mov_b32 v20, v10
	v_dual_mov_b32 v21, v10 :: v_dual_mov_b32 v22, v10
	v_dual_mov_b32 v23, v10 :: v_dual_mov_b32 v24, v10
	v_mov_b32_e32 v25, v10
.LBB315_5:                              ;   Parent Loop BB315_3 Depth=1
                                        ; =>  This Inner Loop Header: Depth=2
	global_load_b32 v34, v[28:29], off
	global_load_b32 v35, v[26:27], off
	s_add_nc_u64 s[18:19], s[18:19], 4
	s_wait_xcnt 0x0
	v_add_nc_u64_e32 v[26:27], s[6:7], v[26:27]
	v_cmp_lt_i64_e64 s20, s[18:19], s[28:29]
	v_add_nc_u64_e32 v[28:29], 16, v[28:29]
	s_wait_loadcnt 0x1
	ds_store_b32 v30, v34
	s_wait_loadcnt 0x0
	ds_store_b32 v31, v35
	s_wait_dscnt 0x0
	s_barrier_signal -1
	s_barrier_wait -1
	ds_load_2addr_b32 v[50:51], v32 offset1:16
	ds_load_2addr_b32 v[52:53], v32 offset0:64 offset1:80
	ds_load_2addr_b32 v[54:55], v32 offset0:128 offset1:144
	;; [unrolled: 1-line block ×6, first 2 shown]
	ds_load_b128 v[34:37], v33
	ds_load_b128 v[38:41], v33 offset:256
	ds_load_2addr_b32 v[64:65], v32 offset0:224 offset1:240
	ds_load_b128 v[42:45], v33 offset:512
	ds_load_b128 v[46:49], v33 offset:768
	s_and_b32 vcc_lo, exec_lo, s20
	s_wait_dscnt 0x0
	s_barrier_signal -1
	s_barrier_wait -1
	v_dual_mov_b32 v66, v51 :: v_dual_mov_b32 v67, v50
	v_dual_mov_b32 v50, v53 :: v_dual_mov_b32 v51, v52
	;; [unrolled: 1-line block ×6, first 2 shown]
	v_pk_fma_f32 v[24:25], v[66:67], v[34:35], v[24:25] op_sel_hi:[1,0,1]
	v_pk_fma_f32 v[20:21], v[66:67], v[38:39], v[20:21] op_sel_hi:[1,0,1]
	s_delay_alu instid0(VALU_DEP_4)
	v_pk_fma_f32 v[22:23], v[56:57], v[34:35], v[22:23] op_sel_hi:[1,0,1]
	v_pk_fma_f32 v[16:17], v[66:67], v[42:43], v[16:17] op_sel_hi:[1,0,1]
	;; [unrolled: 1-line block ×6, first 2 shown]
	v_dual_mov_b32 v60, v63 :: v_dual_mov_b32 v61, v62
	v_pk_fma_f32 v[24:25], v[50:51], v[34:35], v[24:25] op_sel:[0,1,0]
	v_pk_fma_f32 v[22:23], v[58:59], v[34:35], v[22:23] op_sel:[0,1,0]
	;; [unrolled: 1-line block ×8, first 2 shown]
	v_dual_mov_b32 v62, v37 :: v_dual_mov_b32 v68, v65
	v_dual_mov_b32 v69, v64 :: v_dual_mov_b32 v64, v41
	;; [unrolled: 1-line block ×3, first 2 shown]
	v_pk_fma_f32 v[24:25], v[52:53], v[36:37], v[24:25] op_sel_hi:[1,0,1]
	v_pk_fma_f32 v[22:23], v[60:61], v[36:37], v[22:23] op_sel_hi:[1,0,1]
	v_pk_fma_f32 v[20:21], v[52:53], v[40:41], v[20:21] op_sel_hi:[1,0,1]
	v_pk_fma_f32 v[18:19], v[60:61], v[40:41], v[18:19] op_sel_hi:[1,0,1]
	v_pk_fma_f32 v[16:17], v[52:53], v[44:45], v[16:17] op_sel_hi:[1,0,1]
	v_pk_fma_f32 v[14:15], v[60:61], v[44:45], v[14:15] op_sel_hi:[1,0,1]
	v_pk_fma_f32 v[12:13], v[52:53], v[48:49], v[12:13] op_sel_hi:[1,0,1]
	v_pk_fma_f32 v[10:11], v[60:61], v[48:49], v[10:11] op_sel_hi:[1,0,1]
	v_pk_fma_f32 v[24:25], v[54:55], v[62:63], v[24:25] op_sel_hi:[1,0,1]
	v_pk_fma_f32 v[22:23], v[68:69], v[62:63], v[22:23] op_sel_hi:[1,0,1]
	v_pk_fma_f32 v[20:21], v[54:55], v[64:65], v[20:21] op_sel_hi:[1,0,1]
	v_pk_fma_f32 v[18:19], v[68:69], v[64:65], v[18:19] op_sel_hi:[1,0,1]
	v_pk_fma_f32 v[16:17], v[54:55], v[70:71], v[16:17] op_sel_hi:[1,0,1]
	v_pk_fma_f32 v[14:15], v[68:69], v[70:71], v[14:15] op_sel_hi:[1,0,1]
	v_pk_fma_f32 v[12:13], v[54:55], v[72:73], v[12:13] op_sel_hi:[1,0,1]
	v_pk_fma_f32 v[10:11], v[68:69], v[72:73], v[10:11] op_sel_hi:[1,0,1]
	s_cbranch_vccnz .LBB315_5
.LBB315_6:                              ;   in Loop: Header=BB315_3 Depth=1
	s_mul_u64 s[18:19], s[22:23], s[2:3]
	s_and_not1_b32 vcc_lo, exec_lo, s1
	s_lshl_b64 s[18:19], s[18:19], 2
	s_delay_alu instid0(SALU_CYCLE_1) | instskip(NEXT) | instid1(SALU_CYCLE_1)
	s_add_nc_u64 s[18:19], s[10:11], s[18:19]
	v_lshl_add_u64 v[26:27], v[0:1], 2, s[18:19]
	s_delay_alu instid0(VALU_DEP_1)
	v_add_nc_u64_e32 v[28:29], v[26:27], v[8:9]
	v_add_nc_u64_e32 v[26:27], s[14:15], v[26:27]
	s_cbranch_vccnz .LBB315_8
; %bb.7:                                ;   in Loop: Header=BB315_3 Depth=1
	v_dual_mul_f32 v36, s30, v25 :: v_dual_mul_f32 v37, s30, v24
	s_delay_alu instid0(VALU_DEP_2)
	v_add_nc_u64_e32 v[34:35], s[14:15], v[26:27]
	v_dual_mul_f32 v38, s30, v23 :: v_dual_mul_f32 v39, s30, v22
	s_clause 0x3
	global_store_b32 v[28:29], v36, off
	global_store_b32 v[28:29], v37, off offset:64
	global_store_b32 v[28:29], v38, off offset:128
	;; [unrolled: 1-line block ×3, first 2 shown]
	s_wait_xcnt 0x2
	v_add_nc_u64_e32 v[36:37], v[26:27], v[8:9]
	v_dual_mul_f32 v40, s30, v21 :: v_dual_mul_f32 v41, s30, v20
	s_wait_xcnt 0x0
	v_add_nc_u64_e32 v[38:39], v[34:35], v[8:9]
	v_add_nc_u64_e32 v[34:35], s[14:15], v[34:35]
	v_dual_mul_f32 v42, s30, v19 :: v_dual_mul_f32 v43, s30, v18
	s_clause 0x3
	global_store_b32 v[36:37], v40, off
	global_store_b32 v[36:37], v41, off offset:64
	global_store_b32 v[36:37], v42, off offset:128
	;; [unrolled: 1-line block ×3, first 2 shown]
	s_wait_xcnt 0x0
	v_dual_mul_f32 v36, s30, v17 :: v_dual_mul_f32 v37, s30, v16
	v_dual_mul_f32 v40, s30, v15 :: v_dual_mul_f32 v41, s30, v14
	v_add_nc_u64_e32 v[34:35], v[34:35], v[8:9]
	s_clause 0x3
	global_store_b32 v[38:39], v36, off
	global_store_b32 v[38:39], v37, off offset:64
	global_store_b32 v[38:39], v40, off offset:128
	;; [unrolled: 1-line block ×3, first 2 shown]
	s_wait_xcnt 0x2
	v_dual_mul_f32 v36, s30, v13 :: v_dual_mul_f32 v37, s30, v12
	s_wait_xcnt 0x0
	v_dual_mul_f32 v38, s30, v11 :: v_dual_mul_f32 v39, s30, v10
	s_clause 0x3
	global_store_b32 v[34:35], v36, off
	global_store_b32 v[34:35], v37, off offset:64
	global_store_b32 v[34:35], v38, off offset:128
	;; [unrolled: 1-line block ×3, first 2 shown]
	s_cbranch_execnz .LBB315_2
	s_branch .LBB315_9
.LBB315_8:                              ;   in Loop: Header=BB315_3 Depth=1
.LBB315_9:                              ;   in Loop: Header=BB315_3 Depth=1
	s_mul_u64 s[18:19], s[8:9], s[2:3]
	s_wait_xcnt 0x0
	v_lshl_add_u64 v[34:35], s[18:19], 2, v[2:3]
	s_delay_alu instid0(VALU_DEP_1) | instskip(SKIP_3) | instid1(VALU_DEP_1)
	v_add_nc_u64_e32 v[36:37], v[34:35], v[8:9]
	global_load_b32 v38, v[36:37], off
	s_wait_loadcnt 0x0
	v_mul_f32_e32 v38, s33, v38
	v_fmac_f32_e32 v38, s30, v25
	global_store_b32 v[28:29], v38, off
	global_load_b32 v25, v[36:37], off offset:64
	s_wait_loadcnt 0x0
	v_mul_f32_e32 v25, s33, v25
	s_delay_alu instid0(VALU_DEP_1) | instskip(SKIP_4) | instid1(VALU_DEP_1)
	v_fmac_f32_e32 v25, s30, v24
	global_store_b32 v[28:29], v25, off offset:64
	global_load_b32 v24, v[36:37], off offset:128
	s_wait_loadcnt 0x0
	v_mul_f32_e32 v24, s33, v24
	v_fmac_f32_e32 v24, s30, v23
	global_store_b32 v[28:29], v24, off offset:128
	global_load_b32 v23, v[36:37], off offset:192
	s_wait_xcnt 0x1
	v_add_nc_u64_e32 v[24:25], s[16:17], v[34:35]
	s_delay_alu instid0(VALU_DEP_1) | instskip(SKIP_2) | instid1(VALU_DEP_1)
	v_add_nc_u64_e32 v[34:35], v[24:25], v[8:9]
	s_wait_loadcnt 0x0
	v_mul_f32_e32 v23, s33, v23
	v_fmac_f32_e32 v23, s30, v22
	global_store_b32 v[28:29], v23, off offset:192
	global_load_b32 v22, v[34:35], off
	s_wait_loadcnt 0x0
	s_wait_xcnt 0x1
	v_mul_f32_e32 v28, s33, v22
	v_add_nc_u64_e32 v[22:23], v[26:27], v[8:9]
	s_delay_alu instid0(VALU_DEP_2) | instskip(SKIP_4) | instid1(VALU_DEP_1)
	v_fmac_f32_e32 v28, s30, v21
	global_store_b32 v[22:23], v28, off
	global_load_b32 v21, v[34:35], off offset:64
	s_wait_loadcnt 0x0
	v_mul_f32_e32 v21, s33, v21
	v_fmac_f32_e32 v21, s30, v20
	global_store_b32 v[22:23], v21, off offset:64
	global_load_b32 v20, v[34:35], off offset:128
	s_wait_loadcnt 0x0
	v_mul_f32_e32 v20, s33, v20
	s_delay_alu instid0(VALU_DEP_1) | instskip(SKIP_4) | instid1(VALU_DEP_1)
	v_fmac_f32_e32 v20, s30, v19
	global_store_b32 v[22:23], v20, off offset:128
	global_load_b32 v19, v[34:35], off offset:192
	s_wait_xcnt 0x1
	v_add_nc_u64_e32 v[20:21], s[16:17], v[24:25]
	v_add_nc_u64_e32 v[24:25], v[20:21], v[8:9]
	s_wait_loadcnt 0x0
	v_mul_f32_e32 v19, s33, v19
	s_delay_alu instid0(VALU_DEP_1)
	v_fmac_f32_e32 v19, s30, v18
	global_store_b32 v[22:23], v19, off offset:192
	global_load_b32 v22, v[24:25], off
	v_add_nc_u64_e32 v[18:19], s[14:15], v[26:27]
	s_wait_loadcnt 0x0
	v_mul_f32_e32 v26, s33, v22
	s_delay_alu instid0(VALU_DEP_2) | instskip(NEXT) | instid1(VALU_DEP_2)
	v_add_nc_u64_e32 v[22:23], v[18:19], v[8:9]
	v_fmac_f32_e32 v26, s30, v17
	global_store_b32 v[22:23], v26, off
	global_load_b32 v17, v[24:25], off offset:64
	s_wait_loadcnt 0x0
	v_mul_f32_e32 v17, s33, v17
	s_delay_alu instid0(VALU_DEP_1) | instskip(SKIP_4) | instid1(VALU_DEP_1)
	v_fmac_f32_e32 v17, s30, v16
	global_store_b32 v[22:23], v17, off offset:64
	global_load_b32 v16, v[24:25], off offset:128
	s_wait_loadcnt 0x0
	v_mul_f32_e32 v16, s33, v16
	v_fmac_f32_e32 v16, s30, v15
	global_store_b32 v[22:23], v16, off offset:128
	global_load_b32 v15, v[24:25], off offset:192
	s_wait_xcnt 0x1
	v_add_nc_u64_e32 v[16:17], s[16:17], v[20:21]
	s_delay_alu instid0(VALU_DEP_1) | instskip(SKIP_2) | instid1(VALU_DEP_1)
	v_add_nc_u64_e32 v[16:17], v[16:17], v[8:9]
	s_wait_loadcnt 0x0
	v_mul_f32_e32 v15, s33, v15
	v_fmac_f32_e32 v15, s30, v14
	global_store_b32 v[22:23], v15, off offset:192
	global_load_b32 v20, v[16:17], off
	s_wait_xcnt 0x1
	v_add_nc_u64_e32 v[14:15], s[14:15], v[18:19]
	s_delay_alu instid0(VALU_DEP_1) | instskip(SKIP_2) | instid1(VALU_DEP_1)
	v_add_nc_u64_e32 v[14:15], v[14:15], v[8:9]
	s_wait_loadcnt 0x0
	v_mul_f32_e32 v18, s33, v20
	v_fmac_f32_e32 v18, s30, v13
	global_store_b32 v[14:15], v18, off
	global_load_b32 v13, v[16:17], off offset:64
	s_wait_loadcnt 0x0
	v_mul_f32_e32 v13, s33, v13
	s_delay_alu instid0(VALU_DEP_1) | instskip(SKIP_4) | instid1(VALU_DEP_1)
	v_fmac_f32_e32 v13, s30, v12
	global_store_b32 v[14:15], v13, off offset:64
	global_load_b32 v12, v[16:17], off offset:128
	s_wait_loadcnt 0x0
	v_mul_f32_e32 v12, s33, v12
	v_fmac_f32_e32 v12, s30, v11
	global_store_b32 v[14:15], v12, off offset:128
	global_load_b32 v11, v[16:17], off offset:192
	s_wait_loadcnt 0x0
	v_mul_f32_e32 v11, s33, v11
	s_delay_alu instid0(VALU_DEP_1)
	v_fmac_f32_e32 v11, s30, v10
	global_store_b32 v[14:15], v11, off offset:192
	s_branch .LBB315_2
.LBB315_10:
	s_sendmsg sendmsg(MSG_DEALLOC_VGPRS)
	s_endpgm
	.section	.rodata,"a",@progbits
	.p2align	6, 0x0
	.amdhsa_kernel _ZN12_GLOBAL__N_127rocblas_gemm_batched_kernelIfLi16ELi16ELi64ELi64ELi4ELi64ELi4ELi4ELi64ELc84ELc67EKfS1_fEEvlllT_PT11_llS4_llS2_PT12_llPT13_lli
		.amdhsa_group_segment_fixed_size 2048
		.amdhsa_private_segment_fixed_size 0
		.amdhsa_kernarg_size 140
		.amdhsa_user_sgpr_count 2
		.amdhsa_user_sgpr_dispatch_ptr 0
		.amdhsa_user_sgpr_queue_ptr 0
		.amdhsa_user_sgpr_kernarg_segment_ptr 1
		.amdhsa_user_sgpr_dispatch_id 0
		.amdhsa_user_sgpr_kernarg_preload_length 0
		.amdhsa_user_sgpr_kernarg_preload_offset 0
		.amdhsa_user_sgpr_private_segment_size 0
		.amdhsa_wavefront_size32 1
		.amdhsa_uses_dynamic_stack 0
		.amdhsa_enable_private_segment 0
		.amdhsa_system_sgpr_workgroup_id_x 1
		.amdhsa_system_sgpr_workgroup_id_y 1
		.amdhsa_system_sgpr_workgroup_id_z 1
		.amdhsa_system_sgpr_workgroup_info 0
		.amdhsa_system_vgpr_workitem_id 1
		.amdhsa_next_free_vgpr 74
		.amdhsa_next_free_sgpr 38
		.amdhsa_named_barrier_count 0
		.amdhsa_reserve_vcc 1
		.amdhsa_float_round_mode_32 0
		.amdhsa_float_round_mode_16_64 0
		.amdhsa_float_denorm_mode_32 3
		.amdhsa_float_denorm_mode_16_64 3
		.amdhsa_fp16_overflow 0
		.amdhsa_memory_ordered 1
		.amdhsa_forward_progress 1
		.amdhsa_inst_pref_size 19
		.amdhsa_round_robin_scheduling 0
		.amdhsa_exception_fp_ieee_invalid_op 0
		.amdhsa_exception_fp_denorm_src 0
		.amdhsa_exception_fp_ieee_div_zero 0
		.amdhsa_exception_fp_ieee_overflow 0
		.amdhsa_exception_fp_ieee_underflow 0
		.amdhsa_exception_fp_ieee_inexact 0
		.amdhsa_exception_int_div_zero 0
	.end_amdhsa_kernel
	.section	.text._ZN12_GLOBAL__N_127rocblas_gemm_batched_kernelIfLi16ELi16ELi64ELi64ELi4ELi64ELi4ELi4ELi64ELc84ELc67EKfS1_fEEvlllT_PT11_llS4_llS2_PT12_llPT13_lli,"axG",@progbits,_ZN12_GLOBAL__N_127rocblas_gemm_batched_kernelIfLi16ELi16ELi64ELi64ELi4ELi64ELi4ELi4ELi64ELc84ELc67EKfS1_fEEvlllT_PT11_llS4_llS2_PT12_llPT13_lli,comdat
.Lfunc_end315:
	.size	_ZN12_GLOBAL__N_127rocblas_gemm_batched_kernelIfLi16ELi16ELi64ELi64ELi4ELi64ELi4ELi4ELi64ELc84ELc67EKfS1_fEEvlllT_PT11_llS4_llS2_PT12_llPT13_lli, .Lfunc_end315-_ZN12_GLOBAL__N_127rocblas_gemm_batched_kernelIfLi16ELi16ELi64ELi64ELi4ELi64ELi4ELi4ELi64ELc84ELc67EKfS1_fEEvlllT_PT11_llS4_llS2_PT12_llPT13_lli
                                        ; -- End function
	.set _ZN12_GLOBAL__N_127rocblas_gemm_batched_kernelIfLi16ELi16ELi64ELi64ELi4ELi64ELi4ELi4ELi64ELc84ELc67EKfS1_fEEvlllT_PT11_llS4_llS2_PT12_llPT13_lli.num_vgpr, 74
	.set _ZN12_GLOBAL__N_127rocblas_gemm_batched_kernelIfLi16ELi16ELi64ELi64ELi4ELi64ELi4ELi4ELi64ELc84ELc67EKfS1_fEEvlllT_PT11_llS4_llS2_PT12_llPT13_lli.num_agpr, 0
	.set _ZN12_GLOBAL__N_127rocblas_gemm_batched_kernelIfLi16ELi16ELi64ELi64ELi4ELi64ELi4ELi4ELi64ELc84ELc67EKfS1_fEEvlllT_PT11_llS4_llS2_PT12_llPT13_lli.numbered_sgpr, 38
	.set _ZN12_GLOBAL__N_127rocblas_gemm_batched_kernelIfLi16ELi16ELi64ELi64ELi4ELi64ELi4ELi4ELi64ELc84ELc67EKfS1_fEEvlllT_PT11_llS4_llS2_PT12_llPT13_lli.num_named_barrier, 0
	.set _ZN12_GLOBAL__N_127rocblas_gemm_batched_kernelIfLi16ELi16ELi64ELi64ELi4ELi64ELi4ELi4ELi64ELc84ELc67EKfS1_fEEvlllT_PT11_llS4_llS2_PT12_llPT13_lli.private_seg_size, 0
	.set _ZN12_GLOBAL__N_127rocblas_gemm_batched_kernelIfLi16ELi16ELi64ELi64ELi4ELi64ELi4ELi4ELi64ELc84ELc67EKfS1_fEEvlllT_PT11_llS4_llS2_PT12_llPT13_lli.uses_vcc, 1
	.set _ZN12_GLOBAL__N_127rocblas_gemm_batched_kernelIfLi16ELi16ELi64ELi64ELi4ELi64ELi4ELi4ELi64ELc84ELc67EKfS1_fEEvlllT_PT11_llS4_llS2_PT12_llPT13_lli.uses_flat_scratch, 0
	.set _ZN12_GLOBAL__N_127rocblas_gemm_batched_kernelIfLi16ELi16ELi64ELi64ELi4ELi64ELi4ELi4ELi64ELc84ELc67EKfS1_fEEvlllT_PT11_llS4_llS2_PT12_llPT13_lli.has_dyn_sized_stack, 0
	.set _ZN12_GLOBAL__N_127rocblas_gemm_batched_kernelIfLi16ELi16ELi64ELi64ELi4ELi64ELi4ELi4ELi64ELc84ELc67EKfS1_fEEvlllT_PT11_llS4_llS2_PT12_llPT13_lli.has_recursion, 0
	.set _ZN12_GLOBAL__N_127rocblas_gemm_batched_kernelIfLi16ELi16ELi64ELi64ELi4ELi64ELi4ELi4ELi64ELc84ELc67EKfS1_fEEvlllT_PT11_llS4_llS2_PT12_llPT13_lli.has_indirect_call, 0
	.section	.AMDGPU.csdata,"",@progbits
; Kernel info:
; codeLenInByte = 2324
; TotalNumSgprs: 40
; NumVgprs: 74
; ScratchSize: 0
; MemoryBound: 0
; FloatMode: 240
; IeeeMode: 1
; LDSByteSize: 2048 bytes/workgroup (compile time only)
; SGPRBlocks: 0
; VGPRBlocks: 4
; NumSGPRsForWavesPerEU: 40
; NumVGPRsForWavesPerEU: 74
; NamedBarCnt: 0
; Occupancy: 12
; WaveLimiterHint : 0
; COMPUTE_PGM_RSRC2:SCRATCH_EN: 0
; COMPUTE_PGM_RSRC2:USER_SGPR: 2
; COMPUTE_PGM_RSRC2:TRAP_HANDLER: 0
; COMPUTE_PGM_RSRC2:TGID_X_EN: 1
; COMPUTE_PGM_RSRC2:TGID_Y_EN: 1
; COMPUTE_PGM_RSRC2:TGID_Z_EN: 1
; COMPUTE_PGM_RSRC2:TIDIG_COMP_CNT: 1
	.section	.text._ZN12_GLOBAL__N_127rocblas_gemm_batched_kernelIfLi16ELi16ELi32ELi32ELi8ELi32ELi8ELi8ELi32ELc78ELc78EKfS1_fEEvlllT_PT11_llS4_llS2_PT12_llPT13_lli,"axG",@progbits,_ZN12_GLOBAL__N_127rocblas_gemm_batched_kernelIfLi16ELi16ELi32ELi32ELi8ELi32ELi8ELi8ELi32ELc78ELc78EKfS1_fEEvlllT_PT11_llS4_llS2_PT12_llPT13_lli,comdat
	.globl	_ZN12_GLOBAL__N_127rocblas_gemm_batched_kernelIfLi16ELi16ELi32ELi32ELi8ELi32ELi8ELi8ELi32ELc78ELc78EKfS1_fEEvlllT_PT11_llS4_llS2_PT12_llPT13_lli ; -- Begin function _ZN12_GLOBAL__N_127rocblas_gemm_batched_kernelIfLi16ELi16ELi32ELi32ELi8ELi32ELi8ELi8ELi32ELc78ELc78EKfS1_fEEvlllT_PT11_llS4_llS2_PT12_llPT13_lli
	.p2align	8
	.type	_ZN12_GLOBAL__N_127rocblas_gemm_batched_kernelIfLi16ELi16ELi32ELi32ELi8ELi32ELi8ELi8ELi32ELc78ELc78EKfS1_fEEvlllT_PT11_llS4_llS2_PT12_llPT13_lli,@function
_ZN12_GLOBAL__N_127rocblas_gemm_batched_kernelIfLi16ELi16ELi32ELi32ELi8ELi32ELi8ELi8ELi32ELc78ELc78EKfS1_fEEvlllT_PT11_llS4_llS2_PT12_llPT13_lli: ; @_ZN12_GLOBAL__N_127rocblas_gemm_batched_kernelIfLi16ELi16ELi32ELi32ELi8ELi32ELi8ELi8ELi32ELc78ELc78EKfS1_fEEvlllT_PT11_llS4_llS2_PT12_llPT13_lli
; %bb.0:
	s_load_b32 s31, s[0:1], 0x88
	s_bfe_u32 s2, ttmp6, 0x40014
	s_lshr_b32 s3, ttmp7, 16
	s_add_co_i32 s2, s2, 1
	s_bfe_u32 s4, ttmp6, 0x40008
	s_mul_i32 s2, s3, s2
	s_getreg_b32 s20, hwreg(HW_REG_IB_STS2, 6, 4)
	s_add_co_i32 s4, s4, s2
	s_cmp_eq_u32 s20, 0
	s_cselect_b32 s2, s3, s4
	s_mov_b32 s3, 0
	s_wait_kmcnt 0x0
	s_cmp_ge_i32 s2, s31
	s_cbranch_scc1 .LBB316_10
; %bb.1:
	v_bfe_u32 v2, v0, 10, 10
	v_and_b32_e32 v4, 0x3ff, v0
	s_bfe_u32 s21, ttmp6, 0x4000c
	s_bfe_u32 s23, ttmp6, 0x40010
	s_clause 0x2
	s_load_b256 s[12:19], s[0:1], 0x20
	s_load_b128 s[24:27], s[0:1], 0x40
	s_load_b256 s[4:11], s[0:1], 0x58
	s_add_co_i32 s21, s21, 1
	s_and_b32 s28, ttmp7, 0xffff
	s_add_co_i32 s23, s23, 1
	v_lshl_add_u32 v16, v2, 4, v4
	v_mov_b32_e32 v3, 0
	s_and_b32 s22, ttmp6, 15
	s_mul_i32 s21, ttmp9, s21
	s_mul_i32 s23, s28, s23
	s_bfe_u32 s29, ttmp6, 0x40004
	s_add_co_i32 s22, s22, s21
	s_add_co_i32 s29, s29, s23
	s_cmp_eq_u32 s20, 0
	v_dual_mov_b32 v7, v3 :: v_dual_lshrrev_b32 v6, 3, v16
	v_lshrrev_b32_e32 v20, 5, v16
	s_cselect_b32 s20, s28, s29
	s_cselect_b32 s28, ttmp9, s22
	s_lshl_b32 s34, s20, 5
	s_mov_b32 s35, s3
	s_load_b128 s[20:23], s[0:1], 0x78
	v_add_nc_u64_e32 v[8:9], s[34:35], v[6:7]
	v_add_nc_u64_e32 v[10:11], s[34:35], v[2:3]
	s_ashr_i32 s29, s28, 31
	s_load_b32 s33, s[0:1], 0x50
	v_dual_lshlrev_b32 v7, 2, v0 :: v_dual_mov_b32 v5, v3
	v_lshl_add_u32 v19, v2, 5, 0x400
	s_wait_kmcnt 0x0
	v_mul_u64_e32 v[8:9], s[24:25], v[8:9]
	v_mul_u64_e32 v[12:13], s[6:7], v[10:11]
	s_lshl_b64 s[24:25], s[28:29], 5
	s_load_b96 s[28:30], s[0:1], 0x10
	v_mad_nc_u64_u32 v[14:15], s14, v20, s[24:25]
	v_dual_mov_b32 v17, v3 :: v_dual_lshlrev_b32 v18, 2, v4
	v_mul_u64_e32 v[0:1], s[20:21], v[10:11]
	v_dual_mov_b32 v11, v3 :: v_dual_bitop2_b32 v10, 31, v16 bitop3:0x40
	s_delay_alu instid0(VALU_DEP_4) | instskip(SKIP_2) | instid1(VALU_DEP_3)
	v_mad_u32 v15, s15, v20, v15
	v_and_b32_e32 v16, 28, v7
	s_cmp_eq_f32 s33, 0
	v_lshlrev_b32_e32 v2, 2, v10
	s_delay_alu instid0(VALU_DEP_2)
	v_lshl_or_b32 v21, v6, 5, v16
	v_add_nc_u64_e32 v[6:7], s[24:25], v[4:5]
	s_wait_kmcnt 0x0
	v_cmp_gt_i64_e64 s0, s[28:29], 0
	v_lshl_or_b32 v20, v20, 7, v2
	s_cselect_b32 s1, -1, 0
	v_add_nc_u32_e32 v21, 0x400, v21
	s_lshl_b64 s[20:21], s[20:21], 4
	s_lshl_b64 s[6:7], s[6:7], 4
	v_lshlrev_b64_e32 v[6:7], 2, v[6:7]
	s_lshl_b64 s[14:15], s[14:15], 5
	v_lshl_add_u64 v[4:5], v[8:9], 2, v[16:17]
	v_add_nc_u64_e32 v[8:9], v[14:15], v[10:11]
	v_cndmask_b32_e64 v10, 0, 1, s0
	v_lshl_add_u64 v[2:3], v[12:13], 2, s[4:5]
	s_lshl_b64 s[4:5], s[26:27], 2
	v_add_nc_u64_e32 v[4:5], s[18:19], v[4:5]
	s_delay_alu instid0(VALU_DEP_3)
	v_cmp_ne_u32_e64 s0, 1, v10
	v_lshl_add_u64 v[8:9], v[8:9], 2, s[12:13]
	s_lshl_b64 s[12:13], s[16:17], 2
	s_branch .LBB316_3
.LBB316_2:                              ;   in Loop: Header=BB316_3 Depth=1
	s_add_co_i32 s2, s2, 0x10000
	s_delay_alu instid0(SALU_CYCLE_1)
	s_cmp_lt_i32 s2, s31
	s_cbranch_scc0 .LBB316_10
.LBB316_3:                              ; =>This Loop Header: Depth=1
                                        ;     Child Loop BB316_5 Depth 2
	s_wait_xcnt 0x0
	v_dual_mov_b32 v13, 0 :: v_dual_mov_b32 v12, 0
	v_dual_mov_b32 v11, 0 :: v_dual_mov_b32 v10, 0
	s_and_b32 vcc_lo, exec_lo, s0
	s_cbranch_vccnz .LBB316_6
; %bb.4:                                ;   in Loop: Header=BB316_3 Depth=1
	v_mad_nc_u64_u32 v[14:15], s4, s2, v[4:5]
	v_mad_nc_u64_u32 v[16:17], s12, s2, v[8:9]
	v_mov_b32_e32 v10, 0
	s_mov_b64 s[16:17], 0
	s_delay_alu instid0(VALU_DEP_1)
	v_dual_mov_b32 v11, v10 :: v_dual_mov_b32 v12, v10
	v_mov_b32_e32 v13, v10
	v_mad_u32 v15, s5, s2, v15
	v_mad_u32 v17, s13, s2, v17
.LBB316_5:                              ;   Parent Loop BB316_3 Depth=1
                                        ; =>  This Inner Loop Header: Depth=2
	global_load_b32 v22, v[16:17], off
	global_load_b32 v23, v[14:15], off
	s_add_nc_u64 s[16:17], s[16:17], 8
	s_wait_xcnt 0x0
	v_add_nc_u64_e32 v[14:15], 32, v[14:15]
	v_cmp_lt_i64_e64 s18, s[16:17], s[28:29]
	v_add_nc_u64_e32 v[16:17], s[14:15], v[16:17]
	s_wait_loadcnt 0x1
	ds_store_b32 v20, v22
	s_wait_loadcnt 0x0
	ds_store_b32 v21, v23
	s_wait_dscnt 0x0
	s_barrier_signal -1
	s_barrier_wait -1
	ds_load_2addr_b32 v[38:39], v18 offset1:16
	ds_load_2addr_b32 v[40:41], v18 offset0:32 offset1:48
	ds_load_b128 v[22:25], v19
	ds_load_2addr_b32 v[42:43], v18 offset0:64 offset1:80
	ds_load_b128 v[26:29], v19 offset:512
	ds_load_2addr_b32 v[44:45], v18 offset0:96 offset1:112
	ds_load_b128 v[30:33], v19 offset:16
	;; [unrolled: 2-line block ×3, first 2 shown]
	ds_load_2addr_b32 v[48:49], v18 offset0:160 offset1:176
	ds_load_2addr_b32 v[50:51], v18 offset0:192 offset1:208
	;; [unrolled: 1-line block ×3, first 2 shown]
	s_and_b32 vcc_lo, exec_lo, s18
	s_wait_dscnt 0x0
	s_barrier_signal -1
	s_barrier_wait -1
	v_dual_mov_b32 v54, v39 :: v_dual_mov_b32 v55, v38
	v_dual_mov_b32 v38, v41 :: v_dual_mov_b32 v39, v40
	;; [unrolled: 1-line block ×3, first 2 shown]
	s_delay_alu instid0(VALU_DEP_3) | instskip(SKIP_3) | instid1(VALU_DEP_4)
	v_pk_fma_f32 v[12:13], v[54:55], v[22:23], v[12:13] op_sel_hi:[1,0,1]
	v_pk_fma_f32 v[10:11], v[54:55], v[26:27], v[10:11] op_sel_hi:[1,0,1]
	v_dual_mov_b32 v42, v45 :: v_dual_mov_b32 v43, v44
	v_mov_b32_e32 v44, v25
	v_pk_fma_f32 v[12:13], v[38:39], v[22:23], v[12:13] op_sel:[0,1,0]
	s_delay_alu instid0(VALU_DEP_4) | instskip(SKIP_2) | instid1(VALU_DEP_4)
	v_pk_fma_f32 v[10:11], v[38:39], v[26:27], v[10:11] op_sel:[0,1,0]
	v_dual_mov_b32 v22, v29 :: v_dual_mov_b32 v26, v53
	v_mov_b32_e32 v27, v52
	v_pk_fma_f32 v[12:13], v[40:41], v[24:25], v[12:13] op_sel_hi:[1,0,1]
	s_delay_alu instid0(VALU_DEP_4) | instskip(SKIP_2) | instid1(VALU_DEP_4)
	v_pk_fma_f32 v[10:11], v[40:41], v[28:29], v[10:11] op_sel_hi:[1,0,1]
	v_dual_mov_b32 v24, v47 :: v_dual_mov_b32 v25, v46
	v_mov_b32_e32 v28, v37
	v_pk_fma_f32 v[12:13], v[42:43], v[44:45], v[12:13] op_sel_hi:[1,0,1]
	s_delay_alu instid0(VALU_DEP_4) | instskip(SKIP_1) | instid1(VALU_DEP_3)
	v_pk_fma_f32 v[10:11], v[42:43], v[22:23], v[10:11] op_sel_hi:[1,0,1]
	v_dual_mov_b32 v22, v49 :: v_dual_mov_b32 v23, v48
	v_pk_fma_f32 v[12:13], v[24:25], v[30:31], v[12:13] op_sel_hi:[1,0,1]
	s_delay_alu instid0(VALU_DEP_3) | instskip(SKIP_1) | instid1(VALU_DEP_3)
	v_pk_fma_f32 v[10:11], v[24:25], v[34:35], v[10:11] op_sel_hi:[1,0,1]
	v_dual_mov_b32 v24, v51 :: v_dual_mov_b32 v25, v50
	v_pk_fma_f32 v[12:13], v[22:23], v[30:31], v[12:13] op_sel:[0,1,0]
	s_delay_alu instid0(VALU_DEP_3) | instskip(SKIP_1) | instid1(VALU_DEP_3)
	v_pk_fma_f32 v[10:11], v[22:23], v[34:35], v[10:11] op_sel:[0,1,0]
	v_mov_b32_e32 v22, v33
	v_pk_fma_f32 v[12:13], v[24:25], v[32:33], v[12:13] op_sel_hi:[1,0,1]
	s_delay_alu instid0(VALU_DEP_3) | instskip(NEXT) | instid1(VALU_DEP_2)
	v_pk_fma_f32 v[10:11], v[24:25], v[36:37], v[10:11] op_sel_hi:[1,0,1]
	v_pk_fma_f32 v[12:13], v[26:27], v[22:23], v[12:13] op_sel_hi:[1,0,1]
	s_delay_alu instid0(VALU_DEP_2)
	v_pk_fma_f32 v[10:11], v[26:27], v[28:29], v[10:11] op_sel_hi:[1,0,1]
	s_cbranch_vccnz .LBB316_5
.LBB316_6:                              ;   in Loop: Header=BB316_3 Depth=1
	s_mul_u64 s[16:17], s[22:23], s[2:3]
	s_and_not1_b32 vcc_lo, exec_lo, s1
	s_lshl_b64 s[16:17], s[16:17], 2
	s_delay_alu instid0(SALU_CYCLE_1) | instskip(NEXT) | instid1(SALU_CYCLE_1)
	s_add_nc_u64 s[16:17], s[10:11], s[16:17]
	v_lshl_add_u64 v[14:15], v[0:1], 2, s[16:17]
	s_delay_alu instid0(VALU_DEP_1)
	v_add_nc_u64_e32 v[16:17], v[14:15], v[6:7]
	v_lshl_add_u64 v[14:15], s[20:21], 2, v[14:15]
	s_cbranch_vccnz .LBB316_8
; %bb.7:                                ;   in Loop: Header=BB316_3 Depth=1
	s_delay_alu instid0(VALU_DEP_1)
	v_add_nc_u64_e32 v[22:23], v[14:15], v[6:7]
	v_dual_mul_f32 v24, s30, v13 :: v_dual_mul_f32 v25, s30, v12
	v_dual_mul_f32 v26, s30, v11 :: v_dual_mul_f32 v27, s30, v10
	s_clause 0x3
	global_store_b32 v[16:17], v24, off
	global_store_b32 v[16:17], v25, off offset:64
	global_store_b32 v[22:23], v26, off
	global_store_b32 v[22:23], v27, off offset:64
	s_cbranch_execnz .LBB316_2
	s_branch .LBB316_9
.LBB316_8:                              ;   in Loop: Header=BB316_3 Depth=1
.LBB316_9:                              ;   in Loop: Header=BB316_3 Depth=1
	s_mul_u64 s[16:17], s[8:9], s[2:3]
	s_wait_xcnt 0x0
	v_lshl_add_u64 v[22:23], s[16:17], 2, v[2:3]
	s_delay_alu instid0(VALU_DEP_1) | instskip(SKIP_1) | instid1(VALU_DEP_1)
	v_add_nc_u64_e32 v[24:25], v[22:23], v[6:7]
	v_lshl_add_u64 v[22:23], s[6:7], 2, v[22:23]
	v_add_nc_u64_e32 v[22:23], v[22:23], v[6:7]
	global_load_b32 v26, v[24:25], off
	s_wait_loadcnt 0x0
	v_mul_f32_e32 v26, s33, v26
	s_delay_alu instid0(VALU_DEP_1) | instskip(SKIP_4) | instid1(VALU_DEP_1)
	v_fmac_f32_e32 v26, s30, v13
	global_store_b32 v[16:17], v26, off
	global_load_b32 v13, v[24:25], off offset:64
	s_wait_loadcnt 0x0
	v_mul_f32_e32 v13, s33, v13
	v_fmac_f32_e32 v13, s30, v12
	global_store_b32 v[16:17], v13, off offset:64
	global_load_b32 v12, v[22:23], off
	s_wait_loadcnt 0x0
	s_wait_xcnt 0x1
	v_mul_f32_e32 v16, s33, v12
	v_add_nc_u64_e32 v[12:13], v[14:15], v[6:7]
	s_delay_alu instid0(VALU_DEP_2) | instskip(SKIP_4) | instid1(VALU_DEP_1)
	v_fmac_f32_e32 v16, s30, v11
	global_store_b32 v[12:13], v16, off
	global_load_b32 v11, v[22:23], off offset:64
	s_wait_loadcnt 0x0
	v_mul_f32_e32 v11, s33, v11
	v_fmac_f32_e32 v11, s30, v10
	global_store_b32 v[12:13], v11, off offset:64
	s_branch .LBB316_2
.LBB316_10:
	s_endpgm
	.section	.rodata,"a",@progbits
	.p2align	6, 0x0
	.amdhsa_kernel _ZN12_GLOBAL__N_127rocblas_gemm_batched_kernelIfLi16ELi16ELi32ELi32ELi8ELi32ELi8ELi8ELi32ELc78ELc78EKfS1_fEEvlllT_PT11_llS4_llS2_PT12_llPT13_lli
		.amdhsa_group_segment_fixed_size 2048
		.amdhsa_private_segment_fixed_size 0
		.amdhsa_kernarg_size 140
		.amdhsa_user_sgpr_count 2
		.amdhsa_user_sgpr_dispatch_ptr 0
		.amdhsa_user_sgpr_queue_ptr 0
		.amdhsa_user_sgpr_kernarg_segment_ptr 1
		.amdhsa_user_sgpr_dispatch_id 0
		.amdhsa_user_sgpr_kernarg_preload_length 0
		.amdhsa_user_sgpr_kernarg_preload_offset 0
		.amdhsa_user_sgpr_private_segment_size 0
		.amdhsa_wavefront_size32 1
		.amdhsa_uses_dynamic_stack 0
		.amdhsa_enable_private_segment 0
		.amdhsa_system_sgpr_workgroup_id_x 1
		.amdhsa_system_sgpr_workgroup_id_y 1
		.amdhsa_system_sgpr_workgroup_id_z 1
		.amdhsa_system_sgpr_workgroup_info 0
		.amdhsa_system_vgpr_workitem_id 1
		.amdhsa_next_free_vgpr 56
		.amdhsa_next_free_sgpr 36
		.amdhsa_named_barrier_count 0
		.amdhsa_reserve_vcc 1
		.amdhsa_float_round_mode_32 0
		.amdhsa_float_round_mode_16_64 0
		.amdhsa_float_denorm_mode_32 3
		.amdhsa_float_denorm_mode_16_64 3
		.amdhsa_fp16_overflow 0
		.amdhsa_memory_ordered 1
		.amdhsa_forward_progress 1
		.amdhsa_inst_pref_size 11
		.amdhsa_round_robin_scheduling 0
		.amdhsa_exception_fp_ieee_invalid_op 0
		.amdhsa_exception_fp_denorm_src 0
		.amdhsa_exception_fp_ieee_div_zero 0
		.amdhsa_exception_fp_ieee_overflow 0
		.amdhsa_exception_fp_ieee_underflow 0
		.amdhsa_exception_fp_ieee_inexact 0
		.amdhsa_exception_int_div_zero 0
	.end_amdhsa_kernel
	.section	.text._ZN12_GLOBAL__N_127rocblas_gemm_batched_kernelIfLi16ELi16ELi32ELi32ELi8ELi32ELi8ELi8ELi32ELc78ELc78EKfS1_fEEvlllT_PT11_llS4_llS2_PT12_llPT13_lli,"axG",@progbits,_ZN12_GLOBAL__N_127rocblas_gemm_batched_kernelIfLi16ELi16ELi32ELi32ELi8ELi32ELi8ELi8ELi32ELc78ELc78EKfS1_fEEvlllT_PT11_llS4_llS2_PT12_llPT13_lli,comdat
.Lfunc_end316:
	.size	_ZN12_GLOBAL__N_127rocblas_gemm_batched_kernelIfLi16ELi16ELi32ELi32ELi8ELi32ELi8ELi8ELi32ELc78ELc78EKfS1_fEEvlllT_PT11_llS4_llS2_PT12_llPT13_lli, .Lfunc_end316-_ZN12_GLOBAL__N_127rocblas_gemm_batched_kernelIfLi16ELi16ELi32ELi32ELi8ELi32ELi8ELi8ELi32ELc78ELc78EKfS1_fEEvlllT_PT11_llS4_llS2_PT12_llPT13_lli
                                        ; -- End function
	.set _ZN12_GLOBAL__N_127rocblas_gemm_batched_kernelIfLi16ELi16ELi32ELi32ELi8ELi32ELi8ELi8ELi32ELc78ELc78EKfS1_fEEvlllT_PT11_llS4_llS2_PT12_llPT13_lli.num_vgpr, 56
	.set _ZN12_GLOBAL__N_127rocblas_gemm_batched_kernelIfLi16ELi16ELi32ELi32ELi8ELi32ELi8ELi8ELi32ELc78ELc78EKfS1_fEEvlllT_PT11_llS4_llS2_PT12_llPT13_lli.num_agpr, 0
	.set _ZN12_GLOBAL__N_127rocblas_gemm_batched_kernelIfLi16ELi16ELi32ELi32ELi8ELi32ELi8ELi8ELi32ELc78ELc78EKfS1_fEEvlllT_PT11_llS4_llS2_PT12_llPT13_lli.numbered_sgpr, 36
	.set _ZN12_GLOBAL__N_127rocblas_gemm_batched_kernelIfLi16ELi16ELi32ELi32ELi8ELi32ELi8ELi8ELi32ELc78ELc78EKfS1_fEEvlllT_PT11_llS4_llS2_PT12_llPT13_lli.num_named_barrier, 0
	.set _ZN12_GLOBAL__N_127rocblas_gemm_batched_kernelIfLi16ELi16ELi32ELi32ELi8ELi32ELi8ELi8ELi32ELc78ELc78EKfS1_fEEvlllT_PT11_llS4_llS2_PT12_llPT13_lli.private_seg_size, 0
	.set _ZN12_GLOBAL__N_127rocblas_gemm_batched_kernelIfLi16ELi16ELi32ELi32ELi8ELi32ELi8ELi8ELi32ELc78ELc78EKfS1_fEEvlllT_PT11_llS4_llS2_PT12_llPT13_lli.uses_vcc, 1
	.set _ZN12_GLOBAL__N_127rocblas_gemm_batched_kernelIfLi16ELi16ELi32ELi32ELi8ELi32ELi8ELi8ELi32ELc78ELc78EKfS1_fEEvlllT_PT11_llS4_llS2_PT12_llPT13_lli.uses_flat_scratch, 0
	.set _ZN12_GLOBAL__N_127rocblas_gemm_batched_kernelIfLi16ELi16ELi32ELi32ELi8ELi32ELi8ELi8ELi32ELc78ELc78EKfS1_fEEvlllT_PT11_llS4_llS2_PT12_llPT13_lli.has_dyn_sized_stack, 0
	.set _ZN12_GLOBAL__N_127rocblas_gemm_batched_kernelIfLi16ELi16ELi32ELi32ELi8ELi32ELi8ELi8ELi32ELc78ELc78EKfS1_fEEvlllT_PT11_llS4_llS2_PT12_llPT13_lli.has_recursion, 0
	.set _ZN12_GLOBAL__N_127rocblas_gemm_batched_kernelIfLi16ELi16ELi32ELi32ELi8ELi32ELi8ELi8ELi32ELc78ELc78EKfS1_fEEvlllT_PT11_llS4_llS2_PT12_llPT13_lli.has_indirect_call, 0
	.section	.AMDGPU.csdata,"",@progbits
; Kernel info:
; codeLenInByte = 1360
; TotalNumSgprs: 38
; NumVgprs: 56
; ScratchSize: 0
; MemoryBound: 0
; FloatMode: 240
; IeeeMode: 1
; LDSByteSize: 2048 bytes/workgroup (compile time only)
; SGPRBlocks: 0
; VGPRBlocks: 3
; NumSGPRsForWavesPerEU: 38
; NumVGPRsForWavesPerEU: 56
; NamedBarCnt: 0
; Occupancy: 16
; WaveLimiterHint : 0
; COMPUTE_PGM_RSRC2:SCRATCH_EN: 0
; COMPUTE_PGM_RSRC2:USER_SGPR: 2
; COMPUTE_PGM_RSRC2:TRAP_HANDLER: 0
; COMPUTE_PGM_RSRC2:TGID_X_EN: 1
; COMPUTE_PGM_RSRC2:TGID_Y_EN: 1
; COMPUTE_PGM_RSRC2:TGID_Z_EN: 1
; COMPUTE_PGM_RSRC2:TIDIG_COMP_CNT: 1
	.section	.text._ZN12_GLOBAL__N_127rocblas_gemm_batched_kernelIfLi16ELi16ELi32ELi32ELi8ELi32ELi8ELi8ELi32ELc84ELc78EKfS1_fEEvlllT_PT11_llS4_llS2_PT12_llPT13_lli,"axG",@progbits,_ZN12_GLOBAL__N_127rocblas_gemm_batched_kernelIfLi16ELi16ELi32ELi32ELi8ELi32ELi8ELi8ELi32ELc84ELc78EKfS1_fEEvlllT_PT11_llS4_llS2_PT12_llPT13_lli,comdat
	.globl	_ZN12_GLOBAL__N_127rocblas_gemm_batched_kernelIfLi16ELi16ELi32ELi32ELi8ELi32ELi8ELi8ELi32ELc84ELc78EKfS1_fEEvlllT_PT11_llS4_llS2_PT12_llPT13_lli ; -- Begin function _ZN12_GLOBAL__N_127rocblas_gemm_batched_kernelIfLi16ELi16ELi32ELi32ELi8ELi32ELi8ELi8ELi32ELc84ELc78EKfS1_fEEvlllT_PT11_llS4_llS2_PT12_llPT13_lli
	.p2align	8
	.type	_ZN12_GLOBAL__N_127rocblas_gemm_batched_kernelIfLi16ELi16ELi32ELi32ELi8ELi32ELi8ELi8ELi32ELc84ELc78EKfS1_fEEvlllT_PT11_llS4_llS2_PT12_llPT13_lli,@function
_ZN12_GLOBAL__N_127rocblas_gemm_batched_kernelIfLi16ELi16ELi32ELi32ELi8ELi32ELi8ELi8ELi32ELc84ELc78EKfS1_fEEvlllT_PT11_llS4_llS2_PT12_llPT13_lli: ; @_ZN12_GLOBAL__N_127rocblas_gemm_batched_kernelIfLi16ELi16ELi32ELi32ELi8ELi32ELi8ELi8ELi32ELc84ELc78EKfS1_fEEvlllT_PT11_llS4_llS2_PT12_llPT13_lli
; %bb.0:
	s_load_b32 s31, s[0:1], 0x88
	s_bfe_u32 s2, ttmp6, 0x40014
	s_lshr_b32 s3, ttmp7, 16
	s_add_co_i32 s2, s2, 1
	s_bfe_u32 s4, ttmp6, 0x40008
	s_mul_i32 s2, s3, s2
	s_getreg_b32 s28, hwreg(HW_REG_IB_STS2, 6, 4)
	s_add_co_i32 s4, s4, s2
	s_cmp_eq_u32 s28, 0
	s_cselect_b32 s2, s3, s4
	s_mov_b32 s3, 0
	s_wait_kmcnt 0x0
	s_cmp_ge_i32 s2, s31
	s_cbranch_scc1 .LBB317_10
; %bb.1:
	v_bfe_u32 v4, v0, 10, 10
	v_and_b32_e32 v6, 0x3ff, v0
	s_clause 0x1
	s_load_b256 s[12:19], s[0:1], 0x20
	s_load_b128 s[24:27], s[0:1], 0x40
	s_bfe_u32 s29, ttmp6, 0x4000c
	s_bfe_u32 s33, ttmp6, 0x40010
	s_add_co_i32 s29, s29, 1
	s_and_b32 s34, ttmp7, 0xffff
	s_add_co_i32 s33, s33, 1
	v_lshl_add_u32 v1, v4, 4, v6
	v_mov_b32_e32 v5, 0
	s_and_b32 s30, ttmp6, 15
	s_mul_i32 s29, ttmp9, s29
	s_mul_i32 s33, s34, s33
	s_bfe_u32 s35, ttmp6, 0x40004
	s_add_co_i32 s30, s30, s29
	s_add_co_i32 s35, s35, s33
	s_clause 0x1
	s_load_b128 s[20:23], s[0:1], 0x78
	s_load_b256 s[4:11], s[0:1], 0x58
	s_cmp_eq_u32 s28, 0
	v_dual_lshrrev_b32 v8, 3, v1 :: v_dual_bitop2_b32 v16, 31, v1 bitop3:0x40
	v_mov_b32_e32 v9, v5
	s_cselect_b32 s28, ttmp9, s30
	s_cselect_b32 s30, s34, s35
	s_ashr_i32 s29, s28, 31
	s_lshl_b32 s34, s30, 5
	s_mov_b32 s35, s3
	s_lshl_b64 s[36:37], s[28:29], 5
	v_add_nc_u64_e32 v[2:3], s[34:35], v[8:9]
	v_dual_mov_b32 v11, s37 :: v_dual_bitop2_b32 v10, s36, v16 bitop3:0x54
	s_clause 0x1
	s_load_b32 s33, s[0:1], 0x50
	s_load_b96 s[28:30], s[0:1], 0x10
	v_dual_mov_b32 v7, v5 :: v_dual_lshlrev_b32 v0, 2, v0
	s_wait_kmcnt 0x0
	v_mul_u64_e32 v[10:11], s[14:15], v[10:11]
	v_mul_u64_e32 v[12:13], s[24:25], v[2:3]
	v_add_nc_u64_e32 v[2:3], s[34:35], v[4:5]
	v_dual_lshrrev_b32 v9, 5, v1 :: v_dual_lshlrev_b32 v16, 2, v16
	v_dual_lshlrev_b32 v18, 2, v6 :: v_dual_bitop2_b32 v0, 28, v0 bitop3:0x40
	v_lshl_add_u32 v19, v4, 5, 0x400
	s_delay_alu instid0(VALU_DEP_3)
	v_dual_mov_b32 v1, v5 :: v_dual_lshlrev_b32 v4, 2, v9
	v_mul_u64_e32 v[14:15], s[6:7], v[2:3]
	v_mul_u64_e32 v[2:3], s[20:21], v[2:3]
	v_add_nc_u64_e32 v[6:7], s[36:37], v[6:7]
	v_lshl_or_b32 v8, v8, 5, v0
	v_lshl_or_b32 v20, v9, 7, v16
	s_cmp_eq_f32 s33, 0
	v_cmp_gt_i64_e64 s0, s[28:29], 0
	s_delay_alu instid0(VALU_DEP_3)
	v_add_nc_u32_e32 v21, 0x400, v8
	v_lshlrev_b64_e32 v[6:7], 2, v[6:7]
	s_cselect_b32 s1, -1, 0
	s_lshl_b64 s[14:15], s[20:21], 4
	v_lshl_add_u64 v[4:5], v[10:11], 2, v[4:5]
	v_lshl_add_u64 v[0:1], v[12:13], 2, v[0:1]
	v_cndmask_b32_e64 v10, 0, 1, s0
	s_delay_alu instid0(VALU_DEP_3) | instskip(NEXT) | instid1(VALU_DEP_3)
	v_add_nc_u64_e32 v[4:5], s[12:13], v[4:5]
	v_add_nc_u64_e32 v[0:1], s[18:19], v[0:1]
	s_delay_alu instid0(VALU_DEP_3)
	v_cmp_ne_u32_e64 s0, 1, v10
	s_lshl_b64 s[12:13], s[16:17], 2
	v_lshl_add_u64 v[8:9], v[14:15], 2, s[4:5]
	s_lshl_b64 s[4:5], s[6:7], 4
	s_lshl_b64 s[6:7], s[26:27], 2
	s_branch .LBB317_3
.LBB317_2:                              ;   in Loop: Header=BB317_3 Depth=1
	s_add_co_i32 s2, s2, 0x10000
	s_delay_alu instid0(SALU_CYCLE_1)
	s_cmp_lt_i32 s2, s31
	s_cbranch_scc0 .LBB317_10
.LBB317_3:                              ; =>This Loop Header: Depth=1
                                        ;     Child Loop BB317_5 Depth 2
	s_wait_xcnt 0x0
	v_dual_mov_b32 v13, 0 :: v_dual_mov_b32 v12, 0
	v_dual_mov_b32 v11, 0 :: v_dual_mov_b32 v10, 0
	s_and_b32 vcc_lo, exec_lo, s0
	s_cbranch_vccnz .LBB317_6
; %bb.4:                                ;   in Loop: Header=BB317_3 Depth=1
	v_mad_nc_u64_u32 v[14:15], s6, s2, v[0:1]
	v_mad_nc_u64_u32 v[16:17], s12, s2, v[4:5]
	v_mov_b32_e32 v10, 0
	s_mov_b64 s[16:17], 0
	s_delay_alu instid0(VALU_DEP_1)
	v_dual_mov_b32 v11, v10 :: v_dual_mov_b32 v12, v10
	v_mov_b32_e32 v13, v10
	v_mad_u32 v15, s7, s2, v15
	v_mad_u32 v17, s13, s2, v17
.LBB317_5:                              ;   Parent Loop BB317_3 Depth=1
                                        ; =>  This Inner Loop Header: Depth=2
	global_load_b32 v22, v[16:17], off
	global_load_b32 v23, v[14:15], off
	s_add_nc_u64 s[16:17], s[16:17], 8
	s_wait_xcnt 0x0
	v_add_nc_u64_e32 v[14:15], 32, v[14:15]
	v_cmp_lt_i64_e64 s18, s[16:17], s[28:29]
	v_add_nc_u64_e32 v[16:17], 32, v[16:17]
	s_wait_loadcnt 0x1
	ds_store_b32 v20, v22
	s_wait_loadcnt 0x0
	ds_store_b32 v21, v23
	s_wait_dscnt 0x0
	s_barrier_signal -1
	s_barrier_wait -1
	ds_load_2addr_b32 v[38:39], v18 offset1:16
	ds_load_2addr_b32 v[40:41], v18 offset0:32 offset1:48
	ds_load_b128 v[22:25], v19
	ds_load_2addr_b32 v[42:43], v18 offset0:64 offset1:80
	ds_load_b128 v[26:29], v19 offset:512
	ds_load_2addr_b32 v[44:45], v18 offset0:96 offset1:112
	ds_load_b128 v[30:33], v19 offset:16
	;; [unrolled: 2-line block ×3, first 2 shown]
	ds_load_2addr_b32 v[48:49], v18 offset0:160 offset1:176
	ds_load_2addr_b32 v[50:51], v18 offset0:192 offset1:208
	;; [unrolled: 1-line block ×3, first 2 shown]
	s_and_b32 vcc_lo, exec_lo, s18
	s_wait_dscnt 0x0
	s_barrier_signal -1
	s_barrier_wait -1
	v_dual_mov_b32 v54, v39 :: v_dual_mov_b32 v55, v38
	v_dual_mov_b32 v38, v41 :: v_dual_mov_b32 v39, v40
	;; [unrolled: 1-line block ×3, first 2 shown]
	s_delay_alu instid0(VALU_DEP_3) | instskip(SKIP_3) | instid1(VALU_DEP_4)
	v_pk_fma_f32 v[12:13], v[54:55], v[22:23], v[12:13] op_sel_hi:[1,0,1]
	v_pk_fma_f32 v[10:11], v[54:55], v[26:27], v[10:11] op_sel_hi:[1,0,1]
	v_dual_mov_b32 v42, v45 :: v_dual_mov_b32 v43, v44
	v_mov_b32_e32 v44, v25
	v_pk_fma_f32 v[12:13], v[38:39], v[22:23], v[12:13] op_sel:[0,1,0]
	s_delay_alu instid0(VALU_DEP_4) | instskip(SKIP_2) | instid1(VALU_DEP_4)
	v_pk_fma_f32 v[10:11], v[38:39], v[26:27], v[10:11] op_sel:[0,1,0]
	v_dual_mov_b32 v22, v29 :: v_dual_mov_b32 v26, v53
	v_mov_b32_e32 v27, v52
	v_pk_fma_f32 v[12:13], v[40:41], v[24:25], v[12:13] op_sel_hi:[1,0,1]
	s_delay_alu instid0(VALU_DEP_4) | instskip(SKIP_2) | instid1(VALU_DEP_4)
	v_pk_fma_f32 v[10:11], v[40:41], v[28:29], v[10:11] op_sel_hi:[1,0,1]
	v_dual_mov_b32 v24, v47 :: v_dual_mov_b32 v25, v46
	v_mov_b32_e32 v28, v37
	v_pk_fma_f32 v[12:13], v[42:43], v[44:45], v[12:13] op_sel_hi:[1,0,1]
	s_delay_alu instid0(VALU_DEP_4) | instskip(SKIP_1) | instid1(VALU_DEP_3)
	v_pk_fma_f32 v[10:11], v[42:43], v[22:23], v[10:11] op_sel_hi:[1,0,1]
	v_dual_mov_b32 v22, v49 :: v_dual_mov_b32 v23, v48
	v_pk_fma_f32 v[12:13], v[24:25], v[30:31], v[12:13] op_sel_hi:[1,0,1]
	s_delay_alu instid0(VALU_DEP_3) | instskip(SKIP_1) | instid1(VALU_DEP_3)
	v_pk_fma_f32 v[10:11], v[24:25], v[34:35], v[10:11] op_sel_hi:[1,0,1]
	v_dual_mov_b32 v24, v51 :: v_dual_mov_b32 v25, v50
	v_pk_fma_f32 v[12:13], v[22:23], v[30:31], v[12:13] op_sel:[0,1,0]
	s_delay_alu instid0(VALU_DEP_3) | instskip(SKIP_1) | instid1(VALU_DEP_3)
	v_pk_fma_f32 v[10:11], v[22:23], v[34:35], v[10:11] op_sel:[0,1,0]
	v_mov_b32_e32 v22, v33
	v_pk_fma_f32 v[12:13], v[24:25], v[32:33], v[12:13] op_sel_hi:[1,0,1]
	s_delay_alu instid0(VALU_DEP_3) | instskip(NEXT) | instid1(VALU_DEP_2)
	v_pk_fma_f32 v[10:11], v[24:25], v[36:37], v[10:11] op_sel_hi:[1,0,1]
	v_pk_fma_f32 v[12:13], v[26:27], v[22:23], v[12:13] op_sel_hi:[1,0,1]
	s_delay_alu instid0(VALU_DEP_2)
	v_pk_fma_f32 v[10:11], v[26:27], v[28:29], v[10:11] op_sel_hi:[1,0,1]
	s_cbranch_vccnz .LBB317_5
.LBB317_6:                              ;   in Loop: Header=BB317_3 Depth=1
	s_mul_u64 s[16:17], s[22:23], s[2:3]
	s_and_not1_b32 vcc_lo, exec_lo, s1
	s_lshl_b64 s[16:17], s[16:17], 2
	s_delay_alu instid0(SALU_CYCLE_1) | instskip(NEXT) | instid1(SALU_CYCLE_1)
	s_add_nc_u64 s[16:17], s[10:11], s[16:17]
	v_lshl_add_u64 v[14:15], v[2:3], 2, s[16:17]
	s_delay_alu instid0(VALU_DEP_1)
	v_add_nc_u64_e32 v[16:17], v[14:15], v[6:7]
	v_lshl_add_u64 v[14:15], s[14:15], 2, v[14:15]
	s_cbranch_vccnz .LBB317_8
; %bb.7:                                ;   in Loop: Header=BB317_3 Depth=1
	s_delay_alu instid0(VALU_DEP_1)
	v_add_nc_u64_e32 v[22:23], v[14:15], v[6:7]
	v_dual_mul_f32 v24, s30, v13 :: v_dual_mul_f32 v25, s30, v12
	v_dual_mul_f32 v26, s30, v11 :: v_dual_mul_f32 v27, s30, v10
	s_clause 0x3
	global_store_b32 v[16:17], v24, off
	global_store_b32 v[16:17], v25, off offset:64
	global_store_b32 v[22:23], v26, off
	global_store_b32 v[22:23], v27, off offset:64
	s_cbranch_execnz .LBB317_2
	s_branch .LBB317_9
.LBB317_8:                              ;   in Loop: Header=BB317_3 Depth=1
.LBB317_9:                              ;   in Loop: Header=BB317_3 Depth=1
	s_mul_u64 s[16:17], s[8:9], s[2:3]
	s_wait_xcnt 0x0
	v_lshl_add_u64 v[22:23], s[16:17], 2, v[8:9]
	s_delay_alu instid0(VALU_DEP_1) | instskip(SKIP_1) | instid1(VALU_DEP_1)
	v_add_nc_u64_e32 v[24:25], v[22:23], v[6:7]
	v_lshl_add_u64 v[22:23], s[4:5], 2, v[22:23]
	v_add_nc_u64_e32 v[22:23], v[22:23], v[6:7]
	global_load_b32 v26, v[24:25], off
	s_wait_loadcnt 0x0
	v_mul_f32_e32 v26, s33, v26
	s_delay_alu instid0(VALU_DEP_1) | instskip(SKIP_4) | instid1(VALU_DEP_1)
	v_fmac_f32_e32 v26, s30, v13
	global_store_b32 v[16:17], v26, off
	global_load_b32 v13, v[24:25], off offset:64
	s_wait_loadcnt 0x0
	v_mul_f32_e32 v13, s33, v13
	v_fmac_f32_e32 v13, s30, v12
	global_store_b32 v[16:17], v13, off offset:64
	global_load_b32 v12, v[22:23], off
	s_wait_loadcnt 0x0
	s_wait_xcnt 0x1
	v_mul_f32_e32 v16, s33, v12
	v_add_nc_u64_e32 v[12:13], v[14:15], v[6:7]
	s_delay_alu instid0(VALU_DEP_2) | instskip(SKIP_4) | instid1(VALU_DEP_1)
	v_fmac_f32_e32 v16, s30, v11
	global_store_b32 v[12:13], v16, off
	global_load_b32 v11, v[22:23], off offset:64
	s_wait_loadcnt 0x0
	v_mul_f32_e32 v11, s33, v11
	v_fmac_f32_e32 v11, s30, v10
	global_store_b32 v[12:13], v11, off offset:64
	s_branch .LBB317_2
.LBB317_10:
	s_endpgm
	.section	.rodata,"a",@progbits
	.p2align	6, 0x0
	.amdhsa_kernel _ZN12_GLOBAL__N_127rocblas_gemm_batched_kernelIfLi16ELi16ELi32ELi32ELi8ELi32ELi8ELi8ELi32ELc84ELc78EKfS1_fEEvlllT_PT11_llS4_llS2_PT12_llPT13_lli
		.amdhsa_group_segment_fixed_size 2048
		.amdhsa_private_segment_fixed_size 0
		.amdhsa_kernarg_size 140
		.amdhsa_user_sgpr_count 2
		.amdhsa_user_sgpr_dispatch_ptr 0
		.amdhsa_user_sgpr_queue_ptr 0
		.amdhsa_user_sgpr_kernarg_segment_ptr 1
		.amdhsa_user_sgpr_dispatch_id 0
		.amdhsa_user_sgpr_kernarg_preload_length 0
		.amdhsa_user_sgpr_kernarg_preload_offset 0
		.amdhsa_user_sgpr_private_segment_size 0
		.amdhsa_wavefront_size32 1
		.amdhsa_uses_dynamic_stack 0
		.amdhsa_enable_private_segment 0
		.amdhsa_system_sgpr_workgroup_id_x 1
		.amdhsa_system_sgpr_workgroup_id_y 1
		.amdhsa_system_sgpr_workgroup_id_z 1
		.amdhsa_system_sgpr_workgroup_info 0
		.amdhsa_system_vgpr_workitem_id 1
		.amdhsa_next_free_vgpr 56
		.amdhsa_next_free_sgpr 38
		.amdhsa_named_barrier_count 0
		.amdhsa_reserve_vcc 1
		.amdhsa_float_round_mode_32 0
		.amdhsa_float_round_mode_16_64 0
		.amdhsa_float_denorm_mode_32 3
		.amdhsa_float_denorm_mode_16_64 3
		.amdhsa_fp16_overflow 0
		.amdhsa_memory_ordered 1
		.amdhsa_forward_progress 1
		.amdhsa_inst_pref_size 11
		.amdhsa_round_robin_scheduling 0
		.amdhsa_exception_fp_ieee_invalid_op 0
		.amdhsa_exception_fp_denorm_src 0
		.amdhsa_exception_fp_ieee_div_zero 0
		.amdhsa_exception_fp_ieee_overflow 0
		.amdhsa_exception_fp_ieee_underflow 0
		.amdhsa_exception_fp_ieee_inexact 0
		.amdhsa_exception_int_div_zero 0
	.end_amdhsa_kernel
	.section	.text._ZN12_GLOBAL__N_127rocblas_gemm_batched_kernelIfLi16ELi16ELi32ELi32ELi8ELi32ELi8ELi8ELi32ELc84ELc78EKfS1_fEEvlllT_PT11_llS4_llS2_PT12_llPT13_lli,"axG",@progbits,_ZN12_GLOBAL__N_127rocblas_gemm_batched_kernelIfLi16ELi16ELi32ELi32ELi8ELi32ELi8ELi8ELi32ELc84ELc78EKfS1_fEEvlllT_PT11_llS4_llS2_PT12_llPT13_lli,comdat
.Lfunc_end317:
	.size	_ZN12_GLOBAL__N_127rocblas_gemm_batched_kernelIfLi16ELi16ELi32ELi32ELi8ELi32ELi8ELi8ELi32ELc84ELc78EKfS1_fEEvlllT_PT11_llS4_llS2_PT12_llPT13_lli, .Lfunc_end317-_ZN12_GLOBAL__N_127rocblas_gemm_batched_kernelIfLi16ELi16ELi32ELi32ELi8ELi32ELi8ELi8ELi32ELc84ELc78EKfS1_fEEvlllT_PT11_llS4_llS2_PT12_llPT13_lli
                                        ; -- End function
	.set _ZN12_GLOBAL__N_127rocblas_gemm_batched_kernelIfLi16ELi16ELi32ELi32ELi8ELi32ELi8ELi8ELi32ELc84ELc78EKfS1_fEEvlllT_PT11_llS4_llS2_PT12_llPT13_lli.num_vgpr, 56
	.set _ZN12_GLOBAL__N_127rocblas_gemm_batched_kernelIfLi16ELi16ELi32ELi32ELi8ELi32ELi8ELi8ELi32ELc84ELc78EKfS1_fEEvlllT_PT11_llS4_llS2_PT12_llPT13_lli.num_agpr, 0
	.set _ZN12_GLOBAL__N_127rocblas_gemm_batched_kernelIfLi16ELi16ELi32ELi32ELi8ELi32ELi8ELi8ELi32ELc84ELc78EKfS1_fEEvlllT_PT11_llS4_llS2_PT12_llPT13_lli.numbered_sgpr, 38
	.set _ZN12_GLOBAL__N_127rocblas_gemm_batched_kernelIfLi16ELi16ELi32ELi32ELi8ELi32ELi8ELi8ELi32ELc84ELc78EKfS1_fEEvlllT_PT11_llS4_llS2_PT12_llPT13_lli.num_named_barrier, 0
	.set _ZN12_GLOBAL__N_127rocblas_gemm_batched_kernelIfLi16ELi16ELi32ELi32ELi8ELi32ELi8ELi8ELi32ELc84ELc78EKfS1_fEEvlllT_PT11_llS4_llS2_PT12_llPT13_lli.private_seg_size, 0
	.set _ZN12_GLOBAL__N_127rocblas_gemm_batched_kernelIfLi16ELi16ELi32ELi32ELi8ELi32ELi8ELi8ELi32ELc84ELc78EKfS1_fEEvlllT_PT11_llS4_llS2_PT12_llPT13_lli.uses_vcc, 1
	.set _ZN12_GLOBAL__N_127rocblas_gemm_batched_kernelIfLi16ELi16ELi32ELi32ELi8ELi32ELi8ELi8ELi32ELc84ELc78EKfS1_fEEvlllT_PT11_llS4_llS2_PT12_llPT13_lli.uses_flat_scratch, 0
	.set _ZN12_GLOBAL__N_127rocblas_gemm_batched_kernelIfLi16ELi16ELi32ELi32ELi8ELi32ELi8ELi8ELi32ELc84ELc78EKfS1_fEEvlllT_PT11_llS4_llS2_PT12_llPT13_lli.has_dyn_sized_stack, 0
	.set _ZN12_GLOBAL__N_127rocblas_gemm_batched_kernelIfLi16ELi16ELi32ELi32ELi8ELi32ELi8ELi8ELi32ELc84ELc78EKfS1_fEEvlllT_PT11_llS4_llS2_PT12_llPT13_lli.has_recursion, 0
	.set _ZN12_GLOBAL__N_127rocblas_gemm_batched_kernelIfLi16ELi16ELi32ELi32ELi8ELi32ELi8ELi8ELi32ELc84ELc78EKfS1_fEEvlllT_PT11_llS4_llS2_PT12_llPT13_lli.has_indirect_call, 0
	.section	.AMDGPU.csdata,"",@progbits
; Kernel info:
; codeLenInByte = 1368
; TotalNumSgprs: 40
; NumVgprs: 56
; ScratchSize: 0
; MemoryBound: 0
; FloatMode: 240
; IeeeMode: 1
; LDSByteSize: 2048 bytes/workgroup (compile time only)
; SGPRBlocks: 0
; VGPRBlocks: 3
; NumSGPRsForWavesPerEU: 40
; NumVGPRsForWavesPerEU: 56
; NamedBarCnt: 0
; Occupancy: 16
; WaveLimiterHint : 0
; COMPUTE_PGM_RSRC2:SCRATCH_EN: 0
; COMPUTE_PGM_RSRC2:USER_SGPR: 2
; COMPUTE_PGM_RSRC2:TRAP_HANDLER: 0
; COMPUTE_PGM_RSRC2:TGID_X_EN: 1
; COMPUTE_PGM_RSRC2:TGID_Y_EN: 1
; COMPUTE_PGM_RSRC2:TGID_Z_EN: 1
; COMPUTE_PGM_RSRC2:TIDIG_COMP_CNT: 1
	.section	.text._ZN12_GLOBAL__N_127rocblas_gemm_batched_kernelIfLi16ELi16ELi32ELi32ELi8ELi32ELi8ELi8ELi32ELc78ELc84EKfS1_fEEvlllT_PT11_llS4_llS2_PT12_llPT13_lli,"axG",@progbits,_ZN12_GLOBAL__N_127rocblas_gemm_batched_kernelIfLi16ELi16ELi32ELi32ELi8ELi32ELi8ELi8ELi32ELc78ELc84EKfS1_fEEvlllT_PT11_llS4_llS2_PT12_llPT13_lli,comdat
	.globl	_ZN12_GLOBAL__N_127rocblas_gemm_batched_kernelIfLi16ELi16ELi32ELi32ELi8ELi32ELi8ELi8ELi32ELc78ELc84EKfS1_fEEvlllT_PT11_llS4_llS2_PT12_llPT13_lli ; -- Begin function _ZN12_GLOBAL__N_127rocblas_gemm_batched_kernelIfLi16ELi16ELi32ELi32ELi8ELi32ELi8ELi8ELi32ELc78ELc84EKfS1_fEEvlllT_PT11_llS4_llS2_PT12_llPT13_lli
	.p2align	8
	.type	_ZN12_GLOBAL__N_127rocblas_gemm_batched_kernelIfLi16ELi16ELi32ELi32ELi8ELi32ELi8ELi8ELi32ELc78ELc84EKfS1_fEEvlllT_PT11_llS4_llS2_PT12_llPT13_lli,@function
_ZN12_GLOBAL__N_127rocblas_gemm_batched_kernelIfLi16ELi16ELi32ELi32ELi8ELi32ELi8ELi8ELi32ELc78ELc84EKfS1_fEEvlllT_PT11_llS4_llS2_PT12_llPT13_lli: ; @_ZN12_GLOBAL__N_127rocblas_gemm_batched_kernelIfLi16ELi16ELi32ELi32ELi8ELi32ELi8ELi8ELi32ELc78ELc84EKfS1_fEEvlllT_PT11_llS4_llS2_PT12_llPT13_lli
; %bb.0:
	s_load_b32 s31, s[0:1], 0x88
	s_bfe_u32 s2, ttmp6, 0x40014
	s_lshr_b32 s3, ttmp7, 16
	s_add_co_i32 s2, s2, 1
	s_bfe_u32 s4, ttmp6, 0x40008
	s_mul_i32 s2, s3, s2
	s_getreg_b32 s20, hwreg(HW_REG_IB_STS2, 6, 4)
	s_add_co_i32 s4, s4, s2
	s_cmp_eq_u32 s20, 0
	s_cselect_b32 s2, s3, s4
	s_mov_b32 s3, 0
	s_wait_kmcnt 0x0
	s_cmp_ge_i32 s2, s31
	s_cbranch_scc1 .LBB318_10
; %bb.1:
	s_bfe_u32 s21, ttmp6, 0x4000c
	s_bfe_u32 s23, ttmp6, 0x40010
	s_clause 0x2
	s_load_b256 s[12:19], s[0:1], 0x20
	s_load_b128 s[24:27], s[0:1], 0x40
	s_load_b256 s[4:11], s[0:1], 0x58
	s_add_co_i32 s21, s21, 1
	s_and_b32 s28, ttmp7, 0xffff
	s_add_co_i32 s23, s23, 1
	s_and_b32 s22, ttmp6, 15
	s_mul_i32 s21, ttmp9, s21
	s_mul_i32 s23, s28, s23
	s_bfe_u32 s29, ttmp6, 0x40004
	s_add_co_i32 s22, s22, s21
	s_add_co_i32 s29, s29, s23
	s_cmp_eq_u32 s20, 0
	v_bfe_u32 v2, v0, 10, 10
	v_dual_mov_b32 v3, 0 :: v_dual_bitop2_b32 v17, 7, v0 bitop3:0x40
	s_cselect_b32 s20, s28, s29
	s_cselect_b32 s28, ttmp9, s22
	s_lshl_b32 s34, s20, 5
	s_load_b128 s[20:23], s[0:1], 0x78
	s_mov_b32 s35, s3
	v_and_b32_e32 v4, 0x3ff, v0
	v_add_nc_u64_e32 v[6:7], s[34:35], v[2:3]
	v_mov_b32_e32 v9, v3
	s_ashr_i32 s29, s28, 31
	s_load_b32 s33, s[0:1], 0x50
	v_lshl_add_u32 v1, v2, 4, v4
	s_lshl_b64 s[36:37], s[28:29], 5
	s_load_b96 s[28:30], s[0:1], 0x10
	s_wait_kmcnt 0x0
	v_mul_u64_e32 v[10:11], s[6:7], v[6:7]
	v_dual_lshlrev_b32 v20, 2, v4 :: v_dual_lshrrev_b32 v8, 3, v1
	v_dual_lshrrev_b32 v18, 5, v1 :: v_dual_bitop2_b32 v16, 31, v1 bitop3:0x40
	v_mov_b32_e32 v5, v3
	v_lshl_add_u32 v21, v2, 5, 0x400
	s_delay_alu instid0(VALU_DEP_4) | instskip(NEXT) | instid1(VALU_DEP_4)
	v_mad_nc_u64_u32 v[12:13], s24, v17, v[8:9]
	v_mad_nc_u64_u32 v[14:15], s14, v18, s[36:37]
	v_mul_u64_e32 v[0:1], s[20:21], v[6:7]
	v_dual_lshlrev_b32 v6, 2, v17 :: v_dual_lshlrev_b32 v7, 2, v16
	s_delay_alu instid0(VALU_DEP_1)
	v_lshl_or_b32 v6, v8, 5, v6
	s_cmp_eq_f32 s33, 0
	v_mad_u32 v13, s25, v17, v13
	v_mad_u32 v15, s15, v18, v15
	v_mov_b32_e32 v17, v3
	v_cmp_gt_i64_e64 s0, s[28:29], 0
	v_lshl_or_b32 v18, v18, 7, v7
	v_add_nc_u32_e32 v19, 0x400, v6
	v_add_nc_u64_e32 v[6:7], s[36:37], v[4:5]
	s_cselect_b32 s1, -1, 0
	s_lshl_b64 s[20:21], s[20:21], 4
	s_lshl_b64 s[6:7], s[6:7], 4
	;; [unrolled: 1-line block ×3, first 2 shown]
	v_add_nc_u64_e32 v[4:5], s[34:35], v[12:13]
	v_add_nc_u64_e32 v[8:9], v[14:15], v[16:17]
	v_lshlrev_b64_e32 v[6:7], 2, v[6:7]
	v_lshl_add_u64 v[2:3], v[10:11], 2, s[4:5]
	v_cndmask_b32_e64 v10, 0, 1, s0
	s_lshl_b64 s[4:5], s[26:27], 2
	s_lshl_b64 s[14:15], s[14:15], 5
	v_lshl_add_u64 v[4:5], v[4:5], 2, s[18:19]
	v_lshl_add_u64 v[8:9], v[8:9], 2, s[12:13]
	v_cmp_ne_u32_e64 s0, 1, v10
	s_lshl_b64 s[12:13], s[24:25], 5
	s_branch .LBB318_3
.LBB318_2:                              ;   in Loop: Header=BB318_3 Depth=1
	s_add_co_i32 s2, s2, 0x10000
	s_delay_alu instid0(SALU_CYCLE_1)
	s_cmp_lt_i32 s2, s31
	s_cbranch_scc0 .LBB318_10
.LBB318_3:                              ; =>This Loop Header: Depth=1
                                        ;     Child Loop BB318_5 Depth 2
	s_wait_xcnt 0x0
	v_dual_mov_b32 v13, 0 :: v_dual_mov_b32 v12, 0
	v_dual_mov_b32 v11, 0 :: v_dual_mov_b32 v10, 0
	s_and_b32 vcc_lo, exec_lo, s0
	s_cbranch_vccnz .LBB318_6
; %bb.4:                                ;   in Loop: Header=BB318_3 Depth=1
	v_mad_nc_u64_u32 v[14:15], s4, s2, v[4:5]
	v_mad_nc_u64_u32 v[16:17], s16, s2, v[8:9]
	v_mov_b32_e32 v10, 0
	s_mov_b64 s[18:19], 0
	s_delay_alu instid0(VALU_DEP_1)
	v_dual_mov_b32 v11, v10 :: v_dual_mov_b32 v12, v10
	v_mov_b32_e32 v13, v10
	v_mad_u32 v15, s5, s2, v15
	v_mad_u32 v17, s17, s2, v17
.LBB318_5:                              ;   Parent Loop BB318_3 Depth=1
                                        ; =>  This Inner Loop Header: Depth=2
	global_load_b32 v22, v[16:17], off
	global_load_b32 v23, v[14:15], off
	s_add_nc_u64 s[18:19], s[18:19], 8
	s_wait_xcnt 0x0
	v_add_nc_u64_e32 v[14:15], s[12:13], v[14:15]
	v_cmp_lt_i64_e64 s24, s[18:19], s[28:29]
	v_add_nc_u64_e32 v[16:17], s[14:15], v[16:17]
	s_wait_loadcnt 0x1
	ds_store_b32 v18, v22
	s_wait_loadcnt 0x0
	ds_store_b32 v19, v23
	s_wait_dscnt 0x0
	s_barrier_signal -1
	s_barrier_wait -1
	ds_load_2addr_b32 v[38:39], v20 offset1:16
	ds_load_2addr_b32 v[40:41], v20 offset0:32 offset1:48
	ds_load_b128 v[22:25], v21
	ds_load_2addr_b32 v[42:43], v20 offset0:64 offset1:80
	ds_load_b128 v[26:29], v21 offset:512
	ds_load_2addr_b32 v[44:45], v20 offset0:96 offset1:112
	ds_load_b128 v[30:33], v21 offset:16
	;; [unrolled: 2-line block ×3, first 2 shown]
	ds_load_2addr_b32 v[48:49], v20 offset0:160 offset1:176
	ds_load_2addr_b32 v[50:51], v20 offset0:192 offset1:208
	;; [unrolled: 1-line block ×3, first 2 shown]
	s_and_b32 vcc_lo, exec_lo, s24
	s_wait_dscnt 0x0
	s_barrier_signal -1
	s_barrier_wait -1
	v_dual_mov_b32 v54, v39 :: v_dual_mov_b32 v55, v38
	v_dual_mov_b32 v38, v41 :: v_dual_mov_b32 v39, v40
	;; [unrolled: 1-line block ×3, first 2 shown]
	s_delay_alu instid0(VALU_DEP_3) | instskip(SKIP_3) | instid1(VALU_DEP_4)
	v_pk_fma_f32 v[12:13], v[54:55], v[22:23], v[12:13] op_sel_hi:[1,0,1]
	v_pk_fma_f32 v[10:11], v[54:55], v[26:27], v[10:11] op_sel_hi:[1,0,1]
	v_dual_mov_b32 v42, v45 :: v_dual_mov_b32 v43, v44
	v_mov_b32_e32 v44, v25
	v_pk_fma_f32 v[12:13], v[38:39], v[22:23], v[12:13] op_sel:[0,1,0]
	s_delay_alu instid0(VALU_DEP_4) | instskip(SKIP_2) | instid1(VALU_DEP_4)
	v_pk_fma_f32 v[10:11], v[38:39], v[26:27], v[10:11] op_sel:[0,1,0]
	v_dual_mov_b32 v22, v29 :: v_dual_mov_b32 v26, v53
	v_mov_b32_e32 v27, v52
	v_pk_fma_f32 v[12:13], v[40:41], v[24:25], v[12:13] op_sel_hi:[1,0,1]
	s_delay_alu instid0(VALU_DEP_4) | instskip(SKIP_2) | instid1(VALU_DEP_4)
	v_pk_fma_f32 v[10:11], v[40:41], v[28:29], v[10:11] op_sel_hi:[1,0,1]
	v_dual_mov_b32 v24, v47 :: v_dual_mov_b32 v25, v46
	v_mov_b32_e32 v28, v37
	v_pk_fma_f32 v[12:13], v[42:43], v[44:45], v[12:13] op_sel_hi:[1,0,1]
	s_delay_alu instid0(VALU_DEP_4) | instskip(SKIP_1) | instid1(VALU_DEP_3)
	v_pk_fma_f32 v[10:11], v[42:43], v[22:23], v[10:11] op_sel_hi:[1,0,1]
	v_dual_mov_b32 v22, v49 :: v_dual_mov_b32 v23, v48
	v_pk_fma_f32 v[12:13], v[24:25], v[30:31], v[12:13] op_sel_hi:[1,0,1]
	s_delay_alu instid0(VALU_DEP_3) | instskip(SKIP_1) | instid1(VALU_DEP_3)
	v_pk_fma_f32 v[10:11], v[24:25], v[34:35], v[10:11] op_sel_hi:[1,0,1]
	v_dual_mov_b32 v24, v51 :: v_dual_mov_b32 v25, v50
	v_pk_fma_f32 v[12:13], v[22:23], v[30:31], v[12:13] op_sel:[0,1,0]
	s_delay_alu instid0(VALU_DEP_3) | instskip(SKIP_1) | instid1(VALU_DEP_3)
	v_pk_fma_f32 v[10:11], v[22:23], v[34:35], v[10:11] op_sel:[0,1,0]
	v_mov_b32_e32 v22, v33
	v_pk_fma_f32 v[12:13], v[24:25], v[32:33], v[12:13] op_sel_hi:[1,0,1]
	s_delay_alu instid0(VALU_DEP_3) | instskip(NEXT) | instid1(VALU_DEP_2)
	v_pk_fma_f32 v[10:11], v[24:25], v[36:37], v[10:11] op_sel_hi:[1,0,1]
	v_pk_fma_f32 v[12:13], v[26:27], v[22:23], v[12:13] op_sel_hi:[1,0,1]
	s_delay_alu instid0(VALU_DEP_2)
	v_pk_fma_f32 v[10:11], v[26:27], v[28:29], v[10:11] op_sel_hi:[1,0,1]
	s_cbranch_vccnz .LBB318_5
.LBB318_6:                              ;   in Loop: Header=BB318_3 Depth=1
	s_mul_u64 s[18:19], s[22:23], s[2:3]
	s_and_not1_b32 vcc_lo, exec_lo, s1
	s_lshl_b64 s[18:19], s[18:19], 2
	s_delay_alu instid0(SALU_CYCLE_1) | instskip(NEXT) | instid1(SALU_CYCLE_1)
	s_add_nc_u64 s[18:19], s[10:11], s[18:19]
	v_lshl_add_u64 v[14:15], v[0:1], 2, s[18:19]
	s_delay_alu instid0(VALU_DEP_1)
	v_add_nc_u64_e32 v[16:17], v[14:15], v[6:7]
	v_lshl_add_u64 v[14:15], s[20:21], 2, v[14:15]
	s_cbranch_vccnz .LBB318_8
; %bb.7:                                ;   in Loop: Header=BB318_3 Depth=1
	s_delay_alu instid0(VALU_DEP_1)
	v_add_nc_u64_e32 v[22:23], v[14:15], v[6:7]
	v_dual_mul_f32 v24, s30, v13 :: v_dual_mul_f32 v25, s30, v12
	v_dual_mul_f32 v26, s30, v11 :: v_dual_mul_f32 v27, s30, v10
	s_clause 0x3
	global_store_b32 v[16:17], v24, off
	global_store_b32 v[16:17], v25, off offset:64
	global_store_b32 v[22:23], v26, off
	global_store_b32 v[22:23], v27, off offset:64
	s_cbranch_execnz .LBB318_2
	s_branch .LBB318_9
.LBB318_8:                              ;   in Loop: Header=BB318_3 Depth=1
.LBB318_9:                              ;   in Loop: Header=BB318_3 Depth=1
	s_mul_u64 s[18:19], s[8:9], s[2:3]
	s_wait_xcnt 0x0
	v_lshl_add_u64 v[22:23], s[18:19], 2, v[2:3]
	s_delay_alu instid0(VALU_DEP_1) | instskip(SKIP_1) | instid1(VALU_DEP_1)
	v_add_nc_u64_e32 v[24:25], v[22:23], v[6:7]
	v_lshl_add_u64 v[22:23], s[6:7], 2, v[22:23]
	v_add_nc_u64_e32 v[22:23], v[22:23], v[6:7]
	global_load_b32 v26, v[24:25], off
	s_wait_loadcnt 0x0
	v_mul_f32_e32 v26, s33, v26
	s_delay_alu instid0(VALU_DEP_1) | instskip(SKIP_4) | instid1(VALU_DEP_1)
	v_fmac_f32_e32 v26, s30, v13
	global_store_b32 v[16:17], v26, off
	global_load_b32 v13, v[24:25], off offset:64
	s_wait_loadcnt 0x0
	v_mul_f32_e32 v13, s33, v13
	v_fmac_f32_e32 v13, s30, v12
	global_store_b32 v[16:17], v13, off offset:64
	global_load_b32 v12, v[22:23], off
	s_wait_loadcnt 0x0
	s_wait_xcnt 0x1
	v_mul_f32_e32 v16, s33, v12
	v_add_nc_u64_e32 v[12:13], v[14:15], v[6:7]
	s_delay_alu instid0(VALU_DEP_2) | instskip(SKIP_4) | instid1(VALU_DEP_1)
	v_fmac_f32_e32 v16, s30, v11
	global_store_b32 v[12:13], v16, off
	global_load_b32 v11, v[22:23], off offset:64
	s_wait_loadcnt 0x0
	v_mul_f32_e32 v11, s33, v11
	v_fmac_f32_e32 v11, s30, v10
	global_store_b32 v[12:13], v11, off offset:64
	s_branch .LBB318_2
.LBB318_10:
	s_endpgm
	.section	.rodata,"a",@progbits
	.p2align	6, 0x0
	.amdhsa_kernel _ZN12_GLOBAL__N_127rocblas_gemm_batched_kernelIfLi16ELi16ELi32ELi32ELi8ELi32ELi8ELi8ELi32ELc78ELc84EKfS1_fEEvlllT_PT11_llS4_llS2_PT12_llPT13_lli
		.amdhsa_group_segment_fixed_size 2048
		.amdhsa_private_segment_fixed_size 0
		.amdhsa_kernarg_size 140
		.amdhsa_user_sgpr_count 2
		.amdhsa_user_sgpr_dispatch_ptr 0
		.amdhsa_user_sgpr_queue_ptr 0
		.amdhsa_user_sgpr_kernarg_segment_ptr 1
		.amdhsa_user_sgpr_dispatch_id 0
		.amdhsa_user_sgpr_kernarg_preload_length 0
		.amdhsa_user_sgpr_kernarg_preload_offset 0
		.amdhsa_user_sgpr_private_segment_size 0
		.amdhsa_wavefront_size32 1
		.amdhsa_uses_dynamic_stack 0
		.amdhsa_enable_private_segment 0
		.amdhsa_system_sgpr_workgroup_id_x 1
		.amdhsa_system_sgpr_workgroup_id_y 1
		.amdhsa_system_sgpr_workgroup_id_z 1
		.amdhsa_system_sgpr_workgroup_info 0
		.amdhsa_system_vgpr_workitem_id 1
		.amdhsa_next_free_vgpr 56
		.amdhsa_next_free_sgpr 38
		.amdhsa_named_barrier_count 0
		.amdhsa_reserve_vcc 1
		.amdhsa_float_round_mode_32 0
		.amdhsa_float_round_mode_16_64 0
		.amdhsa_float_denorm_mode_32 3
		.amdhsa_float_denorm_mode_16_64 3
		.amdhsa_fp16_overflow 0
		.amdhsa_memory_ordered 1
		.amdhsa_forward_progress 1
		.amdhsa_inst_pref_size 11
		.amdhsa_round_robin_scheduling 0
		.amdhsa_exception_fp_ieee_invalid_op 0
		.amdhsa_exception_fp_denorm_src 0
		.amdhsa_exception_fp_ieee_div_zero 0
		.amdhsa_exception_fp_ieee_overflow 0
		.amdhsa_exception_fp_ieee_underflow 0
		.amdhsa_exception_fp_ieee_inexact 0
		.amdhsa_exception_int_div_zero 0
	.end_amdhsa_kernel
	.section	.text._ZN12_GLOBAL__N_127rocblas_gemm_batched_kernelIfLi16ELi16ELi32ELi32ELi8ELi32ELi8ELi8ELi32ELc78ELc84EKfS1_fEEvlllT_PT11_llS4_llS2_PT12_llPT13_lli,"axG",@progbits,_ZN12_GLOBAL__N_127rocblas_gemm_batched_kernelIfLi16ELi16ELi32ELi32ELi8ELi32ELi8ELi8ELi32ELc78ELc84EKfS1_fEEvlllT_PT11_llS4_llS2_PT12_llPT13_lli,comdat
.Lfunc_end318:
	.size	_ZN12_GLOBAL__N_127rocblas_gemm_batched_kernelIfLi16ELi16ELi32ELi32ELi8ELi32ELi8ELi8ELi32ELc78ELc84EKfS1_fEEvlllT_PT11_llS4_llS2_PT12_llPT13_lli, .Lfunc_end318-_ZN12_GLOBAL__N_127rocblas_gemm_batched_kernelIfLi16ELi16ELi32ELi32ELi8ELi32ELi8ELi8ELi32ELc78ELc84EKfS1_fEEvlllT_PT11_llS4_llS2_PT12_llPT13_lli
                                        ; -- End function
	.set _ZN12_GLOBAL__N_127rocblas_gemm_batched_kernelIfLi16ELi16ELi32ELi32ELi8ELi32ELi8ELi8ELi32ELc78ELc84EKfS1_fEEvlllT_PT11_llS4_llS2_PT12_llPT13_lli.num_vgpr, 56
	.set _ZN12_GLOBAL__N_127rocblas_gemm_batched_kernelIfLi16ELi16ELi32ELi32ELi8ELi32ELi8ELi8ELi32ELc78ELc84EKfS1_fEEvlllT_PT11_llS4_llS2_PT12_llPT13_lli.num_agpr, 0
	.set _ZN12_GLOBAL__N_127rocblas_gemm_batched_kernelIfLi16ELi16ELi32ELi32ELi8ELi32ELi8ELi8ELi32ELc78ELc84EKfS1_fEEvlllT_PT11_llS4_llS2_PT12_llPT13_lli.numbered_sgpr, 38
	.set _ZN12_GLOBAL__N_127rocblas_gemm_batched_kernelIfLi16ELi16ELi32ELi32ELi8ELi32ELi8ELi8ELi32ELc78ELc84EKfS1_fEEvlllT_PT11_llS4_llS2_PT12_llPT13_lli.num_named_barrier, 0
	.set _ZN12_GLOBAL__N_127rocblas_gemm_batched_kernelIfLi16ELi16ELi32ELi32ELi8ELi32ELi8ELi8ELi32ELc78ELc84EKfS1_fEEvlllT_PT11_llS4_llS2_PT12_llPT13_lli.private_seg_size, 0
	.set _ZN12_GLOBAL__N_127rocblas_gemm_batched_kernelIfLi16ELi16ELi32ELi32ELi8ELi32ELi8ELi8ELi32ELc78ELc84EKfS1_fEEvlllT_PT11_llS4_llS2_PT12_llPT13_lli.uses_vcc, 1
	.set _ZN12_GLOBAL__N_127rocblas_gemm_batched_kernelIfLi16ELi16ELi32ELi32ELi8ELi32ELi8ELi8ELi32ELc78ELc84EKfS1_fEEvlllT_PT11_llS4_llS2_PT12_llPT13_lli.uses_flat_scratch, 0
	.set _ZN12_GLOBAL__N_127rocblas_gemm_batched_kernelIfLi16ELi16ELi32ELi32ELi8ELi32ELi8ELi8ELi32ELc78ELc84EKfS1_fEEvlllT_PT11_llS4_llS2_PT12_llPT13_lli.has_dyn_sized_stack, 0
	.set _ZN12_GLOBAL__N_127rocblas_gemm_batched_kernelIfLi16ELi16ELi32ELi32ELi8ELi32ELi8ELi8ELi32ELc78ELc84EKfS1_fEEvlllT_PT11_llS4_llS2_PT12_llPT13_lli.has_recursion, 0
	.set _ZN12_GLOBAL__N_127rocblas_gemm_batched_kernelIfLi16ELi16ELi32ELi32ELi8ELi32ELi8ELi8ELi32ELc78ELc84EKfS1_fEEvlllT_PT11_llS4_llS2_PT12_llPT13_lli.has_indirect_call, 0
	.section	.AMDGPU.csdata,"",@progbits
; Kernel info:
; codeLenInByte = 1368
; TotalNumSgprs: 40
; NumVgprs: 56
; ScratchSize: 0
; MemoryBound: 0
; FloatMode: 240
; IeeeMode: 1
; LDSByteSize: 2048 bytes/workgroup (compile time only)
; SGPRBlocks: 0
; VGPRBlocks: 3
; NumSGPRsForWavesPerEU: 40
; NumVGPRsForWavesPerEU: 56
; NamedBarCnt: 0
; Occupancy: 16
; WaveLimiterHint : 0
; COMPUTE_PGM_RSRC2:SCRATCH_EN: 0
; COMPUTE_PGM_RSRC2:USER_SGPR: 2
; COMPUTE_PGM_RSRC2:TRAP_HANDLER: 0
; COMPUTE_PGM_RSRC2:TGID_X_EN: 1
; COMPUTE_PGM_RSRC2:TGID_Y_EN: 1
; COMPUTE_PGM_RSRC2:TGID_Z_EN: 1
; COMPUTE_PGM_RSRC2:TIDIG_COMP_CNT: 1
	.section	.text._ZN12_GLOBAL__N_127rocblas_gemm_batched_kernelIfLi16ELi16ELi32ELi32ELi8ELi32ELi8ELi8ELi32ELc84ELc84EKfS1_fEEvlllT_PT11_llS4_llS2_PT12_llPT13_lli,"axG",@progbits,_ZN12_GLOBAL__N_127rocblas_gemm_batched_kernelIfLi16ELi16ELi32ELi32ELi8ELi32ELi8ELi8ELi32ELc84ELc84EKfS1_fEEvlllT_PT11_llS4_llS2_PT12_llPT13_lli,comdat
	.globl	_ZN12_GLOBAL__N_127rocblas_gemm_batched_kernelIfLi16ELi16ELi32ELi32ELi8ELi32ELi8ELi8ELi32ELc84ELc84EKfS1_fEEvlllT_PT11_llS4_llS2_PT12_llPT13_lli ; -- Begin function _ZN12_GLOBAL__N_127rocblas_gemm_batched_kernelIfLi16ELi16ELi32ELi32ELi8ELi32ELi8ELi8ELi32ELc84ELc84EKfS1_fEEvlllT_PT11_llS4_llS2_PT12_llPT13_lli
	.p2align	8
	.type	_ZN12_GLOBAL__N_127rocblas_gemm_batched_kernelIfLi16ELi16ELi32ELi32ELi8ELi32ELi8ELi8ELi32ELc84ELc84EKfS1_fEEvlllT_PT11_llS4_llS2_PT12_llPT13_lli,@function
_ZN12_GLOBAL__N_127rocblas_gemm_batched_kernelIfLi16ELi16ELi32ELi32ELi8ELi32ELi8ELi8ELi32ELc84ELc84EKfS1_fEEvlllT_PT11_llS4_llS2_PT12_llPT13_lli: ; @_ZN12_GLOBAL__N_127rocblas_gemm_batched_kernelIfLi16ELi16ELi32ELi32ELi8ELi32ELi8ELi8ELi32ELc84ELc84EKfS1_fEEvlllT_PT11_llS4_llS2_PT12_llPT13_lli
; %bb.0:
	s_load_b32 s31, s[0:1], 0x88
	s_bfe_u32 s2, ttmp6, 0x40014
	s_lshr_b32 s3, ttmp7, 16
	s_add_co_i32 s2, s2, 1
	s_bfe_u32 s4, ttmp6, 0x40008
	s_mul_i32 s2, s3, s2
	s_getreg_b32 s28, hwreg(HW_REG_IB_STS2, 6, 4)
	s_add_co_i32 s4, s4, s2
	s_cmp_eq_u32 s28, 0
	s_cselect_b32 s2, s3, s4
	s_mov_b32 s3, 0
	s_wait_kmcnt 0x0
	s_cmp_ge_i32 s2, s31
	s_cbranch_scc1 .LBB319_10
; %bb.1:
	v_bfe_u32 v2, v0, 10, 10
	v_and_b32_e32 v4, 0x3ff, v0
	s_bfe_u32 s29, ttmp6, 0x4000c
	s_bfe_u32 s33, ttmp6, 0x40010
	s_add_co_i32 s29, s29, 1
	s_and_b32 s34, ttmp7, 0xffff
	s_add_co_i32 s33, s33, 1
	s_clause 0x3
	s_load_b256 s[12:19], s[0:1], 0x20
	s_load_b128 s[24:27], s[0:1], 0x40
	s_load_b128 s[20:23], s[0:1], 0x78
	s_load_b256 s[4:11], s[0:1], 0x58
	s_and_b32 s30, ttmp6, 15
	s_mul_i32 s29, ttmp9, s29
	s_mul_i32 s33, s34, s33
	s_bfe_u32 s35, ttmp6, 0x40004
	v_lshl_add_u32 v5, v2, 4, v4
	s_add_co_i32 s30, s30, s29
	s_add_co_i32 s35, s35, s33
	s_cmp_eq_u32 s28, 0
	s_delay_alu instid0(VALU_DEP_1)
	v_dual_mov_b32 v3, 0 :: v_dual_bitop2_b32 v16, 31, v5 bitop3:0x40
	s_cselect_b32 s28, ttmp9, s30
	s_cselect_b32 s30, s34, s35
	s_ashr_i32 s29, s28, 31
	s_lshl_b32 s36, s30, 5
	s_lshl_b64 s[34:35], s[28:29], 5
	s_mov_b32 s37, s3
	v_dual_mov_b32 v7, s35 :: v_dual_bitop2_b32 v6, s34, v16 bitop3:0x54
	v_add_nc_u64_e32 v[8:9], s[36:37], v[2:3]
	v_dual_lshrrev_b32 v10, 3, v5 :: v_dual_bitop2_b32 v17, 7, v0 bitop3:0x40
	v_mov_b32_e32 v11, v3
	s_wait_kmcnt 0x0
	v_mul_u64_e32 v[6:7], s[14:15], v[6:7]
	s_clause 0x1
	s_load_b32 s33, s[0:1], 0x50
	s_load_b96 s[28:30], s[0:1], 0x10
	v_mul_u64_e32 v[12:13], s[6:7], v[8:9]
	v_mul_u64_e32 v[0:1], s[20:21], v[8:9]
	v_lshrrev_b32_e32 v8, 5, v5
	v_mad_nc_u64_u32 v[14:15], s24, v17, v[10:11]
	v_dual_lshlrev_b32 v11, 2, v17 :: v_dual_lshlrev_b32 v9, 2, v16
	v_dual_mov_b32 v5, v3 :: v_dual_lshlrev_b32 v20, 2, v4
	v_lshl_add_u32 v21, v2, 5, 0x400
	s_delay_alu instid0(VALU_DEP_3)
	v_lshl_or_b32 v10, v10, 5, v11
	v_lshlrev_b32_e32 v2, 2, v8
	v_lshl_or_b32 v18, v8, 7, v9
	v_add_nc_u64_e32 v[8:9], s[34:35], v[4:5]
	v_mad_u32 v15, s25, v17, v15
	v_add_nc_u32_e32 v19, 0x400, v10
	s_wait_kmcnt 0x0
	s_cmp_eq_f32 s33, 0
	v_cmp_gt_i64_e64 s0, s[28:29], 0
	s_cselect_b32 s1, -1, 0
	s_lshl_b64 s[14:15], s[20:21], 4
	s_lshl_b64 s[6:7], s[6:7], 4
	v_add_nc_u64_e32 v[10:11], s[36:37], v[14:15]
	v_cndmask_b32_e64 v14, 0, 1, s0
	s_lshl_b64 s[16:17], s[16:17], 2
	v_lshl_add_u64 v[4:5], v[6:7], 2, v[2:3]
	v_lshlrev_b64_e32 v[6:7], 2, v[8:9]
	s_delay_alu instid0(VALU_DEP_3)
	v_cmp_ne_u32_e64 s0, 1, v14
	v_lshl_add_u64 v[2:3], v[12:13], 2, s[4:5]
	v_lshl_add_u64 v[8:9], v[10:11], 2, s[18:19]
	v_add_nc_u64_e32 v[4:5], s[12:13], v[4:5]
	s_lshl_b64 s[4:5], s[26:27], 2
	s_lshl_b64 s[12:13], s[24:25], 5
	s_branch .LBB319_3
.LBB319_2:                              ;   in Loop: Header=BB319_3 Depth=1
	s_add_co_i32 s2, s2, 0x10000
	s_delay_alu instid0(SALU_CYCLE_1)
	s_cmp_lt_i32 s2, s31
	s_cbranch_scc0 .LBB319_10
.LBB319_3:                              ; =>This Loop Header: Depth=1
                                        ;     Child Loop BB319_5 Depth 2
	s_wait_xcnt 0x0
	v_dual_mov_b32 v13, 0 :: v_dual_mov_b32 v12, 0
	v_dual_mov_b32 v11, 0 :: v_dual_mov_b32 v10, 0
	s_and_b32 vcc_lo, exec_lo, s0
	s_cbranch_vccnz .LBB319_6
; %bb.4:                                ;   in Loop: Header=BB319_3 Depth=1
	v_mad_nc_u64_u32 v[14:15], s4, s2, v[8:9]
	v_mad_nc_u64_u32 v[16:17], s16, s2, v[4:5]
	v_mov_b32_e32 v10, 0
	s_mov_b64 s[18:19], 0
	s_delay_alu instid0(VALU_DEP_1)
	v_dual_mov_b32 v11, v10 :: v_dual_mov_b32 v12, v10
	v_mov_b32_e32 v13, v10
	v_mad_u32 v15, s5, s2, v15
	v_mad_u32 v17, s17, s2, v17
.LBB319_5:                              ;   Parent Loop BB319_3 Depth=1
                                        ; =>  This Inner Loop Header: Depth=2
	global_load_b32 v22, v[16:17], off
	global_load_b32 v23, v[14:15], off
	s_add_nc_u64 s[18:19], s[18:19], 8
	s_wait_xcnt 0x0
	v_add_nc_u64_e32 v[14:15], s[12:13], v[14:15]
	v_cmp_lt_i64_e64 s20, s[18:19], s[28:29]
	v_add_nc_u64_e32 v[16:17], 32, v[16:17]
	s_wait_loadcnt 0x1
	ds_store_b32 v18, v22
	s_wait_loadcnt 0x0
	ds_store_b32 v19, v23
	s_wait_dscnt 0x0
	s_barrier_signal -1
	s_barrier_wait -1
	ds_load_2addr_b32 v[38:39], v20 offset1:16
	ds_load_2addr_b32 v[40:41], v20 offset0:32 offset1:48
	ds_load_b128 v[22:25], v21
	ds_load_2addr_b32 v[42:43], v20 offset0:64 offset1:80
	ds_load_b128 v[26:29], v21 offset:512
	ds_load_2addr_b32 v[44:45], v20 offset0:96 offset1:112
	ds_load_b128 v[30:33], v21 offset:16
	;; [unrolled: 2-line block ×3, first 2 shown]
	ds_load_2addr_b32 v[48:49], v20 offset0:160 offset1:176
	ds_load_2addr_b32 v[50:51], v20 offset0:192 offset1:208
	;; [unrolled: 1-line block ×3, first 2 shown]
	s_and_b32 vcc_lo, exec_lo, s20
	s_wait_dscnt 0x0
	s_barrier_signal -1
	s_barrier_wait -1
	v_dual_mov_b32 v54, v39 :: v_dual_mov_b32 v55, v38
	v_dual_mov_b32 v38, v41 :: v_dual_mov_b32 v39, v40
	;; [unrolled: 1-line block ×3, first 2 shown]
	s_delay_alu instid0(VALU_DEP_3) | instskip(SKIP_3) | instid1(VALU_DEP_4)
	v_pk_fma_f32 v[12:13], v[54:55], v[22:23], v[12:13] op_sel_hi:[1,0,1]
	v_pk_fma_f32 v[10:11], v[54:55], v[26:27], v[10:11] op_sel_hi:[1,0,1]
	v_dual_mov_b32 v42, v45 :: v_dual_mov_b32 v43, v44
	v_mov_b32_e32 v44, v25
	v_pk_fma_f32 v[12:13], v[38:39], v[22:23], v[12:13] op_sel:[0,1,0]
	s_delay_alu instid0(VALU_DEP_4) | instskip(SKIP_2) | instid1(VALU_DEP_4)
	v_pk_fma_f32 v[10:11], v[38:39], v[26:27], v[10:11] op_sel:[0,1,0]
	v_dual_mov_b32 v22, v29 :: v_dual_mov_b32 v26, v53
	v_mov_b32_e32 v27, v52
	v_pk_fma_f32 v[12:13], v[40:41], v[24:25], v[12:13] op_sel_hi:[1,0,1]
	s_delay_alu instid0(VALU_DEP_4) | instskip(SKIP_2) | instid1(VALU_DEP_4)
	v_pk_fma_f32 v[10:11], v[40:41], v[28:29], v[10:11] op_sel_hi:[1,0,1]
	v_dual_mov_b32 v24, v47 :: v_dual_mov_b32 v25, v46
	v_mov_b32_e32 v28, v37
	v_pk_fma_f32 v[12:13], v[42:43], v[44:45], v[12:13] op_sel_hi:[1,0,1]
	s_delay_alu instid0(VALU_DEP_4) | instskip(SKIP_1) | instid1(VALU_DEP_3)
	v_pk_fma_f32 v[10:11], v[42:43], v[22:23], v[10:11] op_sel_hi:[1,0,1]
	v_dual_mov_b32 v22, v49 :: v_dual_mov_b32 v23, v48
	v_pk_fma_f32 v[12:13], v[24:25], v[30:31], v[12:13] op_sel_hi:[1,0,1]
	s_delay_alu instid0(VALU_DEP_3) | instskip(SKIP_1) | instid1(VALU_DEP_3)
	v_pk_fma_f32 v[10:11], v[24:25], v[34:35], v[10:11] op_sel_hi:[1,0,1]
	v_dual_mov_b32 v24, v51 :: v_dual_mov_b32 v25, v50
	v_pk_fma_f32 v[12:13], v[22:23], v[30:31], v[12:13] op_sel:[0,1,0]
	s_delay_alu instid0(VALU_DEP_3) | instskip(SKIP_1) | instid1(VALU_DEP_3)
	v_pk_fma_f32 v[10:11], v[22:23], v[34:35], v[10:11] op_sel:[0,1,0]
	v_mov_b32_e32 v22, v33
	v_pk_fma_f32 v[12:13], v[24:25], v[32:33], v[12:13] op_sel_hi:[1,0,1]
	s_delay_alu instid0(VALU_DEP_3) | instskip(NEXT) | instid1(VALU_DEP_2)
	v_pk_fma_f32 v[10:11], v[24:25], v[36:37], v[10:11] op_sel_hi:[1,0,1]
	v_pk_fma_f32 v[12:13], v[26:27], v[22:23], v[12:13] op_sel_hi:[1,0,1]
	s_delay_alu instid0(VALU_DEP_2)
	v_pk_fma_f32 v[10:11], v[26:27], v[28:29], v[10:11] op_sel_hi:[1,0,1]
	s_cbranch_vccnz .LBB319_5
.LBB319_6:                              ;   in Loop: Header=BB319_3 Depth=1
	s_mul_u64 s[18:19], s[22:23], s[2:3]
	s_and_not1_b32 vcc_lo, exec_lo, s1
	s_lshl_b64 s[18:19], s[18:19], 2
	s_delay_alu instid0(SALU_CYCLE_1) | instskip(NEXT) | instid1(SALU_CYCLE_1)
	s_add_nc_u64 s[18:19], s[10:11], s[18:19]
	v_lshl_add_u64 v[14:15], v[0:1], 2, s[18:19]
	s_delay_alu instid0(VALU_DEP_1)
	v_add_nc_u64_e32 v[16:17], v[14:15], v[6:7]
	v_lshl_add_u64 v[14:15], s[14:15], 2, v[14:15]
	s_cbranch_vccnz .LBB319_8
; %bb.7:                                ;   in Loop: Header=BB319_3 Depth=1
	s_delay_alu instid0(VALU_DEP_1)
	v_add_nc_u64_e32 v[22:23], v[14:15], v[6:7]
	v_dual_mul_f32 v24, s30, v13 :: v_dual_mul_f32 v25, s30, v12
	v_dual_mul_f32 v26, s30, v11 :: v_dual_mul_f32 v27, s30, v10
	s_clause 0x3
	global_store_b32 v[16:17], v24, off
	global_store_b32 v[16:17], v25, off offset:64
	global_store_b32 v[22:23], v26, off
	global_store_b32 v[22:23], v27, off offset:64
	s_cbranch_execnz .LBB319_2
	s_branch .LBB319_9
.LBB319_8:                              ;   in Loop: Header=BB319_3 Depth=1
.LBB319_9:                              ;   in Loop: Header=BB319_3 Depth=1
	s_mul_u64 s[18:19], s[8:9], s[2:3]
	s_wait_xcnt 0x0
	v_lshl_add_u64 v[22:23], s[18:19], 2, v[2:3]
	s_delay_alu instid0(VALU_DEP_1) | instskip(SKIP_1) | instid1(VALU_DEP_1)
	v_add_nc_u64_e32 v[24:25], v[22:23], v[6:7]
	v_lshl_add_u64 v[22:23], s[6:7], 2, v[22:23]
	v_add_nc_u64_e32 v[22:23], v[22:23], v[6:7]
	global_load_b32 v26, v[24:25], off
	s_wait_loadcnt 0x0
	v_mul_f32_e32 v26, s33, v26
	s_delay_alu instid0(VALU_DEP_1) | instskip(SKIP_4) | instid1(VALU_DEP_1)
	v_fmac_f32_e32 v26, s30, v13
	global_store_b32 v[16:17], v26, off
	global_load_b32 v13, v[24:25], off offset:64
	s_wait_loadcnt 0x0
	v_mul_f32_e32 v13, s33, v13
	v_fmac_f32_e32 v13, s30, v12
	global_store_b32 v[16:17], v13, off offset:64
	global_load_b32 v12, v[22:23], off
	s_wait_loadcnt 0x0
	s_wait_xcnt 0x1
	v_mul_f32_e32 v16, s33, v12
	v_add_nc_u64_e32 v[12:13], v[14:15], v[6:7]
	s_delay_alu instid0(VALU_DEP_2) | instskip(SKIP_4) | instid1(VALU_DEP_1)
	v_fmac_f32_e32 v16, s30, v11
	global_store_b32 v[12:13], v16, off
	global_load_b32 v11, v[22:23], off offset:64
	s_wait_loadcnt 0x0
	v_mul_f32_e32 v11, s33, v11
	v_fmac_f32_e32 v11, s30, v10
	global_store_b32 v[12:13], v11, off offset:64
	s_branch .LBB319_2
.LBB319_10:
	s_endpgm
	.section	.rodata,"a",@progbits
	.p2align	6, 0x0
	.amdhsa_kernel _ZN12_GLOBAL__N_127rocblas_gemm_batched_kernelIfLi16ELi16ELi32ELi32ELi8ELi32ELi8ELi8ELi32ELc84ELc84EKfS1_fEEvlllT_PT11_llS4_llS2_PT12_llPT13_lli
		.amdhsa_group_segment_fixed_size 2048
		.amdhsa_private_segment_fixed_size 0
		.amdhsa_kernarg_size 140
		.amdhsa_user_sgpr_count 2
		.amdhsa_user_sgpr_dispatch_ptr 0
		.amdhsa_user_sgpr_queue_ptr 0
		.amdhsa_user_sgpr_kernarg_segment_ptr 1
		.amdhsa_user_sgpr_dispatch_id 0
		.amdhsa_user_sgpr_kernarg_preload_length 0
		.amdhsa_user_sgpr_kernarg_preload_offset 0
		.amdhsa_user_sgpr_private_segment_size 0
		.amdhsa_wavefront_size32 1
		.amdhsa_uses_dynamic_stack 0
		.amdhsa_enable_private_segment 0
		.amdhsa_system_sgpr_workgroup_id_x 1
		.amdhsa_system_sgpr_workgroup_id_y 1
		.amdhsa_system_sgpr_workgroup_id_z 1
		.amdhsa_system_sgpr_workgroup_info 0
		.amdhsa_system_vgpr_workitem_id 1
		.amdhsa_next_free_vgpr 56
		.amdhsa_next_free_sgpr 38
		.amdhsa_named_barrier_count 0
		.amdhsa_reserve_vcc 1
		.amdhsa_float_round_mode_32 0
		.amdhsa_float_round_mode_16_64 0
		.amdhsa_float_denorm_mode_32 3
		.amdhsa_float_denorm_mode_16_64 3
		.amdhsa_fp16_overflow 0
		.amdhsa_memory_ordered 1
		.amdhsa_forward_progress 1
		.amdhsa_inst_pref_size 11
		.amdhsa_round_robin_scheduling 0
		.amdhsa_exception_fp_ieee_invalid_op 0
		.amdhsa_exception_fp_denorm_src 0
		.amdhsa_exception_fp_ieee_div_zero 0
		.amdhsa_exception_fp_ieee_overflow 0
		.amdhsa_exception_fp_ieee_underflow 0
		.amdhsa_exception_fp_ieee_inexact 0
		.amdhsa_exception_int_div_zero 0
	.end_amdhsa_kernel
	.section	.text._ZN12_GLOBAL__N_127rocblas_gemm_batched_kernelIfLi16ELi16ELi32ELi32ELi8ELi32ELi8ELi8ELi32ELc84ELc84EKfS1_fEEvlllT_PT11_llS4_llS2_PT12_llPT13_lli,"axG",@progbits,_ZN12_GLOBAL__N_127rocblas_gemm_batched_kernelIfLi16ELi16ELi32ELi32ELi8ELi32ELi8ELi8ELi32ELc84ELc84EKfS1_fEEvlllT_PT11_llS4_llS2_PT12_llPT13_lli,comdat
.Lfunc_end319:
	.size	_ZN12_GLOBAL__N_127rocblas_gemm_batched_kernelIfLi16ELi16ELi32ELi32ELi8ELi32ELi8ELi8ELi32ELc84ELc84EKfS1_fEEvlllT_PT11_llS4_llS2_PT12_llPT13_lli, .Lfunc_end319-_ZN12_GLOBAL__N_127rocblas_gemm_batched_kernelIfLi16ELi16ELi32ELi32ELi8ELi32ELi8ELi8ELi32ELc84ELc84EKfS1_fEEvlllT_PT11_llS4_llS2_PT12_llPT13_lli
                                        ; -- End function
	.set _ZN12_GLOBAL__N_127rocblas_gemm_batched_kernelIfLi16ELi16ELi32ELi32ELi8ELi32ELi8ELi8ELi32ELc84ELc84EKfS1_fEEvlllT_PT11_llS4_llS2_PT12_llPT13_lli.num_vgpr, 56
	.set _ZN12_GLOBAL__N_127rocblas_gemm_batched_kernelIfLi16ELi16ELi32ELi32ELi8ELi32ELi8ELi8ELi32ELc84ELc84EKfS1_fEEvlllT_PT11_llS4_llS2_PT12_llPT13_lli.num_agpr, 0
	.set _ZN12_GLOBAL__N_127rocblas_gemm_batched_kernelIfLi16ELi16ELi32ELi32ELi8ELi32ELi8ELi8ELi32ELc84ELc84EKfS1_fEEvlllT_PT11_llS4_llS2_PT12_llPT13_lli.numbered_sgpr, 38
	.set _ZN12_GLOBAL__N_127rocblas_gemm_batched_kernelIfLi16ELi16ELi32ELi32ELi8ELi32ELi8ELi8ELi32ELc84ELc84EKfS1_fEEvlllT_PT11_llS4_llS2_PT12_llPT13_lli.num_named_barrier, 0
	.set _ZN12_GLOBAL__N_127rocblas_gemm_batched_kernelIfLi16ELi16ELi32ELi32ELi8ELi32ELi8ELi8ELi32ELc84ELc84EKfS1_fEEvlllT_PT11_llS4_llS2_PT12_llPT13_lli.private_seg_size, 0
	.set _ZN12_GLOBAL__N_127rocblas_gemm_batched_kernelIfLi16ELi16ELi32ELi32ELi8ELi32ELi8ELi8ELi32ELc84ELc84EKfS1_fEEvlllT_PT11_llS4_llS2_PT12_llPT13_lli.uses_vcc, 1
	.set _ZN12_GLOBAL__N_127rocblas_gemm_batched_kernelIfLi16ELi16ELi32ELi32ELi8ELi32ELi8ELi8ELi32ELc84ELc84EKfS1_fEEvlllT_PT11_llS4_llS2_PT12_llPT13_lli.uses_flat_scratch, 0
	.set _ZN12_GLOBAL__N_127rocblas_gemm_batched_kernelIfLi16ELi16ELi32ELi32ELi8ELi32ELi8ELi8ELi32ELc84ELc84EKfS1_fEEvlllT_PT11_llS4_llS2_PT12_llPT13_lli.has_dyn_sized_stack, 0
	.set _ZN12_GLOBAL__N_127rocblas_gemm_batched_kernelIfLi16ELi16ELi32ELi32ELi8ELi32ELi8ELi8ELi32ELc84ELc84EKfS1_fEEvlllT_PT11_llS4_llS2_PT12_llPT13_lli.has_recursion, 0
	.set _ZN12_GLOBAL__N_127rocblas_gemm_batched_kernelIfLi16ELi16ELi32ELi32ELi8ELi32ELi8ELi8ELi32ELc84ELc84EKfS1_fEEvlllT_PT11_llS4_llS2_PT12_llPT13_lli.has_indirect_call, 0
	.section	.AMDGPU.csdata,"",@progbits
; Kernel info:
; codeLenInByte = 1372
; TotalNumSgprs: 40
; NumVgprs: 56
; ScratchSize: 0
; MemoryBound: 0
; FloatMode: 240
; IeeeMode: 1
; LDSByteSize: 2048 bytes/workgroup (compile time only)
; SGPRBlocks: 0
; VGPRBlocks: 3
; NumSGPRsForWavesPerEU: 40
; NumVGPRsForWavesPerEU: 56
; NamedBarCnt: 0
; Occupancy: 16
; WaveLimiterHint : 0
; COMPUTE_PGM_RSRC2:SCRATCH_EN: 0
; COMPUTE_PGM_RSRC2:USER_SGPR: 2
; COMPUTE_PGM_RSRC2:TRAP_HANDLER: 0
; COMPUTE_PGM_RSRC2:TGID_X_EN: 1
; COMPUTE_PGM_RSRC2:TGID_Y_EN: 1
; COMPUTE_PGM_RSRC2:TGID_Z_EN: 1
; COMPUTE_PGM_RSRC2:TIDIG_COMP_CNT: 1
	.section	.text._ZN12_GLOBAL__N_127rocblas_gemm_batched_kernelIfLi16ELi16ELi32ELi32ELi8ELi32ELi8ELi8ELi32ELc67ELc67EKfS1_fEEvlllT_PT11_llS4_llS2_PT12_llPT13_lli,"axG",@progbits,_ZN12_GLOBAL__N_127rocblas_gemm_batched_kernelIfLi16ELi16ELi32ELi32ELi8ELi32ELi8ELi8ELi32ELc67ELc67EKfS1_fEEvlllT_PT11_llS4_llS2_PT12_llPT13_lli,comdat
	.globl	_ZN12_GLOBAL__N_127rocblas_gemm_batched_kernelIfLi16ELi16ELi32ELi32ELi8ELi32ELi8ELi8ELi32ELc67ELc67EKfS1_fEEvlllT_PT11_llS4_llS2_PT12_llPT13_lli ; -- Begin function _ZN12_GLOBAL__N_127rocblas_gemm_batched_kernelIfLi16ELi16ELi32ELi32ELi8ELi32ELi8ELi8ELi32ELc67ELc67EKfS1_fEEvlllT_PT11_llS4_llS2_PT12_llPT13_lli
	.p2align	8
	.type	_ZN12_GLOBAL__N_127rocblas_gemm_batched_kernelIfLi16ELi16ELi32ELi32ELi8ELi32ELi8ELi8ELi32ELc67ELc67EKfS1_fEEvlllT_PT11_llS4_llS2_PT12_llPT13_lli,@function
_ZN12_GLOBAL__N_127rocblas_gemm_batched_kernelIfLi16ELi16ELi32ELi32ELi8ELi32ELi8ELi8ELi32ELc67ELc67EKfS1_fEEvlllT_PT11_llS4_llS2_PT12_llPT13_lli: ; @_ZN12_GLOBAL__N_127rocblas_gemm_batched_kernelIfLi16ELi16ELi32ELi32ELi8ELi32ELi8ELi8ELi32ELc67ELc67EKfS1_fEEvlllT_PT11_llS4_llS2_PT12_llPT13_lli
; %bb.0:
	s_load_b32 s31, s[0:1], 0x88
	s_bfe_u32 s2, ttmp6, 0x40014
	s_lshr_b32 s3, ttmp7, 16
	s_add_co_i32 s2, s2, 1
	s_bfe_u32 s4, ttmp6, 0x40008
	s_mul_i32 s2, s3, s2
	s_getreg_b32 s28, hwreg(HW_REG_IB_STS2, 6, 4)
	s_add_co_i32 s4, s4, s2
	s_cmp_eq_u32 s28, 0
	s_cselect_b32 s2, s3, s4
	s_mov_b32 s3, 0
	s_wait_kmcnt 0x0
	s_cmp_ge_i32 s2, s31
	s_cbranch_scc1 .LBB320_10
; %bb.1:
	v_bfe_u32 v2, v0, 10, 10
	v_and_b32_e32 v4, 0x3ff, v0
	s_bfe_u32 s29, ttmp6, 0x4000c
	s_bfe_u32 s33, ttmp6, 0x40010
	s_add_co_i32 s29, s29, 1
	s_and_b32 s34, ttmp7, 0xffff
	s_add_co_i32 s33, s33, 1
	s_clause 0x3
	s_load_b256 s[12:19], s[0:1], 0x20
	s_load_b128 s[24:27], s[0:1], 0x40
	s_load_b128 s[20:23], s[0:1], 0x78
	s_load_b256 s[4:11], s[0:1], 0x58
	s_and_b32 s30, ttmp6, 15
	s_mul_i32 s29, ttmp9, s29
	s_mul_i32 s33, s34, s33
	s_bfe_u32 s35, ttmp6, 0x40004
	v_lshl_add_u32 v5, v2, 4, v4
	s_add_co_i32 s30, s30, s29
	s_add_co_i32 s35, s35, s33
	s_cmp_eq_u32 s28, 0
	s_delay_alu instid0(VALU_DEP_1)
	v_dual_mov_b32 v3, 0 :: v_dual_bitop2_b32 v16, 31, v5 bitop3:0x40
	s_cselect_b32 s28, ttmp9, s30
	s_cselect_b32 s30, s34, s35
	s_ashr_i32 s29, s28, 31
	s_lshl_b32 s36, s30, 5
	s_lshl_b64 s[34:35], s[28:29], 5
	s_mov_b32 s37, s3
	v_dual_mov_b32 v7, s35 :: v_dual_bitop2_b32 v6, s34, v16 bitop3:0x54
	v_add_nc_u64_e32 v[8:9], s[36:37], v[2:3]
	v_dual_lshrrev_b32 v10, 3, v5 :: v_dual_bitop2_b32 v17, 7, v0 bitop3:0x40
	v_mov_b32_e32 v11, v3
	s_wait_kmcnt 0x0
	v_mul_u64_e32 v[6:7], s[14:15], v[6:7]
	s_clause 0x1
	s_load_b32 s33, s[0:1], 0x50
	s_load_b96 s[28:30], s[0:1], 0x10
	v_mul_u64_e32 v[12:13], s[6:7], v[8:9]
	v_mul_u64_e32 v[0:1], s[20:21], v[8:9]
	v_lshrrev_b32_e32 v8, 5, v5
	v_mad_nc_u64_u32 v[14:15], s24, v17, v[10:11]
	v_dual_lshlrev_b32 v11, 2, v17 :: v_dual_lshlrev_b32 v9, 2, v16
	v_dual_mov_b32 v5, v3 :: v_dual_lshlrev_b32 v20, 2, v4
	v_lshl_add_u32 v21, v2, 5, 0x400
	s_delay_alu instid0(VALU_DEP_3)
	v_lshl_or_b32 v10, v10, 5, v11
	v_lshlrev_b32_e32 v2, 2, v8
	v_lshl_or_b32 v18, v8, 7, v9
	v_add_nc_u64_e32 v[8:9], s[34:35], v[4:5]
	v_mad_u32 v15, s25, v17, v15
	v_add_nc_u32_e32 v19, 0x400, v10
	s_wait_kmcnt 0x0
	s_cmp_eq_f32 s33, 0
	v_cmp_gt_i64_e64 s0, s[28:29], 0
	s_cselect_b32 s1, -1, 0
	s_lshl_b64 s[14:15], s[20:21], 4
	s_lshl_b64 s[6:7], s[6:7], 4
	v_add_nc_u64_e32 v[10:11], s[36:37], v[14:15]
	v_cndmask_b32_e64 v14, 0, 1, s0
	s_lshl_b64 s[16:17], s[16:17], 2
	v_lshl_add_u64 v[4:5], v[6:7], 2, v[2:3]
	v_lshlrev_b64_e32 v[6:7], 2, v[8:9]
	s_delay_alu instid0(VALU_DEP_3)
	v_cmp_ne_u32_e64 s0, 1, v14
	v_lshl_add_u64 v[2:3], v[12:13], 2, s[4:5]
	v_lshl_add_u64 v[8:9], v[10:11], 2, s[18:19]
	v_add_nc_u64_e32 v[4:5], s[12:13], v[4:5]
	s_lshl_b64 s[4:5], s[26:27], 2
	s_lshl_b64 s[12:13], s[24:25], 5
	s_branch .LBB320_3
.LBB320_2:                              ;   in Loop: Header=BB320_3 Depth=1
	s_add_co_i32 s2, s2, 0x10000
	s_delay_alu instid0(SALU_CYCLE_1)
	s_cmp_lt_i32 s2, s31
	s_cbranch_scc0 .LBB320_10
.LBB320_3:                              ; =>This Loop Header: Depth=1
                                        ;     Child Loop BB320_5 Depth 2
	s_wait_xcnt 0x0
	v_dual_mov_b32 v13, 0 :: v_dual_mov_b32 v12, 0
	v_dual_mov_b32 v11, 0 :: v_dual_mov_b32 v10, 0
	s_and_b32 vcc_lo, exec_lo, s0
	s_cbranch_vccnz .LBB320_6
; %bb.4:                                ;   in Loop: Header=BB320_3 Depth=1
	v_mad_nc_u64_u32 v[14:15], s4, s2, v[8:9]
	v_mad_nc_u64_u32 v[16:17], s16, s2, v[4:5]
	v_mov_b32_e32 v10, 0
	s_mov_b64 s[18:19], 0
	s_delay_alu instid0(VALU_DEP_1)
	v_dual_mov_b32 v11, v10 :: v_dual_mov_b32 v12, v10
	v_mov_b32_e32 v13, v10
	v_mad_u32 v15, s5, s2, v15
	v_mad_u32 v17, s17, s2, v17
.LBB320_5:                              ;   Parent Loop BB320_3 Depth=1
                                        ; =>  This Inner Loop Header: Depth=2
	global_load_b32 v22, v[16:17], off
	global_load_b32 v23, v[14:15], off
	s_add_nc_u64 s[18:19], s[18:19], 8
	s_wait_xcnt 0x0
	v_add_nc_u64_e32 v[14:15], s[12:13], v[14:15]
	v_cmp_lt_i64_e64 s20, s[18:19], s[28:29]
	v_add_nc_u64_e32 v[16:17], 32, v[16:17]
	s_wait_loadcnt 0x1
	ds_store_b32 v18, v22
	s_wait_loadcnt 0x0
	ds_store_b32 v19, v23
	s_wait_dscnt 0x0
	s_barrier_signal -1
	s_barrier_wait -1
	ds_load_2addr_b32 v[38:39], v20 offset1:16
	ds_load_2addr_b32 v[40:41], v20 offset0:32 offset1:48
	ds_load_b128 v[22:25], v21
	ds_load_2addr_b32 v[42:43], v20 offset0:64 offset1:80
	ds_load_b128 v[26:29], v21 offset:512
	ds_load_2addr_b32 v[44:45], v20 offset0:96 offset1:112
	ds_load_b128 v[30:33], v21 offset:16
	;; [unrolled: 2-line block ×3, first 2 shown]
	ds_load_2addr_b32 v[48:49], v20 offset0:160 offset1:176
	ds_load_2addr_b32 v[50:51], v20 offset0:192 offset1:208
	;; [unrolled: 1-line block ×3, first 2 shown]
	s_and_b32 vcc_lo, exec_lo, s20
	s_wait_dscnt 0x0
	s_barrier_signal -1
	s_barrier_wait -1
	v_dual_mov_b32 v54, v39 :: v_dual_mov_b32 v55, v38
	v_dual_mov_b32 v38, v41 :: v_dual_mov_b32 v39, v40
	;; [unrolled: 1-line block ×3, first 2 shown]
	s_delay_alu instid0(VALU_DEP_3) | instskip(SKIP_3) | instid1(VALU_DEP_4)
	v_pk_fma_f32 v[12:13], v[54:55], v[22:23], v[12:13] op_sel_hi:[1,0,1]
	v_pk_fma_f32 v[10:11], v[54:55], v[26:27], v[10:11] op_sel_hi:[1,0,1]
	v_dual_mov_b32 v42, v45 :: v_dual_mov_b32 v43, v44
	v_mov_b32_e32 v44, v25
	v_pk_fma_f32 v[12:13], v[38:39], v[22:23], v[12:13] op_sel:[0,1,0]
	s_delay_alu instid0(VALU_DEP_4) | instskip(SKIP_2) | instid1(VALU_DEP_4)
	v_pk_fma_f32 v[10:11], v[38:39], v[26:27], v[10:11] op_sel:[0,1,0]
	v_dual_mov_b32 v22, v29 :: v_dual_mov_b32 v26, v53
	v_mov_b32_e32 v27, v52
	v_pk_fma_f32 v[12:13], v[40:41], v[24:25], v[12:13] op_sel_hi:[1,0,1]
	s_delay_alu instid0(VALU_DEP_4) | instskip(SKIP_2) | instid1(VALU_DEP_4)
	v_pk_fma_f32 v[10:11], v[40:41], v[28:29], v[10:11] op_sel_hi:[1,0,1]
	v_dual_mov_b32 v24, v47 :: v_dual_mov_b32 v25, v46
	v_mov_b32_e32 v28, v37
	v_pk_fma_f32 v[12:13], v[42:43], v[44:45], v[12:13] op_sel_hi:[1,0,1]
	s_delay_alu instid0(VALU_DEP_4) | instskip(SKIP_1) | instid1(VALU_DEP_3)
	v_pk_fma_f32 v[10:11], v[42:43], v[22:23], v[10:11] op_sel_hi:[1,0,1]
	v_dual_mov_b32 v22, v49 :: v_dual_mov_b32 v23, v48
	v_pk_fma_f32 v[12:13], v[24:25], v[30:31], v[12:13] op_sel_hi:[1,0,1]
	s_delay_alu instid0(VALU_DEP_3) | instskip(SKIP_1) | instid1(VALU_DEP_3)
	v_pk_fma_f32 v[10:11], v[24:25], v[34:35], v[10:11] op_sel_hi:[1,0,1]
	v_dual_mov_b32 v24, v51 :: v_dual_mov_b32 v25, v50
	v_pk_fma_f32 v[12:13], v[22:23], v[30:31], v[12:13] op_sel:[0,1,0]
	s_delay_alu instid0(VALU_DEP_3) | instskip(SKIP_1) | instid1(VALU_DEP_3)
	v_pk_fma_f32 v[10:11], v[22:23], v[34:35], v[10:11] op_sel:[0,1,0]
	v_mov_b32_e32 v22, v33
	v_pk_fma_f32 v[12:13], v[24:25], v[32:33], v[12:13] op_sel_hi:[1,0,1]
	s_delay_alu instid0(VALU_DEP_3) | instskip(NEXT) | instid1(VALU_DEP_2)
	v_pk_fma_f32 v[10:11], v[24:25], v[36:37], v[10:11] op_sel_hi:[1,0,1]
	v_pk_fma_f32 v[12:13], v[26:27], v[22:23], v[12:13] op_sel_hi:[1,0,1]
	s_delay_alu instid0(VALU_DEP_2)
	v_pk_fma_f32 v[10:11], v[26:27], v[28:29], v[10:11] op_sel_hi:[1,0,1]
	s_cbranch_vccnz .LBB320_5
.LBB320_6:                              ;   in Loop: Header=BB320_3 Depth=1
	s_mul_u64 s[18:19], s[22:23], s[2:3]
	s_and_not1_b32 vcc_lo, exec_lo, s1
	s_lshl_b64 s[18:19], s[18:19], 2
	s_delay_alu instid0(SALU_CYCLE_1) | instskip(NEXT) | instid1(SALU_CYCLE_1)
	s_add_nc_u64 s[18:19], s[10:11], s[18:19]
	v_lshl_add_u64 v[14:15], v[0:1], 2, s[18:19]
	s_delay_alu instid0(VALU_DEP_1)
	v_add_nc_u64_e32 v[16:17], v[14:15], v[6:7]
	v_lshl_add_u64 v[14:15], s[14:15], 2, v[14:15]
	s_cbranch_vccnz .LBB320_8
; %bb.7:                                ;   in Loop: Header=BB320_3 Depth=1
	s_delay_alu instid0(VALU_DEP_1)
	v_add_nc_u64_e32 v[22:23], v[14:15], v[6:7]
	v_dual_mul_f32 v24, s30, v13 :: v_dual_mul_f32 v25, s30, v12
	v_dual_mul_f32 v26, s30, v11 :: v_dual_mul_f32 v27, s30, v10
	s_clause 0x3
	global_store_b32 v[16:17], v24, off
	global_store_b32 v[16:17], v25, off offset:64
	global_store_b32 v[22:23], v26, off
	global_store_b32 v[22:23], v27, off offset:64
	s_cbranch_execnz .LBB320_2
	s_branch .LBB320_9
.LBB320_8:                              ;   in Loop: Header=BB320_3 Depth=1
.LBB320_9:                              ;   in Loop: Header=BB320_3 Depth=1
	s_mul_u64 s[18:19], s[8:9], s[2:3]
	s_wait_xcnt 0x0
	v_lshl_add_u64 v[22:23], s[18:19], 2, v[2:3]
	s_delay_alu instid0(VALU_DEP_1) | instskip(SKIP_1) | instid1(VALU_DEP_1)
	v_add_nc_u64_e32 v[24:25], v[22:23], v[6:7]
	v_lshl_add_u64 v[22:23], s[6:7], 2, v[22:23]
	v_add_nc_u64_e32 v[22:23], v[22:23], v[6:7]
	global_load_b32 v26, v[24:25], off
	s_wait_loadcnt 0x0
	v_mul_f32_e32 v26, s33, v26
	s_delay_alu instid0(VALU_DEP_1) | instskip(SKIP_4) | instid1(VALU_DEP_1)
	v_fmac_f32_e32 v26, s30, v13
	global_store_b32 v[16:17], v26, off
	global_load_b32 v13, v[24:25], off offset:64
	s_wait_loadcnt 0x0
	v_mul_f32_e32 v13, s33, v13
	v_fmac_f32_e32 v13, s30, v12
	global_store_b32 v[16:17], v13, off offset:64
	global_load_b32 v12, v[22:23], off
	s_wait_loadcnt 0x0
	s_wait_xcnt 0x1
	v_mul_f32_e32 v16, s33, v12
	v_add_nc_u64_e32 v[12:13], v[14:15], v[6:7]
	s_delay_alu instid0(VALU_DEP_2) | instskip(SKIP_4) | instid1(VALU_DEP_1)
	v_fmac_f32_e32 v16, s30, v11
	global_store_b32 v[12:13], v16, off
	global_load_b32 v11, v[22:23], off offset:64
	s_wait_loadcnt 0x0
	v_mul_f32_e32 v11, s33, v11
	v_fmac_f32_e32 v11, s30, v10
	global_store_b32 v[12:13], v11, off offset:64
	s_branch .LBB320_2
.LBB320_10:
	s_endpgm
	.section	.rodata,"a",@progbits
	.p2align	6, 0x0
	.amdhsa_kernel _ZN12_GLOBAL__N_127rocblas_gemm_batched_kernelIfLi16ELi16ELi32ELi32ELi8ELi32ELi8ELi8ELi32ELc67ELc67EKfS1_fEEvlllT_PT11_llS4_llS2_PT12_llPT13_lli
		.amdhsa_group_segment_fixed_size 2048
		.amdhsa_private_segment_fixed_size 0
		.amdhsa_kernarg_size 140
		.amdhsa_user_sgpr_count 2
		.amdhsa_user_sgpr_dispatch_ptr 0
		.amdhsa_user_sgpr_queue_ptr 0
		.amdhsa_user_sgpr_kernarg_segment_ptr 1
		.amdhsa_user_sgpr_dispatch_id 0
		.amdhsa_user_sgpr_kernarg_preload_length 0
		.amdhsa_user_sgpr_kernarg_preload_offset 0
		.amdhsa_user_sgpr_private_segment_size 0
		.amdhsa_wavefront_size32 1
		.amdhsa_uses_dynamic_stack 0
		.amdhsa_enable_private_segment 0
		.amdhsa_system_sgpr_workgroup_id_x 1
		.amdhsa_system_sgpr_workgroup_id_y 1
		.amdhsa_system_sgpr_workgroup_id_z 1
		.amdhsa_system_sgpr_workgroup_info 0
		.amdhsa_system_vgpr_workitem_id 1
		.amdhsa_next_free_vgpr 56
		.amdhsa_next_free_sgpr 38
		.amdhsa_named_barrier_count 0
		.amdhsa_reserve_vcc 1
		.amdhsa_float_round_mode_32 0
		.amdhsa_float_round_mode_16_64 0
		.amdhsa_float_denorm_mode_32 3
		.amdhsa_float_denorm_mode_16_64 3
		.amdhsa_fp16_overflow 0
		.amdhsa_memory_ordered 1
		.amdhsa_forward_progress 1
		.amdhsa_inst_pref_size 11
		.amdhsa_round_robin_scheduling 0
		.amdhsa_exception_fp_ieee_invalid_op 0
		.amdhsa_exception_fp_denorm_src 0
		.amdhsa_exception_fp_ieee_div_zero 0
		.amdhsa_exception_fp_ieee_overflow 0
		.amdhsa_exception_fp_ieee_underflow 0
		.amdhsa_exception_fp_ieee_inexact 0
		.amdhsa_exception_int_div_zero 0
	.end_amdhsa_kernel
	.section	.text._ZN12_GLOBAL__N_127rocblas_gemm_batched_kernelIfLi16ELi16ELi32ELi32ELi8ELi32ELi8ELi8ELi32ELc67ELc67EKfS1_fEEvlllT_PT11_llS4_llS2_PT12_llPT13_lli,"axG",@progbits,_ZN12_GLOBAL__N_127rocblas_gemm_batched_kernelIfLi16ELi16ELi32ELi32ELi8ELi32ELi8ELi8ELi32ELc67ELc67EKfS1_fEEvlllT_PT11_llS4_llS2_PT12_llPT13_lli,comdat
.Lfunc_end320:
	.size	_ZN12_GLOBAL__N_127rocblas_gemm_batched_kernelIfLi16ELi16ELi32ELi32ELi8ELi32ELi8ELi8ELi32ELc67ELc67EKfS1_fEEvlllT_PT11_llS4_llS2_PT12_llPT13_lli, .Lfunc_end320-_ZN12_GLOBAL__N_127rocblas_gemm_batched_kernelIfLi16ELi16ELi32ELi32ELi8ELi32ELi8ELi8ELi32ELc67ELc67EKfS1_fEEvlllT_PT11_llS4_llS2_PT12_llPT13_lli
                                        ; -- End function
	.set _ZN12_GLOBAL__N_127rocblas_gemm_batched_kernelIfLi16ELi16ELi32ELi32ELi8ELi32ELi8ELi8ELi32ELc67ELc67EKfS1_fEEvlllT_PT11_llS4_llS2_PT12_llPT13_lli.num_vgpr, 56
	.set _ZN12_GLOBAL__N_127rocblas_gemm_batched_kernelIfLi16ELi16ELi32ELi32ELi8ELi32ELi8ELi8ELi32ELc67ELc67EKfS1_fEEvlllT_PT11_llS4_llS2_PT12_llPT13_lli.num_agpr, 0
	.set _ZN12_GLOBAL__N_127rocblas_gemm_batched_kernelIfLi16ELi16ELi32ELi32ELi8ELi32ELi8ELi8ELi32ELc67ELc67EKfS1_fEEvlllT_PT11_llS4_llS2_PT12_llPT13_lli.numbered_sgpr, 38
	.set _ZN12_GLOBAL__N_127rocblas_gemm_batched_kernelIfLi16ELi16ELi32ELi32ELi8ELi32ELi8ELi8ELi32ELc67ELc67EKfS1_fEEvlllT_PT11_llS4_llS2_PT12_llPT13_lli.num_named_barrier, 0
	.set _ZN12_GLOBAL__N_127rocblas_gemm_batched_kernelIfLi16ELi16ELi32ELi32ELi8ELi32ELi8ELi8ELi32ELc67ELc67EKfS1_fEEvlllT_PT11_llS4_llS2_PT12_llPT13_lli.private_seg_size, 0
	.set _ZN12_GLOBAL__N_127rocblas_gemm_batched_kernelIfLi16ELi16ELi32ELi32ELi8ELi32ELi8ELi8ELi32ELc67ELc67EKfS1_fEEvlllT_PT11_llS4_llS2_PT12_llPT13_lli.uses_vcc, 1
	.set _ZN12_GLOBAL__N_127rocblas_gemm_batched_kernelIfLi16ELi16ELi32ELi32ELi8ELi32ELi8ELi8ELi32ELc67ELc67EKfS1_fEEvlllT_PT11_llS4_llS2_PT12_llPT13_lli.uses_flat_scratch, 0
	.set _ZN12_GLOBAL__N_127rocblas_gemm_batched_kernelIfLi16ELi16ELi32ELi32ELi8ELi32ELi8ELi8ELi32ELc67ELc67EKfS1_fEEvlllT_PT11_llS4_llS2_PT12_llPT13_lli.has_dyn_sized_stack, 0
	.set _ZN12_GLOBAL__N_127rocblas_gemm_batched_kernelIfLi16ELi16ELi32ELi32ELi8ELi32ELi8ELi8ELi32ELc67ELc67EKfS1_fEEvlllT_PT11_llS4_llS2_PT12_llPT13_lli.has_recursion, 0
	.set _ZN12_GLOBAL__N_127rocblas_gemm_batched_kernelIfLi16ELi16ELi32ELi32ELi8ELi32ELi8ELi8ELi32ELc67ELc67EKfS1_fEEvlllT_PT11_llS4_llS2_PT12_llPT13_lli.has_indirect_call, 0
	.section	.AMDGPU.csdata,"",@progbits
; Kernel info:
; codeLenInByte = 1372
; TotalNumSgprs: 40
; NumVgprs: 56
; ScratchSize: 0
; MemoryBound: 0
; FloatMode: 240
; IeeeMode: 1
; LDSByteSize: 2048 bytes/workgroup (compile time only)
; SGPRBlocks: 0
; VGPRBlocks: 3
; NumSGPRsForWavesPerEU: 40
; NumVGPRsForWavesPerEU: 56
; NamedBarCnt: 0
; Occupancy: 16
; WaveLimiterHint : 0
; COMPUTE_PGM_RSRC2:SCRATCH_EN: 0
; COMPUTE_PGM_RSRC2:USER_SGPR: 2
; COMPUTE_PGM_RSRC2:TRAP_HANDLER: 0
; COMPUTE_PGM_RSRC2:TGID_X_EN: 1
; COMPUTE_PGM_RSRC2:TGID_Y_EN: 1
; COMPUTE_PGM_RSRC2:TGID_Z_EN: 1
; COMPUTE_PGM_RSRC2:TIDIG_COMP_CNT: 1
	.section	.text._ZN12_GLOBAL__N_127rocblas_gemm_batched_kernelIfLi16ELi16ELi32ELi32ELi8ELi32ELi8ELi8ELi32ELc67ELc78EKfS1_fEEvlllT_PT11_llS4_llS2_PT12_llPT13_lli,"axG",@progbits,_ZN12_GLOBAL__N_127rocblas_gemm_batched_kernelIfLi16ELi16ELi32ELi32ELi8ELi32ELi8ELi8ELi32ELc67ELc78EKfS1_fEEvlllT_PT11_llS4_llS2_PT12_llPT13_lli,comdat
	.globl	_ZN12_GLOBAL__N_127rocblas_gemm_batched_kernelIfLi16ELi16ELi32ELi32ELi8ELi32ELi8ELi8ELi32ELc67ELc78EKfS1_fEEvlllT_PT11_llS4_llS2_PT12_llPT13_lli ; -- Begin function _ZN12_GLOBAL__N_127rocblas_gemm_batched_kernelIfLi16ELi16ELi32ELi32ELi8ELi32ELi8ELi8ELi32ELc67ELc78EKfS1_fEEvlllT_PT11_llS4_llS2_PT12_llPT13_lli
	.p2align	8
	.type	_ZN12_GLOBAL__N_127rocblas_gemm_batched_kernelIfLi16ELi16ELi32ELi32ELi8ELi32ELi8ELi8ELi32ELc67ELc78EKfS1_fEEvlllT_PT11_llS4_llS2_PT12_llPT13_lli,@function
_ZN12_GLOBAL__N_127rocblas_gemm_batched_kernelIfLi16ELi16ELi32ELi32ELi8ELi32ELi8ELi8ELi32ELc67ELc78EKfS1_fEEvlllT_PT11_llS4_llS2_PT12_llPT13_lli: ; @_ZN12_GLOBAL__N_127rocblas_gemm_batched_kernelIfLi16ELi16ELi32ELi32ELi8ELi32ELi8ELi8ELi32ELc67ELc78EKfS1_fEEvlllT_PT11_llS4_llS2_PT12_llPT13_lli
; %bb.0:
	s_load_b32 s31, s[0:1], 0x88
	s_bfe_u32 s2, ttmp6, 0x40014
	s_lshr_b32 s3, ttmp7, 16
	s_add_co_i32 s2, s2, 1
	s_bfe_u32 s4, ttmp6, 0x40008
	s_mul_i32 s2, s3, s2
	s_getreg_b32 s28, hwreg(HW_REG_IB_STS2, 6, 4)
	s_add_co_i32 s4, s4, s2
	s_cmp_eq_u32 s28, 0
	s_cselect_b32 s2, s3, s4
	s_mov_b32 s3, 0
	s_wait_kmcnt 0x0
	s_cmp_ge_i32 s2, s31
	s_cbranch_scc1 .LBB321_10
; %bb.1:
	v_bfe_u32 v4, v0, 10, 10
	v_and_b32_e32 v6, 0x3ff, v0
	s_clause 0x1
	s_load_b256 s[12:19], s[0:1], 0x20
	s_load_b128 s[24:27], s[0:1], 0x40
	s_bfe_u32 s29, ttmp6, 0x4000c
	s_bfe_u32 s33, ttmp6, 0x40010
	s_add_co_i32 s29, s29, 1
	s_and_b32 s34, ttmp7, 0xffff
	s_add_co_i32 s33, s33, 1
	v_lshl_add_u32 v1, v4, 4, v6
	v_mov_b32_e32 v5, 0
	s_and_b32 s30, ttmp6, 15
	s_mul_i32 s29, ttmp9, s29
	s_mul_i32 s33, s34, s33
	s_bfe_u32 s35, ttmp6, 0x40004
	s_add_co_i32 s30, s30, s29
	s_add_co_i32 s35, s35, s33
	s_clause 0x1
	s_load_b128 s[20:23], s[0:1], 0x78
	s_load_b256 s[4:11], s[0:1], 0x58
	s_cmp_eq_u32 s28, 0
	v_dual_lshrrev_b32 v8, 3, v1 :: v_dual_bitop2_b32 v16, 31, v1 bitop3:0x40
	v_mov_b32_e32 v9, v5
	s_cselect_b32 s28, ttmp9, s30
	s_cselect_b32 s30, s34, s35
	s_ashr_i32 s29, s28, 31
	s_lshl_b32 s34, s30, 5
	s_mov_b32 s35, s3
	s_lshl_b64 s[36:37], s[28:29], 5
	v_add_nc_u64_e32 v[2:3], s[34:35], v[8:9]
	v_dual_mov_b32 v11, s37 :: v_dual_bitop2_b32 v10, s36, v16 bitop3:0x54
	s_clause 0x1
	s_load_b32 s33, s[0:1], 0x50
	s_load_b96 s[28:30], s[0:1], 0x10
	v_dual_mov_b32 v7, v5 :: v_dual_lshlrev_b32 v0, 2, v0
	s_wait_kmcnt 0x0
	v_mul_u64_e32 v[10:11], s[14:15], v[10:11]
	v_mul_u64_e32 v[12:13], s[24:25], v[2:3]
	v_add_nc_u64_e32 v[2:3], s[34:35], v[4:5]
	v_dual_lshrrev_b32 v9, 5, v1 :: v_dual_lshlrev_b32 v16, 2, v16
	v_dual_lshlrev_b32 v18, 2, v6 :: v_dual_bitop2_b32 v0, 28, v0 bitop3:0x40
	v_lshl_add_u32 v19, v4, 5, 0x400
	s_delay_alu instid0(VALU_DEP_3)
	v_dual_mov_b32 v1, v5 :: v_dual_lshlrev_b32 v4, 2, v9
	v_mul_u64_e32 v[14:15], s[6:7], v[2:3]
	v_mul_u64_e32 v[2:3], s[20:21], v[2:3]
	v_add_nc_u64_e32 v[6:7], s[36:37], v[6:7]
	v_lshl_or_b32 v8, v8, 5, v0
	v_lshl_or_b32 v20, v9, 7, v16
	s_cmp_eq_f32 s33, 0
	v_cmp_gt_i64_e64 s0, s[28:29], 0
	s_delay_alu instid0(VALU_DEP_3)
	v_add_nc_u32_e32 v21, 0x400, v8
	v_lshlrev_b64_e32 v[6:7], 2, v[6:7]
	s_cselect_b32 s1, -1, 0
	s_lshl_b64 s[14:15], s[20:21], 4
	v_lshl_add_u64 v[4:5], v[10:11], 2, v[4:5]
	v_lshl_add_u64 v[0:1], v[12:13], 2, v[0:1]
	v_cndmask_b32_e64 v10, 0, 1, s0
	s_delay_alu instid0(VALU_DEP_3) | instskip(NEXT) | instid1(VALU_DEP_3)
	v_add_nc_u64_e32 v[4:5], s[12:13], v[4:5]
	v_add_nc_u64_e32 v[0:1], s[18:19], v[0:1]
	s_delay_alu instid0(VALU_DEP_3)
	v_cmp_ne_u32_e64 s0, 1, v10
	s_lshl_b64 s[12:13], s[16:17], 2
	v_lshl_add_u64 v[8:9], v[14:15], 2, s[4:5]
	s_lshl_b64 s[4:5], s[6:7], 4
	s_lshl_b64 s[6:7], s[26:27], 2
	s_branch .LBB321_3
.LBB321_2:                              ;   in Loop: Header=BB321_3 Depth=1
	s_add_co_i32 s2, s2, 0x10000
	s_delay_alu instid0(SALU_CYCLE_1)
	s_cmp_lt_i32 s2, s31
	s_cbranch_scc0 .LBB321_10
.LBB321_3:                              ; =>This Loop Header: Depth=1
                                        ;     Child Loop BB321_5 Depth 2
	s_wait_xcnt 0x0
	v_dual_mov_b32 v13, 0 :: v_dual_mov_b32 v12, 0
	v_dual_mov_b32 v11, 0 :: v_dual_mov_b32 v10, 0
	s_and_b32 vcc_lo, exec_lo, s0
	s_cbranch_vccnz .LBB321_6
; %bb.4:                                ;   in Loop: Header=BB321_3 Depth=1
	v_mad_nc_u64_u32 v[14:15], s6, s2, v[0:1]
	v_mad_nc_u64_u32 v[16:17], s12, s2, v[4:5]
	v_mov_b32_e32 v10, 0
	s_mov_b64 s[16:17], 0
	s_delay_alu instid0(VALU_DEP_1)
	v_dual_mov_b32 v11, v10 :: v_dual_mov_b32 v12, v10
	v_mov_b32_e32 v13, v10
	v_mad_u32 v15, s7, s2, v15
	v_mad_u32 v17, s13, s2, v17
.LBB321_5:                              ;   Parent Loop BB321_3 Depth=1
                                        ; =>  This Inner Loop Header: Depth=2
	global_load_b32 v22, v[16:17], off
	global_load_b32 v23, v[14:15], off
	s_add_nc_u64 s[16:17], s[16:17], 8
	s_wait_xcnt 0x0
	v_add_nc_u64_e32 v[14:15], 32, v[14:15]
	v_cmp_lt_i64_e64 s18, s[16:17], s[28:29]
	v_add_nc_u64_e32 v[16:17], 32, v[16:17]
	s_wait_loadcnt 0x1
	ds_store_b32 v20, v22
	s_wait_loadcnt 0x0
	ds_store_b32 v21, v23
	s_wait_dscnt 0x0
	s_barrier_signal -1
	s_barrier_wait -1
	ds_load_2addr_b32 v[38:39], v18 offset1:16
	ds_load_2addr_b32 v[40:41], v18 offset0:32 offset1:48
	ds_load_b128 v[22:25], v19
	ds_load_2addr_b32 v[42:43], v18 offset0:64 offset1:80
	ds_load_b128 v[26:29], v19 offset:512
	ds_load_2addr_b32 v[44:45], v18 offset0:96 offset1:112
	ds_load_b128 v[30:33], v19 offset:16
	;; [unrolled: 2-line block ×3, first 2 shown]
	ds_load_2addr_b32 v[48:49], v18 offset0:160 offset1:176
	ds_load_2addr_b32 v[50:51], v18 offset0:192 offset1:208
	;; [unrolled: 1-line block ×3, first 2 shown]
	s_and_b32 vcc_lo, exec_lo, s18
	s_wait_dscnt 0x0
	s_barrier_signal -1
	s_barrier_wait -1
	v_dual_mov_b32 v54, v39 :: v_dual_mov_b32 v55, v38
	v_dual_mov_b32 v38, v41 :: v_dual_mov_b32 v39, v40
	v_dual_mov_b32 v40, v43 :: v_dual_mov_b32 v41, v42
	s_delay_alu instid0(VALU_DEP_3) | instskip(SKIP_3) | instid1(VALU_DEP_4)
	v_pk_fma_f32 v[12:13], v[54:55], v[22:23], v[12:13] op_sel_hi:[1,0,1]
	v_pk_fma_f32 v[10:11], v[54:55], v[26:27], v[10:11] op_sel_hi:[1,0,1]
	v_dual_mov_b32 v42, v45 :: v_dual_mov_b32 v43, v44
	v_mov_b32_e32 v44, v25
	v_pk_fma_f32 v[12:13], v[38:39], v[22:23], v[12:13] op_sel:[0,1,0]
	s_delay_alu instid0(VALU_DEP_4) | instskip(SKIP_2) | instid1(VALU_DEP_4)
	v_pk_fma_f32 v[10:11], v[38:39], v[26:27], v[10:11] op_sel:[0,1,0]
	v_dual_mov_b32 v22, v29 :: v_dual_mov_b32 v26, v53
	v_mov_b32_e32 v27, v52
	v_pk_fma_f32 v[12:13], v[40:41], v[24:25], v[12:13] op_sel_hi:[1,0,1]
	s_delay_alu instid0(VALU_DEP_4) | instskip(SKIP_2) | instid1(VALU_DEP_4)
	v_pk_fma_f32 v[10:11], v[40:41], v[28:29], v[10:11] op_sel_hi:[1,0,1]
	v_dual_mov_b32 v24, v47 :: v_dual_mov_b32 v25, v46
	v_mov_b32_e32 v28, v37
	v_pk_fma_f32 v[12:13], v[42:43], v[44:45], v[12:13] op_sel_hi:[1,0,1]
	s_delay_alu instid0(VALU_DEP_4) | instskip(SKIP_1) | instid1(VALU_DEP_3)
	v_pk_fma_f32 v[10:11], v[42:43], v[22:23], v[10:11] op_sel_hi:[1,0,1]
	v_dual_mov_b32 v22, v49 :: v_dual_mov_b32 v23, v48
	v_pk_fma_f32 v[12:13], v[24:25], v[30:31], v[12:13] op_sel_hi:[1,0,1]
	s_delay_alu instid0(VALU_DEP_3) | instskip(SKIP_1) | instid1(VALU_DEP_3)
	v_pk_fma_f32 v[10:11], v[24:25], v[34:35], v[10:11] op_sel_hi:[1,0,1]
	v_dual_mov_b32 v24, v51 :: v_dual_mov_b32 v25, v50
	v_pk_fma_f32 v[12:13], v[22:23], v[30:31], v[12:13] op_sel:[0,1,0]
	s_delay_alu instid0(VALU_DEP_3) | instskip(SKIP_1) | instid1(VALU_DEP_3)
	v_pk_fma_f32 v[10:11], v[22:23], v[34:35], v[10:11] op_sel:[0,1,0]
	v_mov_b32_e32 v22, v33
	v_pk_fma_f32 v[12:13], v[24:25], v[32:33], v[12:13] op_sel_hi:[1,0,1]
	s_delay_alu instid0(VALU_DEP_3) | instskip(NEXT) | instid1(VALU_DEP_2)
	v_pk_fma_f32 v[10:11], v[24:25], v[36:37], v[10:11] op_sel_hi:[1,0,1]
	v_pk_fma_f32 v[12:13], v[26:27], v[22:23], v[12:13] op_sel_hi:[1,0,1]
	s_delay_alu instid0(VALU_DEP_2)
	v_pk_fma_f32 v[10:11], v[26:27], v[28:29], v[10:11] op_sel_hi:[1,0,1]
	s_cbranch_vccnz .LBB321_5
.LBB321_6:                              ;   in Loop: Header=BB321_3 Depth=1
	s_mul_u64 s[16:17], s[22:23], s[2:3]
	s_and_not1_b32 vcc_lo, exec_lo, s1
	s_lshl_b64 s[16:17], s[16:17], 2
	s_delay_alu instid0(SALU_CYCLE_1) | instskip(NEXT) | instid1(SALU_CYCLE_1)
	s_add_nc_u64 s[16:17], s[10:11], s[16:17]
	v_lshl_add_u64 v[14:15], v[2:3], 2, s[16:17]
	s_delay_alu instid0(VALU_DEP_1)
	v_add_nc_u64_e32 v[16:17], v[14:15], v[6:7]
	v_lshl_add_u64 v[14:15], s[14:15], 2, v[14:15]
	s_cbranch_vccnz .LBB321_8
; %bb.7:                                ;   in Loop: Header=BB321_3 Depth=1
	s_delay_alu instid0(VALU_DEP_1)
	v_add_nc_u64_e32 v[22:23], v[14:15], v[6:7]
	v_dual_mul_f32 v24, s30, v13 :: v_dual_mul_f32 v25, s30, v12
	v_dual_mul_f32 v26, s30, v11 :: v_dual_mul_f32 v27, s30, v10
	s_clause 0x3
	global_store_b32 v[16:17], v24, off
	global_store_b32 v[16:17], v25, off offset:64
	global_store_b32 v[22:23], v26, off
	global_store_b32 v[22:23], v27, off offset:64
	s_cbranch_execnz .LBB321_2
	s_branch .LBB321_9
.LBB321_8:                              ;   in Loop: Header=BB321_3 Depth=1
.LBB321_9:                              ;   in Loop: Header=BB321_3 Depth=1
	s_mul_u64 s[16:17], s[8:9], s[2:3]
	s_wait_xcnt 0x0
	v_lshl_add_u64 v[22:23], s[16:17], 2, v[8:9]
	s_delay_alu instid0(VALU_DEP_1) | instskip(SKIP_1) | instid1(VALU_DEP_1)
	v_add_nc_u64_e32 v[24:25], v[22:23], v[6:7]
	v_lshl_add_u64 v[22:23], s[4:5], 2, v[22:23]
	v_add_nc_u64_e32 v[22:23], v[22:23], v[6:7]
	global_load_b32 v26, v[24:25], off
	s_wait_loadcnt 0x0
	v_mul_f32_e32 v26, s33, v26
	s_delay_alu instid0(VALU_DEP_1) | instskip(SKIP_4) | instid1(VALU_DEP_1)
	v_fmac_f32_e32 v26, s30, v13
	global_store_b32 v[16:17], v26, off
	global_load_b32 v13, v[24:25], off offset:64
	s_wait_loadcnt 0x0
	v_mul_f32_e32 v13, s33, v13
	v_fmac_f32_e32 v13, s30, v12
	global_store_b32 v[16:17], v13, off offset:64
	global_load_b32 v12, v[22:23], off
	s_wait_loadcnt 0x0
	s_wait_xcnt 0x1
	v_mul_f32_e32 v16, s33, v12
	v_add_nc_u64_e32 v[12:13], v[14:15], v[6:7]
	s_delay_alu instid0(VALU_DEP_2) | instskip(SKIP_4) | instid1(VALU_DEP_1)
	v_fmac_f32_e32 v16, s30, v11
	global_store_b32 v[12:13], v16, off
	global_load_b32 v11, v[22:23], off offset:64
	s_wait_loadcnt 0x0
	v_mul_f32_e32 v11, s33, v11
	v_fmac_f32_e32 v11, s30, v10
	global_store_b32 v[12:13], v11, off offset:64
	s_branch .LBB321_2
.LBB321_10:
	s_endpgm
	.section	.rodata,"a",@progbits
	.p2align	6, 0x0
	.amdhsa_kernel _ZN12_GLOBAL__N_127rocblas_gemm_batched_kernelIfLi16ELi16ELi32ELi32ELi8ELi32ELi8ELi8ELi32ELc67ELc78EKfS1_fEEvlllT_PT11_llS4_llS2_PT12_llPT13_lli
		.amdhsa_group_segment_fixed_size 2048
		.amdhsa_private_segment_fixed_size 0
		.amdhsa_kernarg_size 140
		.amdhsa_user_sgpr_count 2
		.amdhsa_user_sgpr_dispatch_ptr 0
		.amdhsa_user_sgpr_queue_ptr 0
		.amdhsa_user_sgpr_kernarg_segment_ptr 1
		.amdhsa_user_sgpr_dispatch_id 0
		.amdhsa_user_sgpr_kernarg_preload_length 0
		.amdhsa_user_sgpr_kernarg_preload_offset 0
		.amdhsa_user_sgpr_private_segment_size 0
		.amdhsa_wavefront_size32 1
		.amdhsa_uses_dynamic_stack 0
		.amdhsa_enable_private_segment 0
		.amdhsa_system_sgpr_workgroup_id_x 1
		.amdhsa_system_sgpr_workgroup_id_y 1
		.amdhsa_system_sgpr_workgroup_id_z 1
		.amdhsa_system_sgpr_workgroup_info 0
		.amdhsa_system_vgpr_workitem_id 1
		.amdhsa_next_free_vgpr 56
		.amdhsa_next_free_sgpr 38
		.amdhsa_named_barrier_count 0
		.amdhsa_reserve_vcc 1
		.amdhsa_float_round_mode_32 0
		.amdhsa_float_round_mode_16_64 0
		.amdhsa_float_denorm_mode_32 3
		.amdhsa_float_denorm_mode_16_64 3
		.amdhsa_fp16_overflow 0
		.amdhsa_memory_ordered 1
		.amdhsa_forward_progress 1
		.amdhsa_inst_pref_size 11
		.amdhsa_round_robin_scheduling 0
		.amdhsa_exception_fp_ieee_invalid_op 0
		.amdhsa_exception_fp_denorm_src 0
		.amdhsa_exception_fp_ieee_div_zero 0
		.amdhsa_exception_fp_ieee_overflow 0
		.amdhsa_exception_fp_ieee_underflow 0
		.amdhsa_exception_fp_ieee_inexact 0
		.amdhsa_exception_int_div_zero 0
	.end_amdhsa_kernel
	.section	.text._ZN12_GLOBAL__N_127rocblas_gemm_batched_kernelIfLi16ELi16ELi32ELi32ELi8ELi32ELi8ELi8ELi32ELc67ELc78EKfS1_fEEvlllT_PT11_llS4_llS2_PT12_llPT13_lli,"axG",@progbits,_ZN12_GLOBAL__N_127rocblas_gemm_batched_kernelIfLi16ELi16ELi32ELi32ELi8ELi32ELi8ELi8ELi32ELc67ELc78EKfS1_fEEvlllT_PT11_llS4_llS2_PT12_llPT13_lli,comdat
.Lfunc_end321:
	.size	_ZN12_GLOBAL__N_127rocblas_gemm_batched_kernelIfLi16ELi16ELi32ELi32ELi8ELi32ELi8ELi8ELi32ELc67ELc78EKfS1_fEEvlllT_PT11_llS4_llS2_PT12_llPT13_lli, .Lfunc_end321-_ZN12_GLOBAL__N_127rocblas_gemm_batched_kernelIfLi16ELi16ELi32ELi32ELi8ELi32ELi8ELi8ELi32ELc67ELc78EKfS1_fEEvlllT_PT11_llS4_llS2_PT12_llPT13_lli
                                        ; -- End function
	.set _ZN12_GLOBAL__N_127rocblas_gemm_batched_kernelIfLi16ELi16ELi32ELi32ELi8ELi32ELi8ELi8ELi32ELc67ELc78EKfS1_fEEvlllT_PT11_llS4_llS2_PT12_llPT13_lli.num_vgpr, 56
	.set _ZN12_GLOBAL__N_127rocblas_gemm_batched_kernelIfLi16ELi16ELi32ELi32ELi8ELi32ELi8ELi8ELi32ELc67ELc78EKfS1_fEEvlllT_PT11_llS4_llS2_PT12_llPT13_lli.num_agpr, 0
	.set _ZN12_GLOBAL__N_127rocblas_gemm_batched_kernelIfLi16ELi16ELi32ELi32ELi8ELi32ELi8ELi8ELi32ELc67ELc78EKfS1_fEEvlllT_PT11_llS4_llS2_PT12_llPT13_lli.numbered_sgpr, 38
	.set _ZN12_GLOBAL__N_127rocblas_gemm_batched_kernelIfLi16ELi16ELi32ELi32ELi8ELi32ELi8ELi8ELi32ELc67ELc78EKfS1_fEEvlllT_PT11_llS4_llS2_PT12_llPT13_lli.num_named_barrier, 0
	.set _ZN12_GLOBAL__N_127rocblas_gemm_batched_kernelIfLi16ELi16ELi32ELi32ELi8ELi32ELi8ELi8ELi32ELc67ELc78EKfS1_fEEvlllT_PT11_llS4_llS2_PT12_llPT13_lli.private_seg_size, 0
	.set _ZN12_GLOBAL__N_127rocblas_gemm_batched_kernelIfLi16ELi16ELi32ELi32ELi8ELi32ELi8ELi8ELi32ELc67ELc78EKfS1_fEEvlllT_PT11_llS4_llS2_PT12_llPT13_lli.uses_vcc, 1
	.set _ZN12_GLOBAL__N_127rocblas_gemm_batched_kernelIfLi16ELi16ELi32ELi32ELi8ELi32ELi8ELi8ELi32ELc67ELc78EKfS1_fEEvlllT_PT11_llS4_llS2_PT12_llPT13_lli.uses_flat_scratch, 0
	.set _ZN12_GLOBAL__N_127rocblas_gemm_batched_kernelIfLi16ELi16ELi32ELi32ELi8ELi32ELi8ELi8ELi32ELc67ELc78EKfS1_fEEvlllT_PT11_llS4_llS2_PT12_llPT13_lli.has_dyn_sized_stack, 0
	.set _ZN12_GLOBAL__N_127rocblas_gemm_batched_kernelIfLi16ELi16ELi32ELi32ELi8ELi32ELi8ELi8ELi32ELc67ELc78EKfS1_fEEvlllT_PT11_llS4_llS2_PT12_llPT13_lli.has_recursion, 0
	.set _ZN12_GLOBAL__N_127rocblas_gemm_batched_kernelIfLi16ELi16ELi32ELi32ELi8ELi32ELi8ELi8ELi32ELc67ELc78EKfS1_fEEvlllT_PT11_llS4_llS2_PT12_llPT13_lli.has_indirect_call, 0
	.section	.AMDGPU.csdata,"",@progbits
; Kernel info:
; codeLenInByte = 1368
; TotalNumSgprs: 40
; NumVgprs: 56
; ScratchSize: 0
; MemoryBound: 0
; FloatMode: 240
; IeeeMode: 1
; LDSByteSize: 2048 bytes/workgroup (compile time only)
; SGPRBlocks: 0
; VGPRBlocks: 3
; NumSGPRsForWavesPerEU: 40
; NumVGPRsForWavesPerEU: 56
; NamedBarCnt: 0
; Occupancy: 16
; WaveLimiterHint : 0
; COMPUTE_PGM_RSRC2:SCRATCH_EN: 0
; COMPUTE_PGM_RSRC2:USER_SGPR: 2
; COMPUTE_PGM_RSRC2:TRAP_HANDLER: 0
; COMPUTE_PGM_RSRC2:TGID_X_EN: 1
; COMPUTE_PGM_RSRC2:TGID_Y_EN: 1
; COMPUTE_PGM_RSRC2:TGID_Z_EN: 1
; COMPUTE_PGM_RSRC2:TIDIG_COMP_CNT: 1
	.section	.text._ZN12_GLOBAL__N_127rocblas_gemm_batched_kernelIfLi16ELi16ELi32ELi32ELi8ELi32ELi8ELi8ELi32ELc67ELc84EKfS1_fEEvlllT_PT11_llS4_llS2_PT12_llPT13_lli,"axG",@progbits,_ZN12_GLOBAL__N_127rocblas_gemm_batched_kernelIfLi16ELi16ELi32ELi32ELi8ELi32ELi8ELi8ELi32ELc67ELc84EKfS1_fEEvlllT_PT11_llS4_llS2_PT12_llPT13_lli,comdat
	.globl	_ZN12_GLOBAL__N_127rocblas_gemm_batched_kernelIfLi16ELi16ELi32ELi32ELi8ELi32ELi8ELi8ELi32ELc67ELc84EKfS1_fEEvlllT_PT11_llS4_llS2_PT12_llPT13_lli ; -- Begin function _ZN12_GLOBAL__N_127rocblas_gemm_batched_kernelIfLi16ELi16ELi32ELi32ELi8ELi32ELi8ELi8ELi32ELc67ELc84EKfS1_fEEvlllT_PT11_llS4_llS2_PT12_llPT13_lli
	.p2align	8
	.type	_ZN12_GLOBAL__N_127rocblas_gemm_batched_kernelIfLi16ELi16ELi32ELi32ELi8ELi32ELi8ELi8ELi32ELc67ELc84EKfS1_fEEvlllT_PT11_llS4_llS2_PT12_llPT13_lli,@function
_ZN12_GLOBAL__N_127rocblas_gemm_batched_kernelIfLi16ELi16ELi32ELi32ELi8ELi32ELi8ELi8ELi32ELc67ELc84EKfS1_fEEvlllT_PT11_llS4_llS2_PT12_llPT13_lli: ; @_ZN12_GLOBAL__N_127rocblas_gemm_batched_kernelIfLi16ELi16ELi32ELi32ELi8ELi32ELi8ELi8ELi32ELc67ELc84EKfS1_fEEvlllT_PT11_llS4_llS2_PT12_llPT13_lli
; %bb.0:
	s_load_b32 s31, s[0:1], 0x88
	s_bfe_u32 s2, ttmp6, 0x40014
	s_lshr_b32 s3, ttmp7, 16
	s_add_co_i32 s2, s2, 1
	s_bfe_u32 s4, ttmp6, 0x40008
	s_mul_i32 s2, s3, s2
	s_getreg_b32 s28, hwreg(HW_REG_IB_STS2, 6, 4)
	s_add_co_i32 s4, s4, s2
	s_cmp_eq_u32 s28, 0
	s_cselect_b32 s2, s3, s4
	s_mov_b32 s3, 0
	s_wait_kmcnt 0x0
	s_cmp_ge_i32 s2, s31
	s_cbranch_scc1 .LBB322_10
; %bb.1:
	v_bfe_u32 v2, v0, 10, 10
	v_and_b32_e32 v4, 0x3ff, v0
	s_bfe_u32 s29, ttmp6, 0x4000c
	s_bfe_u32 s33, ttmp6, 0x40010
	s_add_co_i32 s29, s29, 1
	s_and_b32 s34, ttmp7, 0xffff
	s_add_co_i32 s33, s33, 1
	s_clause 0x3
	s_load_b256 s[12:19], s[0:1], 0x20
	s_load_b128 s[24:27], s[0:1], 0x40
	s_load_b128 s[20:23], s[0:1], 0x78
	s_load_b256 s[4:11], s[0:1], 0x58
	s_and_b32 s30, ttmp6, 15
	s_mul_i32 s29, ttmp9, s29
	s_mul_i32 s33, s34, s33
	s_bfe_u32 s35, ttmp6, 0x40004
	v_lshl_add_u32 v5, v2, 4, v4
	s_add_co_i32 s30, s30, s29
	s_add_co_i32 s35, s35, s33
	s_cmp_eq_u32 s28, 0
	s_delay_alu instid0(VALU_DEP_1)
	v_dual_mov_b32 v3, 0 :: v_dual_bitop2_b32 v16, 31, v5 bitop3:0x40
	s_cselect_b32 s28, ttmp9, s30
	s_cselect_b32 s30, s34, s35
	s_ashr_i32 s29, s28, 31
	s_lshl_b32 s36, s30, 5
	s_lshl_b64 s[34:35], s[28:29], 5
	s_mov_b32 s37, s3
	v_dual_mov_b32 v7, s35 :: v_dual_bitop2_b32 v6, s34, v16 bitop3:0x54
	v_add_nc_u64_e32 v[8:9], s[36:37], v[2:3]
	v_dual_lshrrev_b32 v10, 3, v5 :: v_dual_bitop2_b32 v17, 7, v0 bitop3:0x40
	v_mov_b32_e32 v11, v3
	s_wait_kmcnt 0x0
	v_mul_u64_e32 v[6:7], s[14:15], v[6:7]
	s_clause 0x1
	s_load_b32 s33, s[0:1], 0x50
	s_load_b96 s[28:30], s[0:1], 0x10
	v_mul_u64_e32 v[12:13], s[6:7], v[8:9]
	v_mul_u64_e32 v[0:1], s[20:21], v[8:9]
	v_lshrrev_b32_e32 v8, 5, v5
	v_mad_nc_u64_u32 v[14:15], s24, v17, v[10:11]
	v_dual_lshlrev_b32 v11, 2, v17 :: v_dual_lshlrev_b32 v9, 2, v16
	v_dual_mov_b32 v5, v3 :: v_dual_lshlrev_b32 v20, 2, v4
	v_lshl_add_u32 v21, v2, 5, 0x400
	s_delay_alu instid0(VALU_DEP_3)
	v_lshl_or_b32 v10, v10, 5, v11
	v_lshlrev_b32_e32 v2, 2, v8
	v_lshl_or_b32 v18, v8, 7, v9
	v_add_nc_u64_e32 v[8:9], s[34:35], v[4:5]
	v_mad_u32 v15, s25, v17, v15
	v_add_nc_u32_e32 v19, 0x400, v10
	s_wait_kmcnt 0x0
	s_cmp_eq_f32 s33, 0
	v_cmp_gt_i64_e64 s0, s[28:29], 0
	s_cselect_b32 s1, -1, 0
	s_lshl_b64 s[14:15], s[20:21], 4
	s_lshl_b64 s[6:7], s[6:7], 4
	v_add_nc_u64_e32 v[10:11], s[36:37], v[14:15]
	v_cndmask_b32_e64 v14, 0, 1, s0
	s_lshl_b64 s[16:17], s[16:17], 2
	v_lshl_add_u64 v[4:5], v[6:7], 2, v[2:3]
	v_lshlrev_b64_e32 v[6:7], 2, v[8:9]
	s_delay_alu instid0(VALU_DEP_3)
	v_cmp_ne_u32_e64 s0, 1, v14
	v_lshl_add_u64 v[2:3], v[12:13], 2, s[4:5]
	v_lshl_add_u64 v[8:9], v[10:11], 2, s[18:19]
	v_add_nc_u64_e32 v[4:5], s[12:13], v[4:5]
	s_lshl_b64 s[4:5], s[26:27], 2
	s_lshl_b64 s[12:13], s[24:25], 5
	s_branch .LBB322_3
.LBB322_2:                              ;   in Loop: Header=BB322_3 Depth=1
	s_add_co_i32 s2, s2, 0x10000
	s_delay_alu instid0(SALU_CYCLE_1)
	s_cmp_lt_i32 s2, s31
	s_cbranch_scc0 .LBB322_10
.LBB322_3:                              ; =>This Loop Header: Depth=1
                                        ;     Child Loop BB322_5 Depth 2
	s_wait_xcnt 0x0
	v_dual_mov_b32 v13, 0 :: v_dual_mov_b32 v12, 0
	v_dual_mov_b32 v11, 0 :: v_dual_mov_b32 v10, 0
	s_and_b32 vcc_lo, exec_lo, s0
	s_cbranch_vccnz .LBB322_6
; %bb.4:                                ;   in Loop: Header=BB322_3 Depth=1
	v_mad_nc_u64_u32 v[14:15], s4, s2, v[8:9]
	v_mad_nc_u64_u32 v[16:17], s16, s2, v[4:5]
	v_mov_b32_e32 v10, 0
	s_mov_b64 s[18:19], 0
	s_delay_alu instid0(VALU_DEP_1)
	v_dual_mov_b32 v11, v10 :: v_dual_mov_b32 v12, v10
	v_mov_b32_e32 v13, v10
	v_mad_u32 v15, s5, s2, v15
	v_mad_u32 v17, s17, s2, v17
.LBB322_5:                              ;   Parent Loop BB322_3 Depth=1
                                        ; =>  This Inner Loop Header: Depth=2
	global_load_b32 v22, v[16:17], off
	global_load_b32 v23, v[14:15], off
	s_add_nc_u64 s[18:19], s[18:19], 8
	s_wait_xcnt 0x0
	v_add_nc_u64_e32 v[14:15], s[12:13], v[14:15]
	v_cmp_lt_i64_e64 s20, s[18:19], s[28:29]
	v_add_nc_u64_e32 v[16:17], 32, v[16:17]
	s_wait_loadcnt 0x1
	ds_store_b32 v18, v22
	s_wait_loadcnt 0x0
	ds_store_b32 v19, v23
	s_wait_dscnt 0x0
	s_barrier_signal -1
	s_barrier_wait -1
	ds_load_2addr_b32 v[38:39], v20 offset1:16
	ds_load_2addr_b32 v[40:41], v20 offset0:32 offset1:48
	ds_load_b128 v[22:25], v21
	ds_load_2addr_b32 v[42:43], v20 offset0:64 offset1:80
	ds_load_b128 v[26:29], v21 offset:512
	ds_load_2addr_b32 v[44:45], v20 offset0:96 offset1:112
	ds_load_b128 v[30:33], v21 offset:16
	ds_load_2addr_b32 v[46:47], v20 offset0:128 offset1:144
	ds_load_b128 v[34:37], v21 offset:528
	ds_load_2addr_b32 v[48:49], v20 offset0:160 offset1:176
	ds_load_2addr_b32 v[50:51], v20 offset0:192 offset1:208
	;; [unrolled: 1-line block ×3, first 2 shown]
	s_and_b32 vcc_lo, exec_lo, s20
	s_wait_dscnt 0x0
	s_barrier_signal -1
	s_barrier_wait -1
	v_dual_mov_b32 v54, v39 :: v_dual_mov_b32 v55, v38
	v_dual_mov_b32 v38, v41 :: v_dual_mov_b32 v39, v40
	;; [unrolled: 1-line block ×3, first 2 shown]
	s_delay_alu instid0(VALU_DEP_3) | instskip(SKIP_3) | instid1(VALU_DEP_4)
	v_pk_fma_f32 v[12:13], v[54:55], v[22:23], v[12:13] op_sel_hi:[1,0,1]
	v_pk_fma_f32 v[10:11], v[54:55], v[26:27], v[10:11] op_sel_hi:[1,0,1]
	v_dual_mov_b32 v42, v45 :: v_dual_mov_b32 v43, v44
	v_mov_b32_e32 v44, v25
	v_pk_fma_f32 v[12:13], v[38:39], v[22:23], v[12:13] op_sel:[0,1,0]
	s_delay_alu instid0(VALU_DEP_4) | instskip(SKIP_2) | instid1(VALU_DEP_4)
	v_pk_fma_f32 v[10:11], v[38:39], v[26:27], v[10:11] op_sel:[0,1,0]
	v_dual_mov_b32 v22, v29 :: v_dual_mov_b32 v26, v53
	v_mov_b32_e32 v27, v52
	v_pk_fma_f32 v[12:13], v[40:41], v[24:25], v[12:13] op_sel_hi:[1,0,1]
	s_delay_alu instid0(VALU_DEP_4) | instskip(SKIP_2) | instid1(VALU_DEP_4)
	v_pk_fma_f32 v[10:11], v[40:41], v[28:29], v[10:11] op_sel_hi:[1,0,1]
	v_dual_mov_b32 v24, v47 :: v_dual_mov_b32 v25, v46
	v_mov_b32_e32 v28, v37
	v_pk_fma_f32 v[12:13], v[42:43], v[44:45], v[12:13] op_sel_hi:[1,0,1]
	s_delay_alu instid0(VALU_DEP_4) | instskip(SKIP_1) | instid1(VALU_DEP_3)
	v_pk_fma_f32 v[10:11], v[42:43], v[22:23], v[10:11] op_sel_hi:[1,0,1]
	v_dual_mov_b32 v22, v49 :: v_dual_mov_b32 v23, v48
	v_pk_fma_f32 v[12:13], v[24:25], v[30:31], v[12:13] op_sel_hi:[1,0,1]
	s_delay_alu instid0(VALU_DEP_3) | instskip(SKIP_1) | instid1(VALU_DEP_3)
	v_pk_fma_f32 v[10:11], v[24:25], v[34:35], v[10:11] op_sel_hi:[1,0,1]
	v_dual_mov_b32 v24, v51 :: v_dual_mov_b32 v25, v50
	v_pk_fma_f32 v[12:13], v[22:23], v[30:31], v[12:13] op_sel:[0,1,0]
	s_delay_alu instid0(VALU_DEP_3) | instskip(SKIP_1) | instid1(VALU_DEP_3)
	v_pk_fma_f32 v[10:11], v[22:23], v[34:35], v[10:11] op_sel:[0,1,0]
	v_mov_b32_e32 v22, v33
	v_pk_fma_f32 v[12:13], v[24:25], v[32:33], v[12:13] op_sel_hi:[1,0,1]
	s_delay_alu instid0(VALU_DEP_3) | instskip(NEXT) | instid1(VALU_DEP_2)
	v_pk_fma_f32 v[10:11], v[24:25], v[36:37], v[10:11] op_sel_hi:[1,0,1]
	v_pk_fma_f32 v[12:13], v[26:27], v[22:23], v[12:13] op_sel_hi:[1,0,1]
	s_delay_alu instid0(VALU_DEP_2)
	v_pk_fma_f32 v[10:11], v[26:27], v[28:29], v[10:11] op_sel_hi:[1,0,1]
	s_cbranch_vccnz .LBB322_5
.LBB322_6:                              ;   in Loop: Header=BB322_3 Depth=1
	s_mul_u64 s[18:19], s[22:23], s[2:3]
	s_and_not1_b32 vcc_lo, exec_lo, s1
	s_lshl_b64 s[18:19], s[18:19], 2
	s_delay_alu instid0(SALU_CYCLE_1) | instskip(NEXT) | instid1(SALU_CYCLE_1)
	s_add_nc_u64 s[18:19], s[10:11], s[18:19]
	v_lshl_add_u64 v[14:15], v[0:1], 2, s[18:19]
	s_delay_alu instid0(VALU_DEP_1)
	v_add_nc_u64_e32 v[16:17], v[14:15], v[6:7]
	v_lshl_add_u64 v[14:15], s[14:15], 2, v[14:15]
	s_cbranch_vccnz .LBB322_8
; %bb.7:                                ;   in Loop: Header=BB322_3 Depth=1
	s_delay_alu instid0(VALU_DEP_1)
	v_add_nc_u64_e32 v[22:23], v[14:15], v[6:7]
	v_dual_mul_f32 v24, s30, v13 :: v_dual_mul_f32 v25, s30, v12
	v_dual_mul_f32 v26, s30, v11 :: v_dual_mul_f32 v27, s30, v10
	s_clause 0x3
	global_store_b32 v[16:17], v24, off
	global_store_b32 v[16:17], v25, off offset:64
	global_store_b32 v[22:23], v26, off
	global_store_b32 v[22:23], v27, off offset:64
	s_cbranch_execnz .LBB322_2
	s_branch .LBB322_9
.LBB322_8:                              ;   in Loop: Header=BB322_3 Depth=1
.LBB322_9:                              ;   in Loop: Header=BB322_3 Depth=1
	s_mul_u64 s[18:19], s[8:9], s[2:3]
	s_wait_xcnt 0x0
	v_lshl_add_u64 v[22:23], s[18:19], 2, v[2:3]
	s_delay_alu instid0(VALU_DEP_1) | instskip(SKIP_1) | instid1(VALU_DEP_1)
	v_add_nc_u64_e32 v[24:25], v[22:23], v[6:7]
	v_lshl_add_u64 v[22:23], s[6:7], 2, v[22:23]
	v_add_nc_u64_e32 v[22:23], v[22:23], v[6:7]
	global_load_b32 v26, v[24:25], off
	s_wait_loadcnt 0x0
	v_mul_f32_e32 v26, s33, v26
	s_delay_alu instid0(VALU_DEP_1) | instskip(SKIP_4) | instid1(VALU_DEP_1)
	v_fmac_f32_e32 v26, s30, v13
	global_store_b32 v[16:17], v26, off
	global_load_b32 v13, v[24:25], off offset:64
	s_wait_loadcnt 0x0
	v_mul_f32_e32 v13, s33, v13
	v_fmac_f32_e32 v13, s30, v12
	global_store_b32 v[16:17], v13, off offset:64
	global_load_b32 v12, v[22:23], off
	s_wait_loadcnt 0x0
	s_wait_xcnt 0x1
	v_mul_f32_e32 v16, s33, v12
	v_add_nc_u64_e32 v[12:13], v[14:15], v[6:7]
	s_delay_alu instid0(VALU_DEP_2) | instskip(SKIP_4) | instid1(VALU_DEP_1)
	v_fmac_f32_e32 v16, s30, v11
	global_store_b32 v[12:13], v16, off
	global_load_b32 v11, v[22:23], off offset:64
	s_wait_loadcnt 0x0
	v_mul_f32_e32 v11, s33, v11
	v_fmac_f32_e32 v11, s30, v10
	global_store_b32 v[12:13], v11, off offset:64
	s_branch .LBB322_2
.LBB322_10:
	s_endpgm
	.section	.rodata,"a",@progbits
	.p2align	6, 0x0
	.amdhsa_kernel _ZN12_GLOBAL__N_127rocblas_gemm_batched_kernelIfLi16ELi16ELi32ELi32ELi8ELi32ELi8ELi8ELi32ELc67ELc84EKfS1_fEEvlllT_PT11_llS4_llS2_PT12_llPT13_lli
		.amdhsa_group_segment_fixed_size 2048
		.amdhsa_private_segment_fixed_size 0
		.amdhsa_kernarg_size 140
		.amdhsa_user_sgpr_count 2
		.amdhsa_user_sgpr_dispatch_ptr 0
		.amdhsa_user_sgpr_queue_ptr 0
		.amdhsa_user_sgpr_kernarg_segment_ptr 1
		.amdhsa_user_sgpr_dispatch_id 0
		.amdhsa_user_sgpr_kernarg_preload_length 0
		.amdhsa_user_sgpr_kernarg_preload_offset 0
		.amdhsa_user_sgpr_private_segment_size 0
		.amdhsa_wavefront_size32 1
		.amdhsa_uses_dynamic_stack 0
		.amdhsa_enable_private_segment 0
		.amdhsa_system_sgpr_workgroup_id_x 1
		.amdhsa_system_sgpr_workgroup_id_y 1
		.amdhsa_system_sgpr_workgroup_id_z 1
		.amdhsa_system_sgpr_workgroup_info 0
		.amdhsa_system_vgpr_workitem_id 1
		.amdhsa_next_free_vgpr 56
		.amdhsa_next_free_sgpr 38
		.amdhsa_named_barrier_count 0
		.amdhsa_reserve_vcc 1
		.amdhsa_float_round_mode_32 0
		.amdhsa_float_round_mode_16_64 0
		.amdhsa_float_denorm_mode_32 3
		.amdhsa_float_denorm_mode_16_64 3
		.amdhsa_fp16_overflow 0
		.amdhsa_memory_ordered 1
		.amdhsa_forward_progress 1
		.amdhsa_inst_pref_size 11
		.amdhsa_round_robin_scheduling 0
		.amdhsa_exception_fp_ieee_invalid_op 0
		.amdhsa_exception_fp_denorm_src 0
		.amdhsa_exception_fp_ieee_div_zero 0
		.amdhsa_exception_fp_ieee_overflow 0
		.amdhsa_exception_fp_ieee_underflow 0
		.amdhsa_exception_fp_ieee_inexact 0
		.amdhsa_exception_int_div_zero 0
	.end_amdhsa_kernel
	.section	.text._ZN12_GLOBAL__N_127rocblas_gemm_batched_kernelIfLi16ELi16ELi32ELi32ELi8ELi32ELi8ELi8ELi32ELc67ELc84EKfS1_fEEvlllT_PT11_llS4_llS2_PT12_llPT13_lli,"axG",@progbits,_ZN12_GLOBAL__N_127rocblas_gemm_batched_kernelIfLi16ELi16ELi32ELi32ELi8ELi32ELi8ELi8ELi32ELc67ELc84EKfS1_fEEvlllT_PT11_llS4_llS2_PT12_llPT13_lli,comdat
.Lfunc_end322:
	.size	_ZN12_GLOBAL__N_127rocblas_gemm_batched_kernelIfLi16ELi16ELi32ELi32ELi8ELi32ELi8ELi8ELi32ELc67ELc84EKfS1_fEEvlllT_PT11_llS4_llS2_PT12_llPT13_lli, .Lfunc_end322-_ZN12_GLOBAL__N_127rocblas_gemm_batched_kernelIfLi16ELi16ELi32ELi32ELi8ELi32ELi8ELi8ELi32ELc67ELc84EKfS1_fEEvlllT_PT11_llS4_llS2_PT12_llPT13_lli
                                        ; -- End function
	.set _ZN12_GLOBAL__N_127rocblas_gemm_batched_kernelIfLi16ELi16ELi32ELi32ELi8ELi32ELi8ELi8ELi32ELc67ELc84EKfS1_fEEvlllT_PT11_llS4_llS2_PT12_llPT13_lli.num_vgpr, 56
	.set _ZN12_GLOBAL__N_127rocblas_gemm_batched_kernelIfLi16ELi16ELi32ELi32ELi8ELi32ELi8ELi8ELi32ELc67ELc84EKfS1_fEEvlllT_PT11_llS4_llS2_PT12_llPT13_lli.num_agpr, 0
	.set _ZN12_GLOBAL__N_127rocblas_gemm_batched_kernelIfLi16ELi16ELi32ELi32ELi8ELi32ELi8ELi8ELi32ELc67ELc84EKfS1_fEEvlllT_PT11_llS4_llS2_PT12_llPT13_lli.numbered_sgpr, 38
	.set _ZN12_GLOBAL__N_127rocblas_gemm_batched_kernelIfLi16ELi16ELi32ELi32ELi8ELi32ELi8ELi8ELi32ELc67ELc84EKfS1_fEEvlllT_PT11_llS4_llS2_PT12_llPT13_lli.num_named_barrier, 0
	.set _ZN12_GLOBAL__N_127rocblas_gemm_batched_kernelIfLi16ELi16ELi32ELi32ELi8ELi32ELi8ELi8ELi32ELc67ELc84EKfS1_fEEvlllT_PT11_llS4_llS2_PT12_llPT13_lli.private_seg_size, 0
	.set _ZN12_GLOBAL__N_127rocblas_gemm_batched_kernelIfLi16ELi16ELi32ELi32ELi8ELi32ELi8ELi8ELi32ELc67ELc84EKfS1_fEEvlllT_PT11_llS4_llS2_PT12_llPT13_lli.uses_vcc, 1
	.set _ZN12_GLOBAL__N_127rocblas_gemm_batched_kernelIfLi16ELi16ELi32ELi32ELi8ELi32ELi8ELi8ELi32ELc67ELc84EKfS1_fEEvlllT_PT11_llS4_llS2_PT12_llPT13_lli.uses_flat_scratch, 0
	.set _ZN12_GLOBAL__N_127rocblas_gemm_batched_kernelIfLi16ELi16ELi32ELi32ELi8ELi32ELi8ELi8ELi32ELc67ELc84EKfS1_fEEvlllT_PT11_llS4_llS2_PT12_llPT13_lli.has_dyn_sized_stack, 0
	.set _ZN12_GLOBAL__N_127rocblas_gemm_batched_kernelIfLi16ELi16ELi32ELi32ELi8ELi32ELi8ELi8ELi32ELc67ELc84EKfS1_fEEvlllT_PT11_llS4_llS2_PT12_llPT13_lli.has_recursion, 0
	.set _ZN12_GLOBAL__N_127rocblas_gemm_batched_kernelIfLi16ELi16ELi32ELi32ELi8ELi32ELi8ELi8ELi32ELc67ELc84EKfS1_fEEvlllT_PT11_llS4_llS2_PT12_llPT13_lli.has_indirect_call, 0
	.section	.AMDGPU.csdata,"",@progbits
; Kernel info:
; codeLenInByte = 1372
; TotalNumSgprs: 40
; NumVgprs: 56
; ScratchSize: 0
; MemoryBound: 0
; FloatMode: 240
; IeeeMode: 1
; LDSByteSize: 2048 bytes/workgroup (compile time only)
; SGPRBlocks: 0
; VGPRBlocks: 3
; NumSGPRsForWavesPerEU: 40
; NumVGPRsForWavesPerEU: 56
; NamedBarCnt: 0
; Occupancy: 16
; WaveLimiterHint : 0
; COMPUTE_PGM_RSRC2:SCRATCH_EN: 0
; COMPUTE_PGM_RSRC2:USER_SGPR: 2
; COMPUTE_PGM_RSRC2:TRAP_HANDLER: 0
; COMPUTE_PGM_RSRC2:TGID_X_EN: 1
; COMPUTE_PGM_RSRC2:TGID_Y_EN: 1
; COMPUTE_PGM_RSRC2:TGID_Z_EN: 1
; COMPUTE_PGM_RSRC2:TIDIG_COMP_CNT: 1
	.section	.text._ZN12_GLOBAL__N_127rocblas_gemm_batched_kernelIfLi16ELi16ELi32ELi32ELi8ELi32ELi8ELi8ELi32ELc78ELc67EKfS1_fEEvlllT_PT11_llS4_llS2_PT12_llPT13_lli,"axG",@progbits,_ZN12_GLOBAL__N_127rocblas_gemm_batched_kernelIfLi16ELi16ELi32ELi32ELi8ELi32ELi8ELi8ELi32ELc78ELc67EKfS1_fEEvlllT_PT11_llS4_llS2_PT12_llPT13_lli,comdat
	.globl	_ZN12_GLOBAL__N_127rocblas_gemm_batched_kernelIfLi16ELi16ELi32ELi32ELi8ELi32ELi8ELi8ELi32ELc78ELc67EKfS1_fEEvlllT_PT11_llS4_llS2_PT12_llPT13_lli ; -- Begin function _ZN12_GLOBAL__N_127rocblas_gemm_batched_kernelIfLi16ELi16ELi32ELi32ELi8ELi32ELi8ELi8ELi32ELc78ELc67EKfS1_fEEvlllT_PT11_llS4_llS2_PT12_llPT13_lli
	.p2align	8
	.type	_ZN12_GLOBAL__N_127rocblas_gemm_batched_kernelIfLi16ELi16ELi32ELi32ELi8ELi32ELi8ELi8ELi32ELc78ELc67EKfS1_fEEvlllT_PT11_llS4_llS2_PT12_llPT13_lli,@function
_ZN12_GLOBAL__N_127rocblas_gemm_batched_kernelIfLi16ELi16ELi32ELi32ELi8ELi32ELi8ELi8ELi32ELc78ELc67EKfS1_fEEvlllT_PT11_llS4_llS2_PT12_llPT13_lli: ; @_ZN12_GLOBAL__N_127rocblas_gemm_batched_kernelIfLi16ELi16ELi32ELi32ELi8ELi32ELi8ELi8ELi32ELc78ELc67EKfS1_fEEvlllT_PT11_llS4_llS2_PT12_llPT13_lli
; %bb.0:
	s_load_b32 s31, s[0:1], 0x88
	s_bfe_u32 s2, ttmp6, 0x40014
	s_lshr_b32 s3, ttmp7, 16
	s_add_co_i32 s2, s2, 1
	s_bfe_u32 s4, ttmp6, 0x40008
	s_mul_i32 s2, s3, s2
	s_getreg_b32 s20, hwreg(HW_REG_IB_STS2, 6, 4)
	s_add_co_i32 s4, s4, s2
	s_cmp_eq_u32 s20, 0
	s_cselect_b32 s2, s3, s4
	s_mov_b32 s3, 0
	s_wait_kmcnt 0x0
	s_cmp_ge_i32 s2, s31
	s_cbranch_scc1 .LBB323_10
; %bb.1:
	s_bfe_u32 s21, ttmp6, 0x4000c
	s_bfe_u32 s23, ttmp6, 0x40010
	s_clause 0x2
	s_load_b256 s[12:19], s[0:1], 0x20
	s_load_b128 s[24:27], s[0:1], 0x40
	s_load_b256 s[4:11], s[0:1], 0x58
	s_add_co_i32 s21, s21, 1
	s_and_b32 s28, ttmp7, 0xffff
	s_add_co_i32 s23, s23, 1
	s_and_b32 s22, ttmp6, 15
	s_mul_i32 s21, ttmp9, s21
	s_mul_i32 s23, s28, s23
	s_bfe_u32 s29, ttmp6, 0x40004
	s_add_co_i32 s22, s22, s21
	s_add_co_i32 s29, s29, s23
	s_cmp_eq_u32 s20, 0
	v_bfe_u32 v2, v0, 10, 10
	v_dual_mov_b32 v3, 0 :: v_dual_bitop2_b32 v17, 7, v0 bitop3:0x40
	s_cselect_b32 s20, s28, s29
	s_cselect_b32 s28, ttmp9, s22
	s_lshl_b32 s34, s20, 5
	s_load_b128 s[20:23], s[0:1], 0x78
	s_mov_b32 s35, s3
	v_and_b32_e32 v4, 0x3ff, v0
	v_add_nc_u64_e32 v[6:7], s[34:35], v[2:3]
	v_mov_b32_e32 v9, v3
	s_ashr_i32 s29, s28, 31
	s_load_b32 s33, s[0:1], 0x50
	v_lshl_add_u32 v1, v2, 4, v4
	s_lshl_b64 s[36:37], s[28:29], 5
	s_load_b96 s[28:30], s[0:1], 0x10
	s_wait_kmcnt 0x0
	v_mul_u64_e32 v[10:11], s[6:7], v[6:7]
	v_dual_lshlrev_b32 v20, 2, v4 :: v_dual_lshrrev_b32 v8, 3, v1
	v_dual_lshrrev_b32 v18, 5, v1 :: v_dual_bitop2_b32 v16, 31, v1 bitop3:0x40
	v_mov_b32_e32 v5, v3
	v_lshl_add_u32 v21, v2, 5, 0x400
	s_delay_alu instid0(VALU_DEP_4) | instskip(NEXT) | instid1(VALU_DEP_4)
	v_mad_nc_u64_u32 v[12:13], s24, v17, v[8:9]
	v_mad_nc_u64_u32 v[14:15], s14, v18, s[36:37]
	v_mul_u64_e32 v[0:1], s[20:21], v[6:7]
	v_dual_lshlrev_b32 v6, 2, v17 :: v_dual_lshlrev_b32 v7, 2, v16
	s_delay_alu instid0(VALU_DEP_1)
	v_lshl_or_b32 v6, v8, 5, v6
	s_cmp_eq_f32 s33, 0
	v_mad_u32 v13, s25, v17, v13
	v_mad_u32 v15, s15, v18, v15
	v_mov_b32_e32 v17, v3
	v_cmp_gt_i64_e64 s0, s[28:29], 0
	v_lshl_or_b32 v18, v18, 7, v7
	v_add_nc_u32_e32 v19, 0x400, v6
	v_add_nc_u64_e32 v[6:7], s[36:37], v[4:5]
	s_cselect_b32 s1, -1, 0
	s_lshl_b64 s[20:21], s[20:21], 4
	s_lshl_b64 s[6:7], s[6:7], 4
	;; [unrolled: 1-line block ×3, first 2 shown]
	v_add_nc_u64_e32 v[4:5], s[34:35], v[12:13]
	v_add_nc_u64_e32 v[8:9], v[14:15], v[16:17]
	v_lshlrev_b64_e32 v[6:7], 2, v[6:7]
	v_lshl_add_u64 v[2:3], v[10:11], 2, s[4:5]
	v_cndmask_b32_e64 v10, 0, 1, s0
	s_lshl_b64 s[4:5], s[26:27], 2
	s_lshl_b64 s[14:15], s[14:15], 5
	v_lshl_add_u64 v[4:5], v[4:5], 2, s[18:19]
	v_lshl_add_u64 v[8:9], v[8:9], 2, s[12:13]
	v_cmp_ne_u32_e64 s0, 1, v10
	s_lshl_b64 s[12:13], s[24:25], 5
	s_branch .LBB323_3
.LBB323_2:                              ;   in Loop: Header=BB323_3 Depth=1
	s_add_co_i32 s2, s2, 0x10000
	s_delay_alu instid0(SALU_CYCLE_1)
	s_cmp_lt_i32 s2, s31
	s_cbranch_scc0 .LBB323_10
.LBB323_3:                              ; =>This Loop Header: Depth=1
                                        ;     Child Loop BB323_5 Depth 2
	s_wait_xcnt 0x0
	v_dual_mov_b32 v13, 0 :: v_dual_mov_b32 v12, 0
	v_dual_mov_b32 v11, 0 :: v_dual_mov_b32 v10, 0
	s_and_b32 vcc_lo, exec_lo, s0
	s_cbranch_vccnz .LBB323_6
; %bb.4:                                ;   in Loop: Header=BB323_3 Depth=1
	v_mad_nc_u64_u32 v[14:15], s4, s2, v[4:5]
	v_mad_nc_u64_u32 v[16:17], s16, s2, v[8:9]
	v_mov_b32_e32 v10, 0
	s_mov_b64 s[18:19], 0
	s_delay_alu instid0(VALU_DEP_1)
	v_dual_mov_b32 v11, v10 :: v_dual_mov_b32 v12, v10
	v_mov_b32_e32 v13, v10
	v_mad_u32 v15, s5, s2, v15
	v_mad_u32 v17, s17, s2, v17
.LBB323_5:                              ;   Parent Loop BB323_3 Depth=1
                                        ; =>  This Inner Loop Header: Depth=2
	global_load_b32 v22, v[16:17], off
	global_load_b32 v23, v[14:15], off
	s_add_nc_u64 s[18:19], s[18:19], 8
	s_wait_xcnt 0x0
	v_add_nc_u64_e32 v[14:15], s[12:13], v[14:15]
	v_cmp_lt_i64_e64 s24, s[18:19], s[28:29]
	v_add_nc_u64_e32 v[16:17], s[14:15], v[16:17]
	s_wait_loadcnt 0x1
	ds_store_b32 v18, v22
	s_wait_loadcnt 0x0
	ds_store_b32 v19, v23
	s_wait_dscnt 0x0
	s_barrier_signal -1
	s_barrier_wait -1
	ds_load_2addr_b32 v[38:39], v20 offset1:16
	ds_load_2addr_b32 v[40:41], v20 offset0:32 offset1:48
	ds_load_b128 v[22:25], v21
	ds_load_2addr_b32 v[42:43], v20 offset0:64 offset1:80
	ds_load_b128 v[26:29], v21 offset:512
	ds_load_2addr_b32 v[44:45], v20 offset0:96 offset1:112
	ds_load_b128 v[30:33], v21 offset:16
	;; [unrolled: 2-line block ×3, first 2 shown]
	ds_load_2addr_b32 v[48:49], v20 offset0:160 offset1:176
	ds_load_2addr_b32 v[50:51], v20 offset0:192 offset1:208
	;; [unrolled: 1-line block ×3, first 2 shown]
	s_and_b32 vcc_lo, exec_lo, s24
	s_wait_dscnt 0x0
	s_barrier_signal -1
	s_barrier_wait -1
	v_dual_mov_b32 v54, v39 :: v_dual_mov_b32 v55, v38
	v_dual_mov_b32 v38, v41 :: v_dual_mov_b32 v39, v40
	;; [unrolled: 1-line block ×3, first 2 shown]
	s_delay_alu instid0(VALU_DEP_3) | instskip(SKIP_3) | instid1(VALU_DEP_4)
	v_pk_fma_f32 v[12:13], v[54:55], v[22:23], v[12:13] op_sel_hi:[1,0,1]
	v_pk_fma_f32 v[10:11], v[54:55], v[26:27], v[10:11] op_sel_hi:[1,0,1]
	v_dual_mov_b32 v42, v45 :: v_dual_mov_b32 v43, v44
	v_mov_b32_e32 v44, v25
	v_pk_fma_f32 v[12:13], v[38:39], v[22:23], v[12:13] op_sel:[0,1,0]
	s_delay_alu instid0(VALU_DEP_4) | instskip(SKIP_2) | instid1(VALU_DEP_4)
	v_pk_fma_f32 v[10:11], v[38:39], v[26:27], v[10:11] op_sel:[0,1,0]
	v_dual_mov_b32 v22, v29 :: v_dual_mov_b32 v26, v53
	v_mov_b32_e32 v27, v52
	v_pk_fma_f32 v[12:13], v[40:41], v[24:25], v[12:13] op_sel_hi:[1,0,1]
	s_delay_alu instid0(VALU_DEP_4) | instskip(SKIP_2) | instid1(VALU_DEP_4)
	v_pk_fma_f32 v[10:11], v[40:41], v[28:29], v[10:11] op_sel_hi:[1,0,1]
	v_dual_mov_b32 v24, v47 :: v_dual_mov_b32 v25, v46
	v_mov_b32_e32 v28, v37
	v_pk_fma_f32 v[12:13], v[42:43], v[44:45], v[12:13] op_sel_hi:[1,0,1]
	s_delay_alu instid0(VALU_DEP_4) | instskip(SKIP_1) | instid1(VALU_DEP_3)
	v_pk_fma_f32 v[10:11], v[42:43], v[22:23], v[10:11] op_sel_hi:[1,0,1]
	v_dual_mov_b32 v22, v49 :: v_dual_mov_b32 v23, v48
	v_pk_fma_f32 v[12:13], v[24:25], v[30:31], v[12:13] op_sel_hi:[1,0,1]
	s_delay_alu instid0(VALU_DEP_3) | instskip(SKIP_1) | instid1(VALU_DEP_3)
	v_pk_fma_f32 v[10:11], v[24:25], v[34:35], v[10:11] op_sel_hi:[1,0,1]
	v_dual_mov_b32 v24, v51 :: v_dual_mov_b32 v25, v50
	v_pk_fma_f32 v[12:13], v[22:23], v[30:31], v[12:13] op_sel:[0,1,0]
	s_delay_alu instid0(VALU_DEP_3) | instskip(SKIP_1) | instid1(VALU_DEP_3)
	v_pk_fma_f32 v[10:11], v[22:23], v[34:35], v[10:11] op_sel:[0,1,0]
	v_mov_b32_e32 v22, v33
	v_pk_fma_f32 v[12:13], v[24:25], v[32:33], v[12:13] op_sel_hi:[1,0,1]
	s_delay_alu instid0(VALU_DEP_3) | instskip(NEXT) | instid1(VALU_DEP_2)
	v_pk_fma_f32 v[10:11], v[24:25], v[36:37], v[10:11] op_sel_hi:[1,0,1]
	v_pk_fma_f32 v[12:13], v[26:27], v[22:23], v[12:13] op_sel_hi:[1,0,1]
	s_delay_alu instid0(VALU_DEP_2)
	v_pk_fma_f32 v[10:11], v[26:27], v[28:29], v[10:11] op_sel_hi:[1,0,1]
	s_cbranch_vccnz .LBB323_5
.LBB323_6:                              ;   in Loop: Header=BB323_3 Depth=1
	s_mul_u64 s[18:19], s[22:23], s[2:3]
	s_and_not1_b32 vcc_lo, exec_lo, s1
	s_lshl_b64 s[18:19], s[18:19], 2
	s_delay_alu instid0(SALU_CYCLE_1) | instskip(NEXT) | instid1(SALU_CYCLE_1)
	s_add_nc_u64 s[18:19], s[10:11], s[18:19]
	v_lshl_add_u64 v[14:15], v[0:1], 2, s[18:19]
	s_delay_alu instid0(VALU_DEP_1)
	v_add_nc_u64_e32 v[16:17], v[14:15], v[6:7]
	v_lshl_add_u64 v[14:15], s[20:21], 2, v[14:15]
	s_cbranch_vccnz .LBB323_8
; %bb.7:                                ;   in Loop: Header=BB323_3 Depth=1
	s_delay_alu instid0(VALU_DEP_1)
	v_add_nc_u64_e32 v[22:23], v[14:15], v[6:7]
	v_dual_mul_f32 v24, s30, v13 :: v_dual_mul_f32 v25, s30, v12
	v_dual_mul_f32 v26, s30, v11 :: v_dual_mul_f32 v27, s30, v10
	s_clause 0x3
	global_store_b32 v[16:17], v24, off
	global_store_b32 v[16:17], v25, off offset:64
	global_store_b32 v[22:23], v26, off
	global_store_b32 v[22:23], v27, off offset:64
	s_cbranch_execnz .LBB323_2
	s_branch .LBB323_9
.LBB323_8:                              ;   in Loop: Header=BB323_3 Depth=1
.LBB323_9:                              ;   in Loop: Header=BB323_3 Depth=1
	s_mul_u64 s[18:19], s[8:9], s[2:3]
	s_wait_xcnt 0x0
	v_lshl_add_u64 v[22:23], s[18:19], 2, v[2:3]
	s_delay_alu instid0(VALU_DEP_1) | instskip(SKIP_1) | instid1(VALU_DEP_1)
	v_add_nc_u64_e32 v[24:25], v[22:23], v[6:7]
	v_lshl_add_u64 v[22:23], s[6:7], 2, v[22:23]
	v_add_nc_u64_e32 v[22:23], v[22:23], v[6:7]
	global_load_b32 v26, v[24:25], off
	s_wait_loadcnt 0x0
	v_mul_f32_e32 v26, s33, v26
	s_delay_alu instid0(VALU_DEP_1) | instskip(SKIP_4) | instid1(VALU_DEP_1)
	v_fmac_f32_e32 v26, s30, v13
	global_store_b32 v[16:17], v26, off
	global_load_b32 v13, v[24:25], off offset:64
	s_wait_loadcnt 0x0
	v_mul_f32_e32 v13, s33, v13
	v_fmac_f32_e32 v13, s30, v12
	global_store_b32 v[16:17], v13, off offset:64
	global_load_b32 v12, v[22:23], off
	s_wait_loadcnt 0x0
	s_wait_xcnt 0x1
	v_mul_f32_e32 v16, s33, v12
	v_add_nc_u64_e32 v[12:13], v[14:15], v[6:7]
	s_delay_alu instid0(VALU_DEP_2) | instskip(SKIP_4) | instid1(VALU_DEP_1)
	v_fmac_f32_e32 v16, s30, v11
	global_store_b32 v[12:13], v16, off
	global_load_b32 v11, v[22:23], off offset:64
	s_wait_loadcnt 0x0
	v_mul_f32_e32 v11, s33, v11
	v_fmac_f32_e32 v11, s30, v10
	global_store_b32 v[12:13], v11, off offset:64
	s_branch .LBB323_2
.LBB323_10:
	s_endpgm
	.section	.rodata,"a",@progbits
	.p2align	6, 0x0
	.amdhsa_kernel _ZN12_GLOBAL__N_127rocblas_gemm_batched_kernelIfLi16ELi16ELi32ELi32ELi8ELi32ELi8ELi8ELi32ELc78ELc67EKfS1_fEEvlllT_PT11_llS4_llS2_PT12_llPT13_lli
		.amdhsa_group_segment_fixed_size 2048
		.amdhsa_private_segment_fixed_size 0
		.amdhsa_kernarg_size 140
		.amdhsa_user_sgpr_count 2
		.amdhsa_user_sgpr_dispatch_ptr 0
		.amdhsa_user_sgpr_queue_ptr 0
		.amdhsa_user_sgpr_kernarg_segment_ptr 1
		.amdhsa_user_sgpr_dispatch_id 0
		.amdhsa_user_sgpr_kernarg_preload_length 0
		.amdhsa_user_sgpr_kernarg_preload_offset 0
		.amdhsa_user_sgpr_private_segment_size 0
		.amdhsa_wavefront_size32 1
		.amdhsa_uses_dynamic_stack 0
		.amdhsa_enable_private_segment 0
		.amdhsa_system_sgpr_workgroup_id_x 1
		.amdhsa_system_sgpr_workgroup_id_y 1
		.amdhsa_system_sgpr_workgroup_id_z 1
		.amdhsa_system_sgpr_workgroup_info 0
		.amdhsa_system_vgpr_workitem_id 1
		.amdhsa_next_free_vgpr 56
		.amdhsa_next_free_sgpr 38
		.amdhsa_named_barrier_count 0
		.amdhsa_reserve_vcc 1
		.amdhsa_float_round_mode_32 0
		.amdhsa_float_round_mode_16_64 0
		.amdhsa_float_denorm_mode_32 3
		.amdhsa_float_denorm_mode_16_64 3
		.amdhsa_fp16_overflow 0
		.amdhsa_memory_ordered 1
		.amdhsa_forward_progress 1
		.amdhsa_inst_pref_size 11
		.amdhsa_round_robin_scheduling 0
		.amdhsa_exception_fp_ieee_invalid_op 0
		.amdhsa_exception_fp_denorm_src 0
		.amdhsa_exception_fp_ieee_div_zero 0
		.amdhsa_exception_fp_ieee_overflow 0
		.amdhsa_exception_fp_ieee_underflow 0
		.amdhsa_exception_fp_ieee_inexact 0
		.amdhsa_exception_int_div_zero 0
	.end_amdhsa_kernel
	.section	.text._ZN12_GLOBAL__N_127rocblas_gemm_batched_kernelIfLi16ELi16ELi32ELi32ELi8ELi32ELi8ELi8ELi32ELc78ELc67EKfS1_fEEvlllT_PT11_llS4_llS2_PT12_llPT13_lli,"axG",@progbits,_ZN12_GLOBAL__N_127rocblas_gemm_batched_kernelIfLi16ELi16ELi32ELi32ELi8ELi32ELi8ELi8ELi32ELc78ELc67EKfS1_fEEvlllT_PT11_llS4_llS2_PT12_llPT13_lli,comdat
.Lfunc_end323:
	.size	_ZN12_GLOBAL__N_127rocblas_gemm_batched_kernelIfLi16ELi16ELi32ELi32ELi8ELi32ELi8ELi8ELi32ELc78ELc67EKfS1_fEEvlllT_PT11_llS4_llS2_PT12_llPT13_lli, .Lfunc_end323-_ZN12_GLOBAL__N_127rocblas_gemm_batched_kernelIfLi16ELi16ELi32ELi32ELi8ELi32ELi8ELi8ELi32ELc78ELc67EKfS1_fEEvlllT_PT11_llS4_llS2_PT12_llPT13_lli
                                        ; -- End function
	.set _ZN12_GLOBAL__N_127rocblas_gemm_batched_kernelIfLi16ELi16ELi32ELi32ELi8ELi32ELi8ELi8ELi32ELc78ELc67EKfS1_fEEvlllT_PT11_llS4_llS2_PT12_llPT13_lli.num_vgpr, 56
	.set _ZN12_GLOBAL__N_127rocblas_gemm_batched_kernelIfLi16ELi16ELi32ELi32ELi8ELi32ELi8ELi8ELi32ELc78ELc67EKfS1_fEEvlllT_PT11_llS4_llS2_PT12_llPT13_lli.num_agpr, 0
	.set _ZN12_GLOBAL__N_127rocblas_gemm_batched_kernelIfLi16ELi16ELi32ELi32ELi8ELi32ELi8ELi8ELi32ELc78ELc67EKfS1_fEEvlllT_PT11_llS4_llS2_PT12_llPT13_lli.numbered_sgpr, 38
	.set _ZN12_GLOBAL__N_127rocblas_gemm_batched_kernelIfLi16ELi16ELi32ELi32ELi8ELi32ELi8ELi8ELi32ELc78ELc67EKfS1_fEEvlllT_PT11_llS4_llS2_PT12_llPT13_lli.num_named_barrier, 0
	.set _ZN12_GLOBAL__N_127rocblas_gemm_batched_kernelIfLi16ELi16ELi32ELi32ELi8ELi32ELi8ELi8ELi32ELc78ELc67EKfS1_fEEvlllT_PT11_llS4_llS2_PT12_llPT13_lli.private_seg_size, 0
	.set _ZN12_GLOBAL__N_127rocblas_gemm_batched_kernelIfLi16ELi16ELi32ELi32ELi8ELi32ELi8ELi8ELi32ELc78ELc67EKfS1_fEEvlllT_PT11_llS4_llS2_PT12_llPT13_lli.uses_vcc, 1
	.set _ZN12_GLOBAL__N_127rocblas_gemm_batched_kernelIfLi16ELi16ELi32ELi32ELi8ELi32ELi8ELi8ELi32ELc78ELc67EKfS1_fEEvlllT_PT11_llS4_llS2_PT12_llPT13_lli.uses_flat_scratch, 0
	.set _ZN12_GLOBAL__N_127rocblas_gemm_batched_kernelIfLi16ELi16ELi32ELi32ELi8ELi32ELi8ELi8ELi32ELc78ELc67EKfS1_fEEvlllT_PT11_llS4_llS2_PT12_llPT13_lli.has_dyn_sized_stack, 0
	.set _ZN12_GLOBAL__N_127rocblas_gemm_batched_kernelIfLi16ELi16ELi32ELi32ELi8ELi32ELi8ELi8ELi32ELc78ELc67EKfS1_fEEvlllT_PT11_llS4_llS2_PT12_llPT13_lli.has_recursion, 0
	.set _ZN12_GLOBAL__N_127rocblas_gemm_batched_kernelIfLi16ELi16ELi32ELi32ELi8ELi32ELi8ELi8ELi32ELc78ELc67EKfS1_fEEvlllT_PT11_llS4_llS2_PT12_llPT13_lli.has_indirect_call, 0
	.section	.AMDGPU.csdata,"",@progbits
; Kernel info:
; codeLenInByte = 1368
; TotalNumSgprs: 40
; NumVgprs: 56
; ScratchSize: 0
; MemoryBound: 0
; FloatMode: 240
; IeeeMode: 1
; LDSByteSize: 2048 bytes/workgroup (compile time only)
; SGPRBlocks: 0
; VGPRBlocks: 3
; NumSGPRsForWavesPerEU: 40
; NumVGPRsForWavesPerEU: 56
; NamedBarCnt: 0
; Occupancy: 16
; WaveLimiterHint : 0
; COMPUTE_PGM_RSRC2:SCRATCH_EN: 0
; COMPUTE_PGM_RSRC2:USER_SGPR: 2
; COMPUTE_PGM_RSRC2:TRAP_HANDLER: 0
; COMPUTE_PGM_RSRC2:TGID_X_EN: 1
; COMPUTE_PGM_RSRC2:TGID_Y_EN: 1
; COMPUTE_PGM_RSRC2:TGID_Z_EN: 1
; COMPUTE_PGM_RSRC2:TIDIG_COMP_CNT: 1
	.section	.text._ZN12_GLOBAL__N_127rocblas_gemm_batched_kernelIfLi16ELi16ELi32ELi32ELi8ELi32ELi8ELi8ELi32ELc84ELc67EKfS1_fEEvlllT_PT11_llS4_llS2_PT12_llPT13_lli,"axG",@progbits,_ZN12_GLOBAL__N_127rocblas_gemm_batched_kernelIfLi16ELi16ELi32ELi32ELi8ELi32ELi8ELi8ELi32ELc84ELc67EKfS1_fEEvlllT_PT11_llS4_llS2_PT12_llPT13_lli,comdat
	.globl	_ZN12_GLOBAL__N_127rocblas_gemm_batched_kernelIfLi16ELi16ELi32ELi32ELi8ELi32ELi8ELi8ELi32ELc84ELc67EKfS1_fEEvlllT_PT11_llS4_llS2_PT12_llPT13_lli ; -- Begin function _ZN12_GLOBAL__N_127rocblas_gemm_batched_kernelIfLi16ELi16ELi32ELi32ELi8ELi32ELi8ELi8ELi32ELc84ELc67EKfS1_fEEvlllT_PT11_llS4_llS2_PT12_llPT13_lli
	.p2align	8
	.type	_ZN12_GLOBAL__N_127rocblas_gemm_batched_kernelIfLi16ELi16ELi32ELi32ELi8ELi32ELi8ELi8ELi32ELc84ELc67EKfS1_fEEvlllT_PT11_llS4_llS2_PT12_llPT13_lli,@function
_ZN12_GLOBAL__N_127rocblas_gemm_batched_kernelIfLi16ELi16ELi32ELi32ELi8ELi32ELi8ELi8ELi32ELc84ELc67EKfS1_fEEvlllT_PT11_llS4_llS2_PT12_llPT13_lli: ; @_ZN12_GLOBAL__N_127rocblas_gemm_batched_kernelIfLi16ELi16ELi32ELi32ELi8ELi32ELi8ELi8ELi32ELc84ELc67EKfS1_fEEvlllT_PT11_llS4_llS2_PT12_llPT13_lli
; %bb.0:
	s_load_b32 s31, s[0:1], 0x88
	s_bfe_u32 s2, ttmp6, 0x40014
	s_lshr_b32 s3, ttmp7, 16
	s_add_co_i32 s2, s2, 1
	s_bfe_u32 s4, ttmp6, 0x40008
	s_mul_i32 s2, s3, s2
	s_getreg_b32 s28, hwreg(HW_REG_IB_STS2, 6, 4)
	s_add_co_i32 s4, s4, s2
	s_cmp_eq_u32 s28, 0
	s_cselect_b32 s2, s3, s4
	s_mov_b32 s3, 0
	s_wait_kmcnt 0x0
	s_cmp_ge_i32 s2, s31
	s_cbranch_scc1 .LBB324_10
; %bb.1:
	v_bfe_u32 v2, v0, 10, 10
	v_and_b32_e32 v4, 0x3ff, v0
	s_bfe_u32 s29, ttmp6, 0x4000c
	s_bfe_u32 s33, ttmp6, 0x40010
	s_add_co_i32 s29, s29, 1
	s_and_b32 s34, ttmp7, 0xffff
	s_add_co_i32 s33, s33, 1
	s_clause 0x3
	s_load_b256 s[12:19], s[0:1], 0x20
	s_load_b128 s[24:27], s[0:1], 0x40
	s_load_b128 s[20:23], s[0:1], 0x78
	s_load_b256 s[4:11], s[0:1], 0x58
	s_and_b32 s30, ttmp6, 15
	s_mul_i32 s29, ttmp9, s29
	s_mul_i32 s33, s34, s33
	s_bfe_u32 s35, ttmp6, 0x40004
	v_lshl_add_u32 v5, v2, 4, v4
	s_add_co_i32 s30, s30, s29
	s_add_co_i32 s35, s35, s33
	s_cmp_eq_u32 s28, 0
	s_delay_alu instid0(VALU_DEP_1)
	v_dual_mov_b32 v3, 0 :: v_dual_bitop2_b32 v16, 31, v5 bitop3:0x40
	s_cselect_b32 s28, ttmp9, s30
	s_cselect_b32 s30, s34, s35
	s_ashr_i32 s29, s28, 31
	s_lshl_b32 s36, s30, 5
	s_lshl_b64 s[34:35], s[28:29], 5
	s_mov_b32 s37, s3
	v_dual_mov_b32 v7, s35 :: v_dual_bitop2_b32 v6, s34, v16 bitop3:0x54
	v_add_nc_u64_e32 v[8:9], s[36:37], v[2:3]
	v_dual_lshrrev_b32 v10, 3, v5 :: v_dual_bitop2_b32 v17, 7, v0 bitop3:0x40
	v_mov_b32_e32 v11, v3
	s_wait_kmcnt 0x0
	v_mul_u64_e32 v[6:7], s[14:15], v[6:7]
	s_clause 0x1
	s_load_b32 s33, s[0:1], 0x50
	s_load_b96 s[28:30], s[0:1], 0x10
	v_mul_u64_e32 v[12:13], s[6:7], v[8:9]
	v_mul_u64_e32 v[0:1], s[20:21], v[8:9]
	v_lshrrev_b32_e32 v8, 5, v5
	v_mad_nc_u64_u32 v[14:15], s24, v17, v[10:11]
	v_dual_lshlrev_b32 v11, 2, v17 :: v_dual_lshlrev_b32 v9, 2, v16
	v_dual_mov_b32 v5, v3 :: v_dual_lshlrev_b32 v20, 2, v4
	v_lshl_add_u32 v21, v2, 5, 0x400
	s_delay_alu instid0(VALU_DEP_3)
	v_lshl_or_b32 v10, v10, 5, v11
	v_lshlrev_b32_e32 v2, 2, v8
	v_lshl_or_b32 v18, v8, 7, v9
	v_add_nc_u64_e32 v[8:9], s[34:35], v[4:5]
	v_mad_u32 v15, s25, v17, v15
	v_add_nc_u32_e32 v19, 0x400, v10
	s_wait_kmcnt 0x0
	s_cmp_eq_f32 s33, 0
	v_cmp_gt_i64_e64 s0, s[28:29], 0
	s_cselect_b32 s1, -1, 0
	s_lshl_b64 s[14:15], s[20:21], 4
	s_lshl_b64 s[6:7], s[6:7], 4
	v_add_nc_u64_e32 v[10:11], s[36:37], v[14:15]
	v_cndmask_b32_e64 v14, 0, 1, s0
	s_lshl_b64 s[16:17], s[16:17], 2
	v_lshl_add_u64 v[4:5], v[6:7], 2, v[2:3]
	v_lshlrev_b64_e32 v[6:7], 2, v[8:9]
	s_delay_alu instid0(VALU_DEP_3)
	v_cmp_ne_u32_e64 s0, 1, v14
	v_lshl_add_u64 v[2:3], v[12:13], 2, s[4:5]
	v_lshl_add_u64 v[8:9], v[10:11], 2, s[18:19]
	v_add_nc_u64_e32 v[4:5], s[12:13], v[4:5]
	s_lshl_b64 s[4:5], s[26:27], 2
	s_lshl_b64 s[12:13], s[24:25], 5
	s_branch .LBB324_3
.LBB324_2:                              ;   in Loop: Header=BB324_3 Depth=1
	s_add_co_i32 s2, s2, 0x10000
	s_delay_alu instid0(SALU_CYCLE_1)
	s_cmp_lt_i32 s2, s31
	s_cbranch_scc0 .LBB324_10
.LBB324_3:                              ; =>This Loop Header: Depth=1
                                        ;     Child Loop BB324_5 Depth 2
	s_wait_xcnt 0x0
	v_dual_mov_b32 v13, 0 :: v_dual_mov_b32 v12, 0
	v_dual_mov_b32 v11, 0 :: v_dual_mov_b32 v10, 0
	s_and_b32 vcc_lo, exec_lo, s0
	s_cbranch_vccnz .LBB324_6
; %bb.4:                                ;   in Loop: Header=BB324_3 Depth=1
	v_mad_nc_u64_u32 v[14:15], s4, s2, v[8:9]
	v_mad_nc_u64_u32 v[16:17], s16, s2, v[4:5]
	v_mov_b32_e32 v10, 0
	s_mov_b64 s[18:19], 0
	s_delay_alu instid0(VALU_DEP_1)
	v_dual_mov_b32 v11, v10 :: v_dual_mov_b32 v12, v10
	v_mov_b32_e32 v13, v10
	v_mad_u32 v15, s5, s2, v15
	v_mad_u32 v17, s17, s2, v17
.LBB324_5:                              ;   Parent Loop BB324_3 Depth=1
                                        ; =>  This Inner Loop Header: Depth=2
	global_load_b32 v22, v[16:17], off
	global_load_b32 v23, v[14:15], off
	s_add_nc_u64 s[18:19], s[18:19], 8
	s_wait_xcnt 0x0
	v_add_nc_u64_e32 v[14:15], s[12:13], v[14:15]
	v_cmp_lt_i64_e64 s20, s[18:19], s[28:29]
	v_add_nc_u64_e32 v[16:17], 32, v[16:17]
	s_wait_loadcnt 0x1
	ds_store_b32 v18, v22
	s_wait_loadcnt 0x0
	ds_store_b32 v19, v23
	s_wait_dscnt 0x0
	s_barrier_signal -1
	s_barrier_wait -1
	ds_load_2addr_b32 v[38:39], v20 offset1:16
	ds_load_2addr_b32 v[40:41], v20 offset0:32 offset1:48
	ds_load_b128 v[22:25], v21
	ds_load_2addr_b32 v[42:43], v20 offset0:64 offset1:80
	ds_load_b128 v[26:29], v21 offset:512
	ds_load_2addr_b32 v[44:45], v20 offset0:96 offset1:112
	ds_load_b128 v[30:33], v21 offset:16
	;; [unrolled: 2-line block ×3, first 2 shown]
	ds_load_2addr_b32 v[48:49], v20 offset0:160 offset1:176
	ds_load_2addr_b32 v[50:51], v20 offset0:192 offset1:208
	;; [unrolled: 1-line block ×3, first 2 shown]
	s_and_b32 vcc_lo, exec_lo, s20
	s_wait_dscnt 0x0
	s_barrier_signal -1
	s_barrier_wait -1
	v_dual_mov_b32 v54, v39 :: v_dual_mov_b32 v55, v38
	v_dual_mov_b32 v38, v41 :: v_dual_mov_b32 v39, v40
	;; [unrolled: 1-line block ×3, first 2 shown]
	s_delay_alu instid0(VALU_DEP_3) | instskip(SKIP_3) | instid1(VALU_DEP_4)
	v_pk_fma_f32 v[12:13], v[54:55], v[22:23], v[12:13] op_sel_hi:[1,0,1]
	v_pk_fma_f32 v[10:11], v[54:55], v[26:27], v[10:11] op_sel_hi:[1,0,1]
	v_dual_mov_b32 v42, v45 :: v_dual_mov_b32 v43, v44
	v_mov_b32_e32 v44, v25
	v_pk_fma_f32 v[12:13], v[38:39], v[22:23], v[12:13] op_sel:[0,1,0]
	s_delay_alu instid0(VALU_DEP_4) | instskip(SKIP_2) | instid1(VALU_DEP_4)
	v_pk_fma_f32 v[10:11], v[38:39], v[26:27], v[10:11] op_sel:[0,1,0]
	v_dual_mov_b32 v22, v29 :: v_dual_mov_b32 v26, v53
	v_mov_b32_e32 v27, v52
	v_pk_fma_f32 v[12:13], v[40:41], v[24:25], v[12:13] op_sel_hi:[1,0,1]
	s_delay_alu instid0(VALU_DEP_4) | instskip(SKIP_2) | instid1(VALU_DEP_4)
	v_pk_fma_f32 v[10:11], v[40:41], v[28:29], v[10:11] op_sel_hi:[1,0,1]
	v_dual_mov_b32 v24, v47 :: v_dual_mov_b32 v25, v46
	v_mov_b32_e32 v28, v37
	v_pk_fma_f32 v[12:13], v[42:43], v[44:45], v[12:13] op_sel_hi:[1,0,1]
	s_delay_alu instid0(VALU_DEP_4) | instskip(SKIP_1) | instid1(VALU_DEP_3)
	v_pk_fma_f32 v[10:11], v[42:43], v[22:23], v[10:11] op_sel_hi:[1,0,1]
	v_dual_mov_b32 v22, v49 :: v_dual_mov_b32 v23, v48
	v_pk_fma_f32 v[12:13], v[24:25], v[30:31], v[12:13] op_sel_hi:[1,0,1]
	s_delay_alu instid0(VALU_DEP_3) | instskip(SKIP_1) | instid1(VALU_DEP_3)
	v_pk_fma_f32 v[10:11], v[24:25], v[34:35], v[10:11] op_sel_hi:[1,0,1]
	v_dual_mov_b32 v24, v51 :: v_dual_mov_b32 v25, v50
	v_pk_fma_f32 v[12:13], v[22:23], v[30:31], v[12:13] op_sel:[0,1,0]
	s_delay_alu instid0(VALU_DEP_3) | instskip(SKIP_1) | instid1(VALU_DEP_3)
	v_pk_fma_f32 v[10:11], v[22:23], v[34:35], v[10:11] op_sel:[0,1,0]
	v_mov_b32_e32 v22, v33
	v_pk_fma_f32 v[12:13], v[24:25], v[32:33], v[12:13] op_sel_hi:[1,0,1]
	s_delay_alu instid0(VALU_DEP_3) | instskip(NEXT) | instid1(VALU_DEP_2)
	v_pk_fma_f32 v[10:11], v[24:25], v[36:37], v[10:11] op_sel_hi:[1,0,1]
	v_pk_fma_f32 v[12:13], v[26:27], v[22:23], v[12:13] op_sel_hi:[1,0,1]
	s_delay_alu instid0(VALU_DEP_2)
	v_pk_fma_f32 v[10:11], v[26:27], v[28:29], v[10:11] op_sel_hi:[1,0,1]
	s_cbranch_vccnz .LBB324_5
.LBB324_6:                              ;   in Loop: Header=BB324_3 Depth=1
	s_mul_u64 s[18:19], s[22:23], s[2:3]
	s_and_not1_b32 vcc_lo, exec_lo, s1
	s_lshl_b64 s[18:19], s[18:19], 2
	s_delay_alu instid0(SALU_CYCLE_1) | instskip(NEXT) | instid1(SALU_CYCLE_1)
	s_add_nc_u64 s[18:19], s[10:11], s[18:19]
	v_lshl_add_u64 v[14:15], v[0:1], 2, s[18:19]
	s_delay_alu instid0(VALU_DEP_1)
	v_add_nc_u64_e32 v[16:17], v[14:15], v[6:7]
	v_lshl_add_u64 v[14:15], s[14:15], 2, v[14:15]
	s_cbranch_vccnz .LBB324_8
; %bb.7:                                ;   in Loop: Header=BB324_3 Depth=1
	s_delay_alu instid0(VALU_DEP_1)
	v_add_nc_u64_e32 v[22:23], v[14:15], v[6:7]
	v_dual_mul_f32 v24, s30, v13 :: v_dual_mul_f32 v25, s30, v12
	v_dual_mul_f32 v26, s30, v11 :: v_dual_mul_f32 v27, s30, v10
	s_clause 0x3
	global_store_b32 v[16:17], v24, off
	global_store_b32 v[16:17], v25, off offset:64
	global_store_b32 v[22:23], v26, off
	global_store_b32 v[22:23], v27, off offset:64
	s_cbranch_execnz .LBB324_2
	s_branch .LBB324_9
.LBB324_8:                              ;   in Loop: Header=BB324_3 Depth=1
.LBB324_9:                              ;   in Loop: Header=BB324_3 Depth=1
	s_mul_u64 s[18:19], s[8:9], s[2:3]
	s_wait_xcnt 0x0
	v_lshl_add_u64 v[22:23], s[18:19], 2, v[2:3]
	s_delay_alu instid0(VALU_DEP_1) | instskip(SKIP_1) | instid1(VALU_DEP_1)
	v_add_nc_u64_e32 v[24:25], v[22:23], v[6:7]
	v_lshl_add_u64 v[22:23], s[6:7], 2, v[22:23]
	v_add_nc_u64_e32 v[22:23], v[22:23], v[6:7]
	global_load_b32 v26, v[24:25], off
	s_wait_loadcnt 0x0
	v_mul_f32_e32 v26, s33, v26
	s_delay_alu instid0(VALU_DEP_1) | instskip(SKIP_4) | instid1(VALU_DEP_1)
	v_fmac_f32_e32 v26, s30, v13
	global_store_b32 v[16:17], v26, off
	global_load_b32 v13, v[24:25], off offset:64
	s_wait_loadcnt 0x0
	v_mul_f32_e32 v13, s33, v13
	v_fmac_f32_e32 v13, s30, v12
	global_store_b32 v[16:17], v13, off offset:64
	global_load_b32 v12, v[22:23], off
	s_wait_loadcnt 0x0
	s_wait_xcnt 0x1
	v_mul_f32_e32 v16, s33, v12
	v_add_nc_u64_e32 v[12:13], v[14:15], v[6:7]
	s_delay_alu instid0(VALU_DEP_2) | instskip(SKIP_4) | instid1(VALU_DEP_1)
	v_fmac_f32_e32 v16, s30, v11
	global_store_b32 v[12:13], v16, off
	global_load_b32 v11, v[22:23], off offset:64
	s_wait_loadcnt 0x0
	v_mul_f32_e32 v11, s33, v11
	v_fmac_f32_e32 v11, s30, v10
	global_store_b32 v[12:13], v11, off offset:64
	s_branch .LBB324_2
.LBB324_10:
	s_endpgm
	.section	.rodata,"a",@progbits
	.p2align	6, 0x0
	.amdhsa_kernel _ZN12_GLOBAL__N_127rocblas_gemm_batched_kernelIfLi16ELi16ELi32ELi32ELi8ELi32ELi8ELi8ELi32ELc84ELc67EKfS1_fEEvlllT_PT11_llS4_llS2_PT12_llPT13_lli
		.amdhsa_group_segment_fixed_size 2048
		.amdhsa_private_segment_fixed_size 0
		.amdhsa_kernarg_size 140
		.amdhsa_user_sgpr_count 2
		.amdhsa_user_sgpr_dispatch_ptr 0
		.amdhsa_user_sgpr_queue_ptr 0
		.amdhsa_user_sgpr_kernarg_segment_ptr 1
		.amdhsa_user_sgpr_dispatch_id 0
		.amdhsa_user_sgpr_kernarg_preload_length 0
		.amdhsa_user_sgpr_kernarg_preload_offset 0
		.amdhsa_user_sgpr_private_segment_size 0
		.amdhsa_wavefront_size32 1
		.amdhsa_uses_dynamic_stack 0
		.amdhsa_enable_private_segment 0
		.amdhsa_system_sgpr_workgroup_id_x 1
		.amdhsa_system_sgpr_workgroup_id_y 1
		.amdhsa_system_sgpr_workgroup_id_z 1
		.amdhsa_system_sgpr_workgroup_info 0
		.amdhsa_system_vgpr_workitem_id 1
		.amdhsa_next_free_vgpr 56
		.amdhsa_next_free_sgpr 38
		.amdhsa_named_barrier_count 0
		.amdhsa_reserve_vcc 1
		.amdhsa_float_round_mode_32 0
		.amdhsa_float_round_mode_16_64 0
		.amdhsa_float_denorm_mode_32 3
		.amdhsa_float_denorm_mode_16_64 3
		.amdhsa_fp16_overflow 0
		.amdhsa_memory_ordered 1
		.amdhsa_forward_progress 1
		.amdhsa_inst_pref_size 11
		.amdhsa_round_robin_scheduling 0
		.amdhsa_exception_fp_ieee_invalid_op 0
		.amdhsa_exception_fp_denorm_src 0
		.amdhsa_exception_fp_ieee_div_zero 0
		.amdhsa_exception_fp_ieee_overflow 0
		.amdhsa_exception_fp_ieee_underflow 0
		.amdhsa_exception_fp_ieee_inexact 0
		.amdhsa_exception_int_div_zero 0
	.end_amdhsa_kernel
	.section	.text._ZN12_GLOBAL__N_127rocblas_gemm_batched_kernelIfLi16ELi16ELi32ELi32ELi8ELi32ELi8ELi8ELi32ELc84ELc67EKfS1_fEEvlllT_PT11_llS4_llS2_PT12_llPT13_lli,"axG",@progbits,_ZN12_GLOBAL__N_127rocblas_gemm_batched_kernelIfLi16ELi16ELi32ELi32ELi8ELi32ELi8ELi8ELi32ELc84ELc67EKfS1_fEEvlllT_PT11_llS4_llS2_PT12_llPT13_lli,comdat
.Lfunc_end324:
	.size	_ZN12_GLOBAL__N_127rocblas_gemm_batched_kernelIfLi16ELi16ELi32ELi32ELi8ELi32ELi8ELi8ELi32ELc84ELc67EKfS1_fEEvlllT_PT11_llS4_llS2_PT12_llPT13_lli, .Lfunc_end324-_ZN12_GLOBAL__N_127rocblas_gemm_batched_kernelIfLi16ELi16ELi32ELi32ELi8ELi32ELi8ELi8ELi32ELc84ELc67EKfS1_fEEvlllT_PT11_llS4_llS2_PT12_llPT13_lli
                                        ; -- End function
	.set _ZN12_GLOBAL__N_127rocblas_gemm_batched_kernelIfLi16ELi16ELi32ELi32ELi8ELi32ELi8ELi8ELi32ELc84ELc67EKfS1_fEEvlllT_PT11_llS4_llS2_PT12_llPT13_lli.num_vgpr, 56
	.set _ZN12_GLOBAL__N_127rocblas_gemm_batched_kernelIfLi16ELi16ELi32ELi32ELi8ELi32ELi8ELi8ELi32ELc84ELc67EKfS1_fEEvlllT_PT11_llS4_llS2_PT12_llPT13_lli.num_agpr, 0
	.set _ZN12_GLOBAL__N_127rocblas_gemm_batched_kernelIfLi16ELi16ELi32ELi32ELi8ELi32ELi8ELi8ELi32ELc84ELc67EKfS1_fEEvlllT_PT11_llS4_llS2_PT12_llPT13_lli.numbered_sgpr, 38
	.set _ZN12_GLOBAL__N_127rocblas_gemm_batched_kernelIfLi16ELi16ELi32ELi32ELi8ELi32ELi8ELi8ELi32ELc84ELc67EKfS1_fEEvlllT_PT11_llS4_llS2_PT12_llPT13_lli.num_named_barrier, 0
	.set _ZN12_GLOBAL__N_127rocblas_gemm_batched_kernelIfLi16ELi16ELi32ELi32ELi8ELi32ELi8ELi8ELi32ELc84ELc67EKfS1_fEEvlllT_PT11_llS4_llS2_PT12_llPT13_lli.private_seg_size, 0
	.set _ZN12_GLOBAL__N_127rocblas_gemm_batched_kernelIfLi16ELi16ELi32ELi32ELi8ELi32ELi8ELi8ELi32ELc84ELc67EKfS1_fEEvlllT_PT11_llS4_llS2_PT12_llPT13_lli.uses_vcc, 1
	.set _ZN12_GLOBAL__N_127rocblas_gemm_batched_kernelIfLi16ELi16ELi32ELi32ELi8ELi32ELi8ELi8ELi32ELc84ELc67EKfS1_fEEvlllT_PT11_llS4_llS2_PT12_llPT13_lli.uses_flat_scratch, 0
	.set _ZN12_GLOBAL__N_127rocblas_gemm_batched_kernelIfLi16ELi16ELi32ELi32ELi8ELi32ELi8ELi8ELi32ELc84ELc67EKfS1_fEEvlllT_PT11_llS4_llS2_PT12_llPT13_lli.has_dyn_sized_stack, 0
	.set _ZN12_GLOBAL__N_127rocblas_gemm_batched_kernelIfLi16ELi16ELi32ELi32ELi8ELi32ELi8ELi8ELi32ELc84ELc67EKfS1_fEEvlllT_PT11_llS4_llS2_PT12_llPT13_lli.has_recursion, 0
	.set _ZN12_GLOBAL__N_127rocblas_gemm_batched_kernelIfLi16ELi16ELi32ELi32ELi8ELi32ELi8ELi8ELi32ELc84ELc67EKfS1_fEEvlllT_PT11_llS4_llS2_PT12_llPT13_lli.has_indirect_call, 0
	.section	.AMDGPU.csdata,"",@progbits
; Kernel info:
; codeLenInByte = 1372
; TotalNumSgprs: 40
; NumVgprs: 56
; ScratchSize: 0
; MemoryBound: 0
; FloatMode: 240
; IeeeMode: 1
; LDSByteSize: 2048 bytes/workgroup (compile time only)
; SGPRBlocks: 0
; VGPRBlocks: 3
; NumSGPRsForWavesPerEU: 40
; NumVGPRsForWavesPerEU: 56
; NamedBarCnt: 0
; Occupancy: 16
; WaveLimiterHint : 0
; COMPUTE_PGM_RSRC2:SCRATCH_EN: 0
; COMPUTE_PGM_RSRC2:USER_SGPR: 2
; COMPUTE_PGM_RSRC2:TRAP_HANDLER: 0
; COMPUTE_PGM_RSRC2:TGID_X_EN: 1
; COMPUTE_PGM_RSRC2:TGID_Y_EN: 1
; COMPUTE_PGM_RSRC2:TGID_Z_EN: 1
; COMPUTE_PGM_RSRC2:TIDIG_COMP_CNT: 1
	.section	.text._ZN12_GLOBAL__N_135rocblas_gemm_batched_general_kernelIfLi16ELi16ELi32ELi32ELi8ELi32ELi8ELi8ELi32ELc78ELc78EKfS1_fEEvlllT_PT11_llS4_llS2_PT12_llPT13_lli,"axG",@progbits,_ZN12_GLOBAL__N_135rocblas_gemm_batched_general_kernelIfLi16ELi16ELi32ELi32ELi8ELi32ELi8ELi8ELi32ELc78ELc78EKfS1_fEEvlllT_PT11_llS4_llS2_PT12_llPT13_lli,comdat
	.globl	_ZN12_GLOBAL__N_135rocblas_gemm_batched_general_kernelIfLi16ELi16ELi32ELi32ELi8ELi32ELi8ELi8ELi32ELc78ELc78EKfS1_fEEvlllT_PT11_llS4_llS2_PT12_llPT13_lli ; -- Begin function _ZN12_GLOBAL__N_135rocblas_gemm_batched_general_kernelIfLi16ELi16ELi32ELi32ELi8ELi32ELi8ELi8ELi32ELc78ELc78EKfS1_fEEvlllT_PT11_llS4_llS2_PT12_llPT13_lli
	.p2align	8
	.type	_ZN12_GLOBAL__N_135rocblas_gemm_batched_general_kernelIfLi16ELi16ELi32ELi32ELi8ELi32ELi8ELi8ELi32ELc78ELc78EKfS1_fEEvlllT_PT11_llS4_llS2_PT12_llPT13_lli,@function
_ZN12_GLOBAL__N_135rocblas_gemm_batched_general_kernelIfLi16ELi16ELi32ELi32ELi8ELi32ELi8ELi8ELi32ELc78ELc78EKfS1_fEEvlllT_PT11_llS4_llS2_PT12_llPT13_lli: ; @_ZN12_GLOBAL__N_135rocblas_gemm_batched_general_kernelIfLi16ELi16ELi32ELi32ELi8ELi32ELi8ELi8ELi32ELc78ELc78EKfS1_fEEvlllT_PT11_llS4_llS2_PT12_llPT13_lli
; %bb.0:
	s_load_b32 s33, s[0:1], 0x88
	s_bfe_u32 s2, ttmp6, 0x40014
	s_lshr_b32 s3, ttmp7, 16
	s_add_co_i32 s2, s2, 1
	s_bfe_u32 s5, ttmp6, 0x40008
	s_mul_i32 s4, s3, s2
	s_getreg_b32 s2, hwreg(HW_REG_IB_STS2, 6, 4)
	s_add_co_i32 s5, s5, s4
	s_cmp_eq_u32 s2, 0
	s_mov_b32 s35, 0
	s_cselect_b32 s34, s3, s5
	s_wait_kmcnt 0x0
	s_cmp_ge_i32 s34, s33
	s_cbranch_scc1 .LBB325_34
; %bb.1:
	s_clause 0x2
	s_load_b256 s[16:23], s[0:1], 0x20
	s_load_b128 s[4:7], s[0:1], 0x40
	s_load_b256 s[8:15], s[0:1], 0x58
	v_bfe_u32 v8, v0, 10, 10
	v_and_b32_e32 v10, 0x3ff, v0
	s_bfe_u32 s3, ttmp6, 0x4000c
	s_bfe_u32 s25, ttmp6, 0x40010
	s_add_co_i32 s3, s3, 1
	s_and_b32 s26, ttmp7, 0xffff
	s_add_co_i32 s25, s25, 1
	v_lshl_add_u32 v1, v8, 4, v10
	v_mov_b32_e32 v9, 0
	s_and_b32 s24, ttmp6, 15
	s_mul_i32 s3, ttmp9, s3
	s_mul_i32 s25, s26, s25
	s_bfe_u32 s27, ttmp6, 0x40004
	s_add_co_i32 s24, s24, s3
	s_add_co_i32 s27, s27, s25
	s_cmp_eq_u32 s2, 0
	v_dual_mov_b32 v3, v9 :: v_dual_lshrrev_b32 v2, 5, v1
	v_dual_mov_b32 v5, v9 :: v_dual_lshrrev_b32 v4, 3, v1
	v_and_b32_e32 v1, 31, v1
	s_cselect_b32 s3, s26, s27
	s_cselect_b32 s2, ttmp9, s24
	s_lshl_b32 s42, s3, 5
	s_mov_b32 s43, s35
	s_clause 0x1
	s_load_b128 s[28:31], s[0:1], 0x0
	s_load_b128 s[24:27], s[0:1], 0x78
	v_add_nc_u64_e32 v[12:13], s[42:43], v[4:5]
	s_wait_kmcnt 0x0
	v_mul_u64_e32 v[14:15], s[18:19], v[2:3]
	s_clause 0x1
	s_load_b96 s[36:38], s[0:1], 0x10
	s_load_b32 s41, s[0:1], 0x50
	v_add_nc_u64_e32 v[16:17], s[42:43], v[8:9]
	s_ashr_i32 s3, s2, 31
	v_dual_mov_b32 v11, v9 :: v_dual_lshlrev_b32 v22, 2, v1
	v_mul_u64_e32 v[18:19], s[4:5], v[12:13]
	s_lshl_b64 s[4:5], s[2:3], 5
	s_delay_alu instid0(SALU_CYCLE_1) | instskip(NEXT) | instid1(VALU_DEP_4)
	v_dual_mov_b32 v7, s5 :: v_dual_bitop2_b32 v0, 7, v0 bitop3:0x40
	v_mul_u64_e32 v[20:21], s[10:11], v[16:17]
	v_dual_mov_b32 v1, v9 :: v_dual_bitop2_b32 v6, s4, v1 bitop3:0x54
	s_delay_alu instid0(VALU_DEP_3)
	v_dual_lshlrev_b32 v30, 2, v10 :: v_dual_lshlrev_b32 v24, 2, v0
	v_mov_b32_e32 v25, v9
	v_lshl_or_b32 v28, v2, 7, v22
	s_wait_xcnt 0x0
	v_cmp_gt_i64_e64 s0, s[28:29], v[6:7]
	v_add_nc_u64_e32 v[6:7], s[4:5], v[10:11]
	v_lshl_or_b32 v23, v4, 5, v24
	v_mul_u64_e32 v[4:5], s[24:25], v[16:17]
	s_wait_kmcnt 0x0
	s_cmp_eq_f32 s41, 0
	v_cmp_gt_i64_e64 s1, s[30:31], v[12:13]
	v_add_nc_u64_e32 v[12:13], 16, v[16:17]
	v_add_nc_u32_e32 v29, 0x400, v23
	s_cselect_b32 s39, -1, 0
	s_lshl_b64 s[4:5], s[2:3], 7
	v_add_nc_u64_e32 v[10:11], 16, v[6:7]
	v_mov_b32_e32 v23, v9
	v_cmp_gt_i64_e64 s2, s[30:31], v[16:17]
	v_cmp_gt_i64_e64 s3, s[28:29], v[6:7]
	v_lshl_add_u32 v31, v8, 5, 0x400
	v_lshl_add_u64 v[14:15], v[14:15], 2, s[4:5]
	v_cmp_gt_i64_e64 s5, s[30:31], v[12:13]
	v_cmp_gt_i64_e64 s4, s[28:29], v[10:11]
	s_lshl_b64 s[24:25], s[24:25], 4
	s_mov_b32 s40, s38
	v_add_nc_u64_e32 v[12:13], v[14:15], v[22:23]
	v_lshl_add_u64 v[10:11], v[18:19], 2, v[24:25]
	s_lshl_b64 s[10:11], s[10:11], 4
	s_lshl_b64 s[6:7], s[6:7], 2
	v_lshl_add_u64 v[8:9], v[20:21], 2, s[8:9]
	s_delay_alu instid0(VALU_DEP_2) | instskip(NEXT) | instid1(VALU_DEP_4)
	v_add_nc_u64_e32 v[10:11], s[22:23], v[10:11]
	v_add_nc_u64_e32 v[12:13], s[16:17], v[12:13]
	v_cmp_gt_i64_e64 s22, s[36:37], 0
	s_lshl_b64 s[8:9], s[20:21], 2
	s_lshl_b64 s[16:17], s[18:19], 5
	s_branch .LBB325_4
.LBB325_2:                              ;   in Loop: Header=BB325_4 Depth=1
	s_wait_xcnt 0x0
	s_or_b32 exec_lo, exec_lo, s20
.LBB325_3:                              ;   in Loop: Header=BB325_4 Depth=1
	s_add_co_i32 s34, s34, 0x10000
	s_delay_alu instid0(SALU_CYCLE_1)
	s_cmp_lt_i32 s34, s33
	s_cbranch_scc0 .LBB325_34
.LBB325_4:                              ; =>This Loop Header: Depth=1
                                        ;     Child Loop BB325_7 Depth 2
	v_dual_mov_b32 v17, 0 :: v_dual_mov_b32 v16, 0
	v_dual_mov_b32 v15, 0 :: v_dual_mov_b32 v14, 0
	s_and_not1_b32 vcc_lo, exec_lo, s22
	s_cbranch_vccnz .LBB325_11
; %bb.5:                                ;   in Loop: Header=BB325_4 Depth=1
	v_mad_nc_u64_u32 v[18:19], s6, s34, v[10:11]
	v_mad_nc_u64_u32 v[20:21], s8, s34, v[12:13]
	v_mov_b32_e32 v16, 0
	s_mov_b64 s[18:19], 0
	s_delay_alu instid0(VALU_DEP_1)
	v_dual_mov_b32 v17, v16 :: v_dual_mov_b32 v14, v16
	v_mov_b32_e32 v15, v16
	v_mad_u32 v19, s7, s34, v19
	v_mad_u32 v21, s9, s34, v21
	s_branch .LBB325_7
.LBB325_6:                              ;   in Loop: Header=BB325_7 Depth=2
	s_wait_xcnt 0x0
	s_or_b32 exec_lo, exec_lo, s20
	s_wait_loadcnt 0x0
	ds_store_b32 v29, v23
	s_wait_dscnt 0x0
	s_barrier_signal -1
	s_barrier_wait -1
	ds_load_b128 v[22:25], v31
	ds_load_2addr_b32 v[26:27], v30 offset1:16
	ds_load_b128 v[32:35], v31 offset:512
	ds_load_2addr_b32 v[44:45], v30 offset0:32 offset1:48
	ds_load_2addr_b32 v[46:47], v30 offset0:64 offset1:80
	;; [unrolled: 1-line block ×3, first 2 shown]
	ds_load_b128 v[36:39], v31 offset:16
	ds_load_2addr_b32 v[50:51], v30 offset0:128 offset1:144
	ds_load_b128 v[40:43], v31 offset:528
	s_add_nc_u64 s[18:19], s[18:19], 8
	v_add_nc_u64_e32 v[18:19], 32, v[18:19]
	v_cmp_lt_i64_e64 s20, s[18:19], s[36:37]
	v_add_nc_u64_e32 v[20:21], s[16:17], v[20:21]
	s_and_b32 vcc_lo, exec_lo, s20
	s_wait_dscnt 0x7
	v_pk_fma_f32 v[16:17], v[26:27], v[22:23], v[16:17] op_sel_hi:[1,0,1]
	s_wait_dscnt 0x6
	v_pk_fma_f32 v[14:15], v[26:27], v[32:33], v[14:15] op_sel_hi:[1,0,1]
	ds_load_2addr_b32 v[26:27], v30 offset0:160 offset1:176
	s_wait_dscnt 0x6
	v_pk_fma_f32 v[16:17], v[44:45], v[22:23], v[16:17] op_sel:[0,1,0]
	v_pk_fma_f32 v[14:15], v[44:45], v[32:33], v[14:15] op_sel:[0,1,0]
	ds_load_2addr_b32 v[22:23], v30 offset0:192 offset1:208
	v_dual_mov_b32 v32, v25 :: v_dual_mov_b32 v44, v35
	s_wait_dscnt 0x6
	v_pk_fma_f32 v[16:17], v[46:47], v[24:25], v[16:17] op_sel_hi:[1,0,1]
	v_pk_fma_f32 v[14:15], v[46:47], v[34:35], v[14:15] op_sel_hi:[1,0,1]
	ds_load_2addr_b32 v[24:25], v30 offset0:224 offset1:240
	s_wait_dscnt 0x0
	s_barrier_signal -1
	v_pk_fma_f32 v[16:17], v[48:49], v[32:33], v[16:17] op_sel_hi:[1,0,1]
	v_pk_fma_f32 v[14:15], v[48:49], v[44:45], v[14:15] op_sel_hi:[1,0,1]
	s_barrier_wait -1
	v_mov_b32_e32 v32, v43
	s_delay_alu instid0(VALU_DEP_3) | instskip(NEXT) | instid1(VALU_DEP_3)
	v_pk_fma_f32 v[16:17], v[50:51], v[36:37], v[16:17] op_sel_hi:[1,0,1]
	v_pk_fma_f32 v[14:15], v[50:51], v[40:41], v[14:15] op_sel_hi:[1,0,1]
	s_delay_alu instid0(VALU_DEP_2) | instskip(NEXT) | instid1(VALU_DEP_2)
	v_pk_fma_f32 v[16:17], v[26:27], v[36:37], v[16:17] op_sel:[0,1,0]
	v_pk_fma_f32 v[14:15], v[26:27], v[40:41], v[14:15] op_sel:[0,1,0]
	v_mov_b32_e32 v26, v39
	s_delay_alu instid0(VALU_DEP_3) | instskip(NEXT) | instid1(VALU_DEP_3)
	v_pk_fma_f32 v[16:17], v[22:23], v[38:39], v[16:17] op_sel_hi:[1,0,1]
	v_pk_fma_f32 v[14:15], v[22:23], v[42:43], v[14:15] op_sel_hi:[1,0,1]
	s_delay_alu instid0(VALU_DEP_2) | instskip(NEXT) | instid1(VALU_DEP_2)
	v_pk_fma_f32 v[16:17], v[24:25], v[26:27], v[16:17] op_sel_hi:[1,0,1]
	v_pk_fma_f32 v[14:15], v[24:25], v[32:33], v[14:15] op_sel_hi:[1,0,1]
	s_cbranch_vccz .LBB325_11
.LBB325_7:                              ;   Parent Loop BB325_4 Depth=1
                                        ; =>  This Inner Loop Header: Depth=2
	v_add_nc_u64_e32 v[22:23], s[18:19], v[2:3]
	s_delay_alu instid0(VALU_DEP_1) | instskip(SKIP_2) | instid1(SALU_CYCLE_1)
	v_cmp_gt_i64_e32 vcc_lo, s[36:37], v[22:23]
	v_mov_b32_e32 v22, 0
	s_and_b32 s21, s0, vcc_lo
	s_and_saveexec_b32 s20, s21
	s_cbranch_execz .LBB325_9
; %bb.8:                                ;   in Loop: Header=BB325_7 Depth=2
	global_load_b32 v22, v[20:21], off
.LBB325_9:                              ;   in Loop: Header=BB325_7 Depth=2
	s_wait_xcnt 0x0
	s_or_b32 exec_lo, exec_lo, s20
	v_add_nc_u64_e32 v[24:25], s[18:19], v[0:1]
	v_mov_b32_e32 v23, 0
	s_wait_loadcnt 0x0
	ds_store_b32 v28, v22
	v_cmp_gt_i64_e32 vcc_lo, s[36:37], v[24:25]
	s_and_b32 s21, vcc_lo, s1
	s_delay_alu instid0(SALU_CYCLE_1)
	s_and_saveexec_b32 s20, s21
	s_cbranch_execz .LBB325_6
; %bb.10:                               ;   in Loop: Header=BB325_7 Depth=2
	global_load_b32 v23, v[18:19], off
	s_branch .LBB325_6
.LBB325_11:                             ;   in Loop: Header=BB325_4 Depth=1
	s_mul_u64 s[18:19], s[26:27], s[34:35]
	s_and_not1_b32 vcc_lo, exec_lo, s39
	s_lshl_b64 s[18:19], s[18:19], 2
	s_delay_alu instid0(SALU_CYCLE_1)
	s_add_nc_u64 s[18:19], s[14:15], s[18:19]
	s_cbranch_vccnz .LBB325_16
; %bb.12:                               ;   in Loop: Header=BB325_4 Depth=1
	s_and_saveexec_b32 s20, s2
	s_cbranch_execz .LBB325_23
; %bb.13:                               ;   in Loop: Header=BB325_4 Depth=1
	v_lshl_add_u64 v[18:19], v[4:5], 2, s[18:19]
	s_delay_alu instid0(VALU_DEP_1)
	v_lshl_add_u64 v[20:21], v[6:7], 2, v[18:19]
	s_and_saveexec_b32 s21, s3
	s_cbranch_execnz .LBB325_17
; %bb.14:                               ;   in Loop: Header=BB325_4 Depth=1
	s_or_b32 exec_lo, exec_lo, s21
	s_and_saveexec_b32 s21, s4
	s_cbranch_execnz .LBB325_18
.LBB325_15:                             ;   in Loop: Header=BB325_4 Depth=1
	s_or_b32 exec_lo, exec_lo, s21
	s_delay_alu instid0(SALU_CYCLE_1)
	s_and_b32 exec_lo, exec_lo, s5
	s_cbranch_execnz .LBB325_19
	s_branch .LBB325_23
.LBB325_16:                             ;   in Loop: Header=BB325_4 Depth=1
	s_branch .LBB325_24
.LBB325_17:                             ;   in Loop: Header=BB325_4 Depth=1
	v_mul_f32_e32 v22, s38, v16
	global_store_b32 v[20:21], v22, off
	s_wait_xcnt 0x0
	s_or_b32 exec_lo, exec_lo, s21
	s_and_saveexec_b32 s21, s4
	s_cbranch_execz .LBB325_15
.LBB325_18:                             ;   in Loop: Header=BB325_4 Depth=1
	v_mul_f32_e32 v22, s38, v17
	global_store_b32 v[20:21], v22, off offset:64
	s_wait_xcnt 0x0
	s_or_b32 exec_lo, exec_lo, s21
	s_delay_alu instid0(SALU_CYCLE_1)
	s_and_b32 exec_lo, exec_lo, s5
	s_cbranch_execz .LBB325_23
.LBB325_19:                             ;   in Loop: Header=BB325_4 Depth=1
	v_lshl_add_u64 v[18:19], s[24:25], 2, v[18:19]
	s_delay_alu instid0(VALU_DEP_1)
	v_lshl_add_u64 v[18:19], v[6:7], 2, v[18:19]
	s_and_saveexec_b32 s21, s3
	s_cbranch_execz .LBB325_21
; %bb.20:                               ;   in Loop: Header=BB325_4 Depth=1
	v_mul_f32_e32 v20, s38, v14
	global_store_b32 v[18:19], v20, off
.LBB325_21:                             ;   in Loop: Header=BB325_4 Depth=1
	s_wait_xcnt 0x0
	s_or_b32 exec_lo, exec_lo, s21
	s_delay_alu instid0(SALU_CYCLE_1)
	s_and_b32 exec_lo, exec_lo, s4
	s_cbranch_execz .LBB325_23
; %bb.22:                               ;   in Loop: Header=BB325_4 Depth=1
	v_mul_f32_e32 v20, s38, v15
	global_store_b32 v[18:19], v20, off offset:64
.LBB325_23:                             ;   in Loop: Header=BB325_4 Depth=1
	s_wait_xcnt 0x0
	s_or_b32 exec_lo, exec_lo, s20
	s_cbranch_execnz .LBB325_3
.LBB325_24:                             ;   in Loop: Header=BB325_4 Depth=1
	s_and_saveexec_b32 s20, s2
	s_cbranch_execz .LBB325_2
; %bb.25:                               ;   in Loop: Header=BB325_4 Depth=1
	s_mul_u64 s[28:29], s[12:13], s[34:35]
	v_lshlrev_b64_e32 v[18:19], 2, v[6:7]
	v_lshl_add_u64 v[20:21], s[28:29], 2, v[8:9]
	v_lshl_add_u64 v[22:23], v[4:5], 2, s[18:19]
	s_delay_alu instid0(VALU_DEP_2) | instskip(NEXT) | instid1(VALU_DEP_2)
	v_add_nc_u64_e32 v[26:27], v[20:21], v[18:19]
	v_add_nc_u64_e32 v[24:25], v[22:23], v[18:19]
	s_and_saveexec_b32 s18, s3
	s_cbranch_execnz .LBB325_28
; %bb.26:                               ;   in Loop: Header=BB325_4 Depth=1
	s_or_b32 exec_lo, exec_lo, s18
	s_and_saveexec_b32 s18, s4
	s_cbranch_execnz .LBB325_29
.LBB325_27:                             ;   in Loop: Header=BB325_4 Depth=1
	s_or_b32 exec_lo, exec_lo, s18
	s_delay_alu instid0(SALU_CYCLE_1)
	s_and_b32 exec_lo, exec_lo, s5
	s_cbranch_execz .LBB325_2
	s_branch .LBB325_30
.LBB325_28:                             ;   in Loop: Header=BB325_4 Depth=1
	global_load_b32 v33, v[26:27], off
	v_mov_b64_e32 v[34:35], s[40:41]
	v_mov_b32_e32 v32, v16
	s_wait_loadcnt 0x0
	s_delay_alu instid0(VALU_DEP_1) | instskip(NEXT) | instid1(VALU_DEP_1)
	v_pk_mul_f32 v[32:33], v[34:35], v[32:33]
	v_add_f32_e32 v16, v32, v33
	global_store_b32 v[24:25], v16, off
	s_wait_xcnt 0x0
	s_or_b32 exec_lo, exec_lo, s18
	s_and_saveexec_b32 s18, s4
	s_cbranch_execz .LBB325_27
.LBB325_29:                             ;   in Loop: Header=BB325_4 Depth=1
	global_load_b32 v27, v[26:27], off offset:64
	s_wait_xcnt 0x0
	v_mov_b32_e32 v26, v17
	v_mov_b64_e32 v[16:17], s[40:41]
	s_wait_loadcnt 0x0
	s_delay_alu instid0(VALU_DEP_1) | instskip(NEXT) | instid1(VALU_DEP_1)
	v_pk_mul_f32 v[16:17], v[16:17], v[26:27]
	v_add_f32_e32 v16, v16, v17
	global_store_b32 v[24:25], v16, off offset:64
	s_wait_xcnt 0x0
	s_or_b32 exec_lo, exec_lo, s18
	s_delay_alu instid0(SALU_CYCLE_1)
	s_and_b32 exec_lo, exec_lo, s5
	s_cbranch_execz .LBB325_2
.LBB325_30:                             ;   in Loop: Header=BB325_4 Depth=1
	v_lshl_add_u64 v[16:17], s[10:11], 2, v[20:21]
	v_lshl_add_u64 v[22:23], s[24:25], 2, v[22:23]
	s_delay_alu instid0(VALU_DEP_2) | instskip(NEXT) | instid1(VALU_DEP_2)
	v_add_nc_u64_e32 v[20:21], v[16:17], v[18:19]
	v_add_nc_u64_e32 v[16:17], v[22:23], v[18:19]
	s_and_saveexec_b32 s18, s3
	s_cbranch_execz .LBB325_32
; %bb.31:                               ;   in Loop: Header=BB325_4 Depth=1
	global_load_b32 v19, v[20:21], off
	v_mov_b64_e32 v[22:23], s[40:41]
	v_mov_b32_e32 v18, v14
	s_wait_loadcnt 0x0
	s_delay_alu instid0(VALU_DEP_1) | instskip(NEXT) | instid1(VALU_DEP_1)
	v_pk_mul_f32 v[18:19], v[22:23], v[18:19]
	v_add_f32_e32 v14, v18, v19
	global_store_b32 v[16:17], v14, off
.LBB325_32:                             ;   in Loop: Header=BB325_4 Depth=1
	s_wait_xcnt 0x0
	s_or_b32 exec_lo, exec_lo, s18
	s_delay_alu instid0(SALU_CYCLE_1)
	s_and_b32 exec_lo, exec_lo, s4
	s_cbranch_execz .LBB325_2
; %bb.33:                               ;   in Loop: Header=BB325_4 Depth=1
	global_load_b32 v19, v[20:21], off offset:64
	v_mov_b32_e32 v18, v15
	v_mov_b64_e32 v[14:15], s[40:41]
	s_wait_loadcnt 0x0
	s_delay_alu instid0(VALU_DEP_1) | instskip(NEXT) | instid1(VALU_DEP_1)
	v_pk_mul_f32 v[14:15], v[14:15], v[18:19]
	v_add_f32_e32 v14, v14, v15
	global_store_b32 v[16:17], v14, off offset:64
	s_branch .LBB325_2
.LBB325_34:
	s_endpgm
	.section	.rodata,"a",@progbits
	.p2align	6, 0x0
	.amdhsa_kernel _ZN12_GLOBAL__N_135rocblas_gemm_batched_general_kernelIfLi16ELi16ELi32ELi32ELi8ELi32ELi8ELi8ELi32ELc78ELc78EKfS1_fEEvlllT_PT11_llS4_llS2_PT12_llPT13_lli
		.amdhsa_group_segment_fixed_size 2048
		.amdhsa_private_segment_fixed_size 0
		.amdhsa_kernarg_size 140
		.amdhsa_user_sgpr_count 2
		.amdhsa_user_sgpr_dispatch_ptr 0
		.amdhsa_user_sgpr_queue_ptr 0
		.amdhsa_user_sgpr_kernarg_segment_ptr 1
		.amdhsa_user_sgpr_dispatch_id 0
		.amdhsa_user_sgpr_kernarg_preload_length 0
		.amdhsa_user_sgpr_kernarg_preload_offset 0
		.amdhsa_user_sgpr_private_segment_size 0
		.amdhsa_wavefront_size32 1
		.amdhsa_uses_dynamic_stack 0
		.amdhsa_enable_private_segment 0
		.amdhsa_system_sgpr_workgroup_id_x 1
		.amdhsa_system_sgpr_workgroup_id_y 1
		.amdhsa_system_sgpr_workgroup_id_z 1
		.amdhsa_system_sgpr_workgroup_info 0
		.amdhsa_system_vgpr_workitem_id 1
		.amdhsa_next_free_vgpr 52
		.amdhsa_next_free_sgpr 44
		.amdhsa_named_barrier_count 0
		.amdhsa_reserve_vcc 1
		.amdhsa_float_round_mode_32 0
		.amdhsa_float_round_mode_16_64 0
		.amdhsa_float_denorm_mode_32 3
		.amdhsa_float_denorm_mode_16_64 3
		.amdhsa_fp16_overflow 0
		.amdhsa_memory_ordered 1
		.amdhsa_forward_progress 1
		.amdhsa_inst_pref_size 14
		.amdhsa_round_robin_scheduling 0
		.amdhsa_exception_fp_ieee_invalid_op 0
		.amdhsa_exception_fp_denorm_src 0
		.amdhsa_exception_fp_ieee_div_zero 0
		.amdhsa_exception_fp_ieee_overflow 0
		.amdhsa_exception_fp_ieee_underflow 0
		.amdhsa_exception_fp_ieee_inexact 0
		.amdhsa_exception_int_div_zero 0
	.end_amdhsa_kernel
	.section	.text._ZN12_GLOBAL__N_135rocblas_gemm_batched_general_kernelIfLi16ELi16ELi32ELi32ELi8ELi32ELi8ELi8ELi32ELc78ELc78EKfS1_fEEvlllT_PT11_llS4_llS2_PT12_llPT13_lli,"axG",@progbits,_ZN12_GLOBAL__N_135rocblas_gemm_batched_general_kernelIfLi16ELi16ELi32ELi32ELi8ELi32ELi8ELi8ELi32ELc78ELc78EKfS1_fEEvlllT_PT11_llS4_llS2_PT12_llPT13_lli,comdat
.Lfunc_end325:
	.size	_ZN12_GLOBAL__N_135rocblas_gemm_batched_general_kernelIfLi16ELi16ELi32ELi32ELi8ELi32ELi8ELi8ELi32ELc78ELc78EKfS1_fEEvlllT_PT11_llS4_llS2_PT12_llPT13_lli, .Lfunc_end325-_ZN12_GLOBAL__N_135rocblas_gemm_batched_general_kernelIfLi16ELi16ELi32ELi32ELi8ELi32ELi8ELi8ELi32ELc78ELc78EKfS1_fEEvlllT_PT11_llS4_llS2_PT12_llPT13_lli
                                        ; -- End function
	.set _ZN12_GLOBAL__N_135rocblas_gemm_batched_general_kernelIfLi16ELi16ELi32ELi32ELi8ELi32ELi8ELi8ELi32ELc78ELc78EKfS1_fEEvlllT_PT11_llS4_llS2_PT12_llPT13_lli.num_vgpr, 52
	.set _ZN12_GLOBAL__N_135rocblas_gemm_batched_general_kernelIfLi16ELi16ELi32ELi32ELi8ELi32ELi8ELi8ELi32ELc78ELc78EKfS1_fEEvlllT_PT11_llS4_llS2_PT12_llPT13_lli.num_agpr, 0
	.set _ZN12_GLOBAL__N_135rocblas_gemm_batched_general_kernelIfLi16ELi16ELi32ELi32ELi8ELi32ELi8ELi8ELi32ELc78ELc78EKfS1_fEEvlllT_PT11_llS4_llS2_PT12_llPT13_lli.numbered_sgpr, 44
	.set _ZN12_GLOBAL__N_135rocblas_gemm_batched_general_kernelIfLi16ELi16ELi32ELi32ELi8ELi32ELi8ELi8ELi32ELc78ELc78EKfS1_fEEvlllT_PT11_llS4_llS2_PT12_llPT13_lli.num_named_barrier, 0
	.set _ZN12_GLOBAL__N_135rocblas_gemm_batched_general_kernelIfLi16ELi16ELi32ELi32ELi8ELi32ELi8ELi8ELi32ELc78ELc78EKfS1_fEEvlllT_PT11_llS4_llS2_PT12_llPT13_lli.private_seg_size, 0
	.set _ZN12_GLOBAL__N_135rocblas_gemm_batched_general_kernelIfLi16ELi16ELi32ELi32ELi8ELi32ELi8ELi8ELi32ELc78ELc78EKfS1_fEEvlllT_PT11_llS4_llS2_PT12_llPT13_lli.uses_vcc, 1
	.set _ZN12_GLOBAL__N_135rocblas_gemm_batched_general_kernelIfLi16ELi16ELi32ELi32ELi8ELi32ELi8ELi8ELi32ELc78ELc78EKfS1_fEEvlllT_PT11_llS4_llS2_PT12_llPT13_lli.uses_flat_scratch, 0
	.set _ZN12_GLOBAL__N_135rocblas_gemm_batched_general_kernelIfLi16ELi16ELi32ELi32ELi8ELi32ELi8ELi8ELi32ELc78ELc78EKfS1_fEEvlllT_PT11_llS4_llS2_PT12_llPT13_lli.has_dyn_sized_stack, 0
	.set _ZN12_GLOBAL__N_135rocblas_gemm_batched_general_kernelIfLi16ELi16ELi32ELi32ELi8ELi32ELi8ELi8ELi32ELc78ELc78EKfS1_fEEvlllT_PT11_llS4_llS2_PT12_llPT13_lli.has_recursion, 0
	.set _ZN12_GLOBAL__N_135rocblas_gemm_batched_general_kernelIfLi16ELi16ELi32ELi32ELi8ELi32ELi8ELi8ELi32ELc78ELc78EKfS1_fEEvlllT_PT11_llS4_llS2_PT12_llPT13_lli.has_indirect_call, 0
	.section	.AMDGPU.csdata,"",@progbits
; Kernel info:
; codeLenInByte = 1768
; TotalNumSgprs: 46
; NumVgprs: 52
; ScratchSize: 0
; MemoryBound: 0
; FloatMode: 240
; IeeeMode: 1
; LDSByteSize: 2048 bytes/workgroup (compile time only)
; SGPRBlocks: 0
; VGPRBlocks: 3
; NumSGPRsForWavesPerEU: 46
; NumVGPRsForWavesPerEU: 52
; NamedBarCnt: 0
; Occupancy: 16
; WaveLimiterHint : 0
; COMPUTE_PGM_RSRC2:SCRATCH_EN: 0
; COMPUTE_PGM_RSRC2:USER_SGPR: 2
; COMPUTE_PGM_RSRC2:TRAP_HANDLER: 0
; COMPUTE_PGM_RSRC2:TGID_X_EN: 1
; COMPUTE_PGM_RSRC2:TGID_Y_EN: 1
; COMPUTE_PGM_RSRC2:TGID_Z_EN: 1
; COMPUTE_PGM_RSRC2:TIDIG_COMP_CNT: 1
	.section	.text._ZN12_GLOBAL__N_135rocblas_gemm_batched_general_kernelIfLi16ELi16ELi32ELi32ELi8ELi32ELi8ELi8ELi32ELc84ELc78EKfS1_fEEvlllT_PT11_llS4_llS2_PT12_llPT13_lli,"axG",@progbits,_ZN12_GLOBAL__N_135rocblas_gemm_batched_general_kernelIfLi16ELi16ELi32ELi32ELi8ELi32ELi8ELi8ELi32ELc84ELc78EKfS1_fEEvlllT_PT11_llS4_llS2_PT12_llPT13_lli,comdat
	.globl	_ZN12_GLOBAL__N_135rocblas_gemm_batched_general_kernelIfLi16ELi16ELi32ELi32ELi8ELi32ELi8ELi8ELi32ELc84ELc78EKfS1_fEEvlllT_PT11_llS4_llS2_PT12_llPT13_lli ; -- Begin function _ZN12_GLOBAL__N_135rocblas_gemm_batched_general_kernelIfLi16ELi16ELi32ELi32ELi8ELi32ELi8ELi8ELi32ELc84ELc78EKfS1_fEEvlllT_PT11_llS4_llS2_PT12_llPT13_lli
	.p2align	8
	.type	_ZN12_GLOBAL__N_135rocblas_gemm_batched_general_kernelIfLi16ELi16ELi32ELi32ELi8ELi32ELi8ELi8ELi32ELc84ELc78EKfS1_fEEvlllT_PT11_llS4_llS2_PT12_llPT13_lli,@function
_ZN12_GLOBAL__N_135rocblas_gemm_batched_general_kernelIfLi16ELi16ELi32ELi32ELi8ELi32ELi8ELi8ELi32ELc84ELc78EKfS1_fEEvlllT_PT11_llS4_llS2_PT12_llPT13_lli: ; @_ZN12_GLOBAL__N_135rocblas_gemm_batched_general_kernelIfLi16ELi16ELi32ELi32ELi8ELi32ELi8ELi8ELi32ELc84ELc78EKfS1_fEEvlllT_PT11_llS4_llS2_PT12_llPT13_lli
; %bb.0:
	s_load_b32 s33, s[0:1], 0x88
	s_bfe_u32 s2, ttmp6, 0x40014
	s_lshr_b32 s3, ttmp7, 16
	s_add_co_i32 s2, s2, 1
	s_bfe_u32 s5, ttmp6, 0x40008
	s_mul_i32 s4, s3, s2
	s_getreg_b32 s2, hwreg(HW_REG_IB_STS2, 6, 4)
	s_add_co_i32 s5, s5, s4
	s_cmp_eq_u32 s2, 0
	s_mov_b32 s35, 0
	s_cselect_b32 s34, s3, s5
	s_wait_kmcnt 0x0
	s_cmp_ge_i32 s34, s33
	s_cbranch_scc1 .LBB326_34
; %bb.1:
	v_bfe_u32 v8, v0, 10, 10
	v_and_b32_e32 v10, 0x3ff, v0
	s_clause 0x1
	s_load_b256 s[16:23], s[0:1], 0x20
	s_load_b128 s[4:7], s[0:1], 0x40
	s_bfe_u32 s3, ttmp6, 0x4000c
	s_bfe_u32 s29, ttmp6, 0x40010
	s_add_co_i32 s3, s3, 1
	s_and_b32 s30, ttmp7, 0xffff
	s_add_co_i32 s29, s29, 1
	v_lshl_add_u32 v1, v8, 4, v10
	v_mov_b32_e32 v9, 0
	s_and_b32 s28, ttmp6, 15
	s_mul_i32 s3, ttmp9, s3
	s_mul_i32 s29, s30, s29
	s_bfe_u32 s31, ttmp6, 0x40004
	s_add_co_i32 s28, s28, s3
	s_add_co_i32 s31, s31, s29
	s_clause 0x1
	s_load_b128 s[24:27], s[0:1], 0x78
	s_load_b256 s[8:15], s[0:1], 0x58
	s_cmp_eq_u32 s2, 0
	v_dual_lshrrev_b32 v6, 3, v1 :: v_dual_bitop2_b32 v4, 31, v1 bitop3:0x40
	v_mov_b32_e32 v7, v9
	s_cselect_b32 s2, ttmp9, s28
	s_cselect_b32 s28, s30, s31
	s_ashr_i32 s3, s2, 31
	s_lshl_b32 s36, s28, 5
	s_mov_b32 s37, s35
	s_lshl_b64 s[2:3], s[2:3], 5
	v_add_nc_u64_e32 v[12:13], s[36:37], v[6:7]
	v_dual_mov_b32 v15, s3 :: v_dual_bitop2_b32 v14, s2, v4 bitop3:0x54
	v_add_nc_u64_e32 v[16:17], s[36:37], v[8:9]
	s_clause 0x1
	s_load_b128 s[28:31], s[0:1], 0x0
	s_load_b96 s[36:38], s[0:1], 0x10
	v_dual_mov_b32 v11, v9 :: v_dual_bitop2_b32 v0, 7, v0 bitop3:0x40
	s_wait_kmcnt 0x0
	v_mul_u64_e32 v[18:19], s[4:5], v[12:13]
	v_mul_u64_e32 v[20:21], s[18:19], v[14:15]
	;; [unrolled: 1-line block ×3, first 2 shown]
	v_dual_lshlrev_b32 v25, 2, v4 :: v_dual_lshlrev_b32 v30, 2, v10
	v_mul_u64_e32 v[4:5], s[24:25], v[16:17]
	v_dual_lshrrev_b32 v2, 5, v1 :: v_dual_lshlrev_b32 v24, 2, v0
	s_load_b32 s41, s[0:1], 0x50
	v_lshl_add_u32 v31, v8, 5, 0x400
	v_dual_mov_b32 v3, v9 :: v_dual_mov_b32 v1, v9
	s_delay_alu instid0(VALU_DEP_3)
	v_lshl_or_b32 v26, v6, 5, v24
	v_add_nc_u64_e32 v[6:7], s[2:3], v[10:11]
	v_lshl_or_b32 v28, v2, 7, v25
	v_dual_mov_b32 v25, v9 :: v_dual_lshlrev_b32 v8, 2, v2
	s_wait_xcnt 0x0
	v_cmp_gt_i64_e64 s1, s[30:31], v[12:13]
	v_add_nc_u64_e32 v[12:13], 16, v[16:17]
	v_cmp_gt_i64_e64 s0, s[28:29], v[14:15]
	v_add_nc_u64_e32 v[10:11], 16, v[6:7]
	v_cmp_gt_i64_e64 s2, s[30:31], v[16:17]
	v_cmp_gt_i64_e64 s3, s[28:29], v[6:7]
	v_add_nc_u32_e32 v29, 0x400, v26
	s_mov_b32 s40, s38
	v_cmp_gt_i64_e64 s5, s[30:31], v[12:13]
	v_cmp_gt_i64_e64 s4, s[28:29], v[10:11]
	s_wait_kmcnt 0x0
	s_cmp_eq_f32 s41, 0
	v_lshl_add_u64 v[10:11], v[18:19], 2, v[24:25]
	v_lshl_add_u64 v[12:13], v[20:21], 2, v[8:9]
	;; [unrolled: 1-line block ×3, first 2 shown]
	s_cselect_b32 s39, -1, 0
	s_lshl_b64 s[18:19], s[24:25], 4
	v_add_nc_u64_e32 v[10:11], s[22:23], v[10:11]
	v_add_nc_u64_e32 v[12:13], s[16:17], v[12:13]
	v_cmp_gt_i64_e64 s22, s[36:37], 0
	s_lshl_b64 s[8:9], s[10:11], 4
	s_lshl_b64 s[6:7], s[6:7], 2
	;; [unrolled: 1-line block ×3, first 2 shown]
	s_branch .LBB326_4
.LBB326_2:                              ;   in Loop: Header=BB326_4 Depth=1
	s_wait_xcnt 0x0
	s_or_b32 exec_lo, exec_lo, s20
.LBB326_3:                              ;   in Loop: Header=BB326_4 Depth=1
	s_add_co_i32 s34, s34, 0x10000
	s_delay_alu instid0(SALU_CYCLE_1)
	s_cmp_lt_i32 s34, s33
	s_cbranch_scc0 .LBB326_34
.LBB326_4:                              ; =>This Loop Header: Depth=1
                                        ;     Child Loop BB326_7 Depth 2
	v_dual_mov_b32 v17, 0 :: v_dual_mov_b32 v16, 0
	v_dual_mov_b32 v15, 0 :: v_dual_mov_b32 v14, 0
	s_and_not1_b32 vcc_lo, exec_lo, s22
	s_cbranch_vccnz .LBB326_11
; %bb.5:                                ;   in Loop: Header=BB326_4 Depth=1
	v_mad_nc_u64_u32 v[18:19], s6, s34, v[10:11]
	v_mad_nc_u64_u32 v[20:21], s10, s34, v[12:13]
	v_mov_b32_e32 v16, 0
	s_mov_b64 s[16:17], 0
	s_delay_alu instid0(VALU_DEP_1)
	v_dual_mov_b32 v17, v16 :: v_dual_mov_b32 v14, v16
	v_mov_b32_e32 v15, v16
	v_mad_u32 v19, s7, s34, v19
	v_mad_u32 v21, s11, s34, v21
	s_branch .LBB326_7
.LBB326_6:                              ;   in Loop: Header=BB326_7 Depth=2
	s_wait_xcnt 0x0
	s_or_b32 exec_lo, exec_lo, s20
	s_wait_loadcnt 0x0
	ds_store_b32 v29, v23
	s_wait_dscnt 0x0
	s_barrier_signal -1
	s_barrier_wait -1
	ds_load_b128 v[22:25], v31
	ds_load_2addr_b32 v[26:27], v30 offset1:16
	ds_load_b128 v[32:35], v31 offset:512
	ds_load_2addr_b32 v[44:45], v30 offset0:32 offset1:48
	ds_load_2addr_b32 v[46:47], v30 offset0:64 offset1:80
	;; [unrolled: 1-line block ×3, first 2 shown]
	ds_load_b128 v[36:39], v31 offset:16
	ds_load_2addr_b32 v[50:51], v30 offset0:128 offset1:144
	ds_load_b128 v[40:43], v31 offset:528
	s_add_nc_u64 s[16:17], s[16:17], 8
	v_add_nc_u64_e32 v[18:19], 32, v[18:19]
	v_cmp_lt_i64_e64 s20, s[16:17], s[36:37]
	v_add_nc_u64_e32 v[20:21], 32, v[20:21]
	s_and_b32 vcc_lo, exec_lo, s20
	s_wait_dscnt 0x7
	v_pk_fma_f32 v[16:17], v[26:27], v[22:23], v[16:17] op_sel_hi:[1,0,1]
	s_wait_dscnt 0x6
	v_pk_fma_f32 v[14:15], v[26:27], v[32:33], v[14:15] op_sel_hi:[1,0,1]
	ds_load_2addr_b32 v[26:27], v30 offset0:160 offset1:176
	s_wait_dscnt 0x6
	v_pk_fma_f32 v[16:17], v[44:45], v[22:23], v[16:17] op_sel:[0,1,0]
	v_pk_fma_f32 v[14:15], v[44:45], v[32:33], v[14:15] op_sel:[0,1,0]
	ds_load_2addr_b32 v[22:23], v30 offset0:192 offset1:208
	v_dual_mov_b32 v32, v25 :: v_dual_mov_b32 v44, v35
	s_wait_dscnt 0x6
	v_pk_fma_f32 v[16:17], v[46:47], v[24:25], v[16:17] op_sel_hi:[1,0,1]
	v_pk_fma_f32 v[14:15], v[46:47], v[34:35], v[14:15] op_sel_hi:[1,0,1]
	ds_load_2addr_b32 v[24:25], v30 offset0:224 offset1:240
	s_wait_dscnt 0x0
	s_barrier_signal -1
	v_pk_fma_f32 v[16:17], v[48:49], v[32:33], v[16:17] op_sel_hi:[1,0,1]
	v_pk_fma_f32 v[14:15], v[48:49], v[44:45], v[14:15] op_sel_hi:[1,0,1]
	s_barrier_wait -1
	v_mov_b32_e32 v32, v43
	s_delay_alu instid0(VALU_DEP_3) | instskip(NEXT) | instid1(VALU_DEP_3)
	v_pk_fma_f32 v[16:17], v[50:51], v[36:37], v[16:17] op_sel_hi:[1,0,1]
	v_pk_fma_f32 v[14:15], v[50:51], v[40:41], v[14:15] op_sel_hi:[1,0,1]
	s_delay_alu instid0(VALU_DEP_2) | instskip(NEXT) | instid1(VALU_DEP_2)
	v_pk_fma_f32 v[16:17], v[26:27], v[36:37], v[16:17] op_sel:[0,1,0]
	v_pk_fma_f32 v[14:15], v[26:27], v[40:41], v[14:15] op_sel:[0,1,0]
	v_mov_b32_e32 v26, v39
	s_delay_alu instid0(VALU_DEP_3) | instskip(NEXT) | instid1(VALU_DEP_3)
	v_pk_fma_f32 v[16:17], v[22:23], v[38:39], v[16:17] op_sel_hi:[1,0,1]
	v_pk_fma_f32 v[14:15], v[22:23], v[42:43], v[14:15] op_sel_hi:[1,0,1]
	s_delay_alu instid0(VALU_DEP_2) | instskip(NEXT) | instid1(VALU_DEP_2)
	v_pk_fma_f32 v[16:17], v[24:25], v[26:27], v[16:17] op_sel_hi:[1,0,1]
	v_pk_fma_f32 v[14:15], v[24:25], v[32:33], v[14:15] op_sel_hi:[1,0,1]
	s_cbranch_vccz .LBB326_11
.LBB326_7:                              ;   Parent Loop BB326_4 Depth=1
                                        ; =>  This Inner Loop Header: Depth=2
	v_add_nc_u64_e32 v[22:23], s[16:17], v[2:3]
	s_delay_alu instid0(VALU_DEP_1) | instskip(SKIP_2) | instid1(SALU_CYCLE_1)
	v_cmp_gt_i64_e32 vcc_lo, s[36:37], v[22:23]
	v_mov_b32_e32 v22, 0
	s_and_b32 s21, s0, vcc_lo
	s_and_saveexec_b32 s20, s21
	s_cbranch_execz .LBB326_9
; %bb.8:                                ;   in Loop: Header=BB326_7 Depth=2
	global_load_b32 v22, v[20:21], off
.LBB326_9:                              ;   in Loop: Header=BB326_7 Depth=2
	s_wait_xcnt 0x0
	s_or_b32 exec_lo, exec_lo, s20
	v_add_nc_u64_e32 v[24:25], s[16:17], v[0:1]
	v_mov_b32_e32 v23, 0
	s_wait_loadcnt 0x0
	ds_store_b32 v28, v22
	v_cmp_gt_i64_e32 vcc_lo, s[36:37], v[24:25]
	s_and_b32 s21, vcc_lo, s1
	s_delay_alu instid0(SALU_CYCLE_1)
	s_and_saveexec_b32 s20, s21
	s_cbranch_execz .LBB326_6
; %bb.10:                               ;   in Loop: Header=BB326_7 Depth=2
	global_load_b32 v23, v[18:19], off
	s_branch .LBB326_6
.LBB326_11:                             ;   in Loop: Header=BB326_4 Depth=1
	s_mul_u64 s[16:17], s[26:27], s[34:35]
	s_and_not1_b32 vcc_lo, exec_lo, s39
	s_lshl_b64 s[16:17], s[16:17], 2
	s_delay_alu instid0(SALU_CYCLE_1)
	s_add_nc_u64 s[16:17], s[14:15], s[16:17]
	s_cbranch_vccnz .LBB326_16
; %bb.12:                               ;   in Loop: Header=BB326_4 Depth=1
	s_and_saveexec_b32 s20, s2
	s_cbranch_execz .LBB326_23
; %bb.13:                               ;   in Loop: Header=BB326_4 Depth=1
	v_lshl_add_u64 v[18:19], v[4:5], 2, s[16:17]
	s_delay_alu instid0(VALU_DEP_1)
	v_lshl_add_u64 v[20:21], v[6:7], 2, v[18:19]
	s_and_saveexec_b32 s21, s3
	s_cbranch_execnz .LBB326_17
; %bb.14:                               ;   in Loop: Header=BB326_4 Depth=1
	s_or_b32 exec_lo, exec_lo, s21
	s_and_saveexec_b32 s21, s4
	s_cbranch_execnz .LBB326_18
.LBB326_15:                             ;   in Loop: Header=BB326_4 Depth=1
	s_or_b32 exec_lo, exec_lo, s21
	s_delay_alu instid0(SALU_CYCLE_1)
	s_and_b32 exec_lo, exec_lo, s5
	s_cbranch_execnz .LBB326_19
	s_branch .LBB326_23
.LBB326_16:                             ;   in Loop: Header=BB326_4 Depth=1
	s_branch .LBB326_24
.LBB326_17:                             ;   in Loop: Header=BB326_4 Depth=1
	v_mul_f32_e32 v22, s38, v16
	global_store_b32 v[20:21], v22, off
	s_wait_xcnt 0x0
	s_or_b32 exec_lo, exec_lo, s21
	s_and_saveexec_b32 s21, s4
	s_cbranch_execz .LBB326_15
.LBB326_18:                             ;   in Loop: Header=BB326_4 Depth=1
	v_mul_f32_e32 v22, s38, v17
	global_store_b32 v[20:21], v22, off offset:64
	s_wait_xcnt 0x0
	s_or_b32 exec_lo, exec_lo, s21
	s_delay_alu instid0(SALU_CYCLE_1)
	s_and_b32 exec_lo, exec_lo, s5
	s_cbranch_execz .LBB326_23
.LBB326_19:                             ;   in Loop: Header=BB326_4 Depth=1
	v_lshl_add_u64 v[18:19], s[18:19], 2, v[18:19]
	s_delay_alu instid0(VALU_DEP_1)
	v_lshl_add_u64 v[18:19], v[6:7], 2, v[18:19]
	s_and_saveexec_b32 s21, s3
	s_cbranch_execz .LBB326_21
; %bb.20:                               ;   in Loop: Header=BB326_4 Depth=1
	v_mul_f32_e32 v20, s38, v14
	global_store_b32 v[18:19], v20, off
.LBB326_21:                             ;   in Loop: Header=BB326_4 Depth=1
	s_wait_xcnt 0x0
	s_or_b32 exec_lo, exec_lo, s21
	s_delay_alu instid0(SALU_CYCLE_1)
	s_and_b32 exec_lo, exec_lo, s4
	s_cbranch_execz .LBB326_23
; %bb.22:                               ;   in Loop: Header=BB326_4 Depth=1
	v_mul_f32_e32 v20, s38, v15
	global_store_b32 v[18:19], v20, off offset:64
.LBB326_23:                             ;   in Loop: Header=BB326_4 Depth=1
	s_wait_xcnt 0x0
	s_or_b32 exec_lo, exec_lo, s20
	s_cbranch_execnz .LBB326_3
.LBB326_24:                             ;   in Loop: Header=BB326_4 Depth=1
	s_and_saveexec_b32 s20, s2
	s_cbranch_execz .LBB326_2
; %bb.25:                               ;   in Loop: Header=BB326_4 Depth=1
	s_mul_u64 s[24:25], s[12:13], s[34:35]
	v_lshlrev_b64_e32 v[18:19], 2, v[6:7]
	v_lshl_add_u64 v[20:21], s[24:25], 2, v[8:9]
	v_lshl_add_u64 v[22:23], v[4:5], 2, s[16:17]
	s_delay_alu instid0(VALU_DEP_2) | instskip(NEXT) | instid1(VALU_DEP_2)
	v_add_nc_u64_e32 v[26:27], v[20:21], v[18:19]
	v_add_nc_u64_e32 v[24:25], v[22:23], v[18:19]
	s_and_saveexec_b32 s16, s3
	s_cbranch_execnz .LBB326_28
; %bb.26:                               ;   in Loop: Header=BB326_4 Depth=1
	s_or_b32 exec_lo, exec_lo, s16
	s_and_saveexec_b32 s16, s4
	s_cbranch_execnz .LBB326_29
.LBB326_27:                             ;   in Loop: Header=BB326_4 Depth=1
	s_or_b32 exec_lo, exec_lo, s16
	s_delay_alu instid0(SALU_CYCLE_1)
	s_and_b32 exec_lo, exec_lo, s5
	s_cbranch_execz .LBB326_2
	s_branch .LBB326_30
.LBB326_28:                             ;   in Loop: Header=BB326_4 Depth=1
	global_load_b32 v33, v[26:27], off
	v_mov_b64_e32 v[34:35], s[40:41]
	v_mov_b32_e32 v32, v16
	s_wait_loadcnt 0x0
	s_delay_alu instid0(VALU_DEP_1) | instskip(NEXT) | instid1(VALU_DEP_1)
	v_pk_mul_f32 v[32:33], v[34:35], v[32:33]
	v_add_f32_e32 v16, v32, v33
	global_store_b32 v[24:25], v16, off
	s_wait_xcnt 0x0
	s_or_b32 exec_lo, exec_lo, s16
	s_and_saveexec_b32 s16, s4
	s_cbranch_execz .LBB326_27
.LBB326_29:                             ;   in Loop: Header=BB326_4 Depth=1
	global_load_b32 v27, v[26:27], off offset:64
	s_wait_xcnt 0x0
	v_mov_b32_e32 v26, v17
	v_mov_b64_e32 v[16:17], s[40:41]
	s_wait_loadcnt 0x0
	s_delay_alu instid0(VALU_DEP_1) | instskip(NEXT) | instid1(VALU_DEP_1)
	v_pk_mul_f32 v[16:17], v[16:17], v[26:27]
	v_add_f32_e32 v16, v16, v17
	global_store_b32 v[24:25], v16, off offset:64
	s_wait_xcnt 0x0
	s_or_b32 exec_lo, exec_lo, s16
	s_delay_alu instid0(SALU_CYCLE_1)
	s_and_b32 exec_lo, exec_lo, s5
	s_cbranch_execz .LBB326_2
.LBB326_30:                             ;   in Loop: Header=BB326_4 Depth=1
	v_lshl_add_u64 v[16:17], s[8:9], 2, v[20:21]
	v_lshl_add_u64 v[22:23], s[18:19], 2, v[22:23]
	s_delay_alu instid0(VALU_DEP_2) | instskip(NEXT) | instid1(VALU_DEP_2)
	v_add_nc_u64_e32 v[20:21], v[16:17], v[18:19]
	v_add_nc_u64_e32 v[16:17], v[22:23], v[18:19]
	s_and_saveexec_b32 s16, s3
	s_cbranch_execz .LBB326_32
; %bb.31:                               ;   in Loop: Header=BB326_4 Depth=1
	global_load_b32 v19, v[20:21], off
	v_mov_b64_e32 v[22:23], s[40:41]
	v_mov_b32_e32 v18, v14
	s_wait_loadcnt 0x0
	s_delay_alu instid0(VALU_DEP_1) | instskip(NEXT) | instid1(VALU_DEP_1)
	v_pk_mul_f32 v[18:19], v[22:23], v[18:19]
	v_add_f32_e32 v14, v18, v19
	global_store_b32 v[16:17], v14, off
.LBB326_32:                             ;   in Loop: Header=BB326_4 Depth=1
	s_wait_xcnt 0x0
	s_or_b32 exec_lo, exec_lo, s16
	s_delay_alu instid0(SALU_CYCLE_1)
	s_and_b32 exec_lo, exec_lo, s4
	s_cbranch_execz .LBB326_2
; %bb.33:                               ;   in Loop: Header=BB326_4 Depth=1
	global_load_b32 v19, v[20:21], off offset:64
	v_mov_b32_e32 v18, v15
	v_mov_b64_e32 v[14:15], s[40:41]
	s_wait_loadcnt 0x0
	s_delay_alu instid0(VALU_DEP_1) | instskip(NEXT) | instid1(VALU_DEP_1)
	v_pk_mul_f32 v[14:15], v[14:15], v[18:19]
	v_add_f32_e32 v14, v14, v15
	global_store_b32 v[16:17], v14, off offset:64
	s_branch .LBB326_2
.LBB326_34:
	s_endpgm
	.section	.rodata,"a",@progbits
	.p2align	6, 0x0
	.amdhsa_kernel _ZN12_GLOBAL__N_135rocblas_gemm_batched_general_kernelIfLi16ELi16ELi32ELi32ELi8ELi32ELi8ELi8ELi32ELc84ELc78EKfS1_fEEvlllT_PT11_llS4_llS2_PT12_llPT13_lli
		.amdhsa_group_segment_fixed_size 2048
		.amdhsa_private_segment_fixed_size 0
		.amdhsa_kernarg_size 140
		.amdhsa_user_sgpr_count 2
		.amdhsa_user_sgpr_dispatch_ptr 0
		.amdhsa_user_sgpr_queue_ptr 0
		.amdhsa_user_sgpr_kernarg_segment_ptr 1
		.amdhsa_user_sgpr_dispatch_id 0
		.amdhsa_user_sgpr_kernarg_preload_length 0
		.amdhsa_user_sgpr_kernarg_preload_offset 0
		.amdhsa_user_sgpr_private_segment_size 0
		.amdhsa_wavefront_size32 1
		.amdhsa_uses_dynamic_stack 0
		.amdhsa_enable_private_segment 0
		.amdhsa_system_sgpr_workgroup_id_x 1
		.amdhsa_system_sgpr_workgroup_id_y 1
		.amdhsa_system_sgpr_workgroup_id_z 1
		.amdhsa_system_sgpr_workgroup_info 0
		.amdhsa_system_vgpr_workitem_id 1
		.amdhsa_next_free_vgpr 52
		.amdhsa_next_free_sgpr 42
		.amdhsa_named_barrier_count 0
		.amdhsa_reserve_vcc 1
		.amdhsa_float_round_mode_32 0
		.amdhsa_float_round_mode_16_64 0
		.amdhsa_float_denorm_mode_32 3
		.amdhsa_float_denorm_mode_16_64 3
		.amdhsa_fp16_overflow 0
		.amdhsa_memory_ordered 1
		.amdhsa_forward_progress 1
		.amdhsa_inst_pref_size 14
		.amdhsa_round_robin_scheduling 0
		.amdhsa_exception_fp_ieee_invalid_op 0
		.amdhsa_exception_fp_denorm_src 0
		.amdhsa_exception_fp_ieee_div_zero 0
		.amdhsa_exception_fp_ieee_overflow 0
		.amdhsa_exception_fp_ieee_underflow 0
		.amdhsa_exception_fp_ieee_inexact 0
		.amdhsa_exception_int_div_zero 0
	.end_amdhsa_kernel
	.section	.text._ZN12_GLOBAL__N_135rocblas_gemm_batched_general_kernelIfLi16ELi16ELi32ELi32ELi8ELi32ELi8ELi8ELi32ELc84ELc78EKfS1_fEEvlllT_PT11_llS4_llS2_PT12_llPT13_lli,"axG",@progbits,_ZN12_GLOBAL__N_135rocblas_gemm_batched_general_kernelIfLi16ELi16ELi32ELi32ELi8ELi32ELi8ELi8ELi32ELc84ELc78EKfS1_fEEvlllT_PT11_llS4_llS2_PT12_llPT13_lli,comdat
.Lfunc_end326:
	.size	_ZN12_GLOBAL__N_135rocblas_gemm_batched_general_kernelIfLi16ELi16ELi32ELi32ELi8ELi32ELi8ELi8ELi32ELc84ELc78EKfS1_fEEvlllT_PT11_llS4_llS2_PT12_llPT13_lli, .Lfunc_end326-_ZN12_GLOBAL__N_135rocblas_gemm_batched_general_kernelIfLi16ELi16ELi32ELi32ELi8ELi32ELi8ELi8ELi32ELc84ELc78EKfS1_fEEvlllT_PT11_llS4_llS2_PT12_llPT13_lli
                                        ; -- End function
	.set _ZN12_GLOBAL__N_135rocblas_gemm_batched_general_kernelIfLi16ELi16ELi32ELi32ELi8ELi32ELi8ELi8ELi32ELc84ELc78EKfS1_fEEvlllT_PT11_llS4_llS2_PT12_llPT13_lli.num_vgpr, 52
	.set _ZN12_GLOBAL__N_135rocblas_gemm_batched_general_kernelIfLi16ELi16ELi32ELi32ELi8ELi32ELi8ELi8ELi32ELc84ELc78EKfS1_fEEvlllT_PT11_llS4_llS2_PT12_llPT13_lli.num_agpr, 0
	.set _ZN12_GLOBAL__N_135rocblas_gemm_batched_general_kernelIfLi16ELi16ELi32ELi32ELi8ELi32ELi8ELi8ELi32ELc84ELc78EKfS1_fEEvlllT_PT11_llS4_llS2_PT12_llPT13_lli.numbered_sgpr, 42
	.set _ZN12_GLOBAL__N_135rocblas_gemm_batched_general_kernelIfLi16ELi16ELi32ELi32ELi8ELi32ELi8ELi8ELi32ELc84ELc78EKfS1_fEEvlllT_PT11_llS4_llS2_PT12_llPT13_lli.num_named_barrier, 0
	.set _ZN12_GLOBAL__N_135rocblas_gemm_batched_general_kernelIfLi16ELi16ELi32ELi32ELi8ELi32ELi8ELi8ELi32ELc84ELc78EKfS1_fEEvlllT_PT11_llS4_llS2_PT12_llPT13_lli.private_seg_size, 0
	.set _ZN12_GLOBAL__N_135rocblas_gemm_batched_general_kernelIfLi16ELi16ELi32ELi32ELi8ELi32ELi8ELi8ELi32ELc84ELc78EKfS1_fEEvlllT_PT11_llS4_llS2_PT12_llPT13_lli.uses_vcc, 1
	.set _ZN12_GLOBAL__N_135rocblas_gemm_batched_general_kernelIfLi16ELi16ELi32ELi32ELi8ELi32ELi8ELi8ELi32ELc84ELc78EKfS1_fEEvlllT_PT11_llS4_llS2_PT12_llPT13_lli.uses_flat_scratch, 0
	.set _ZN12_GLOBAL__N_135rocblas_gemm_batched_general_kernelIfLi16ELi16ELi32ELi32ELi8ELi32ELi8ELi8ELi32ELc84ELc78EKfS1_fEEvlllT_PT11_llS4_llS2_PT12_llPT13_lli.has_dyn_sized_stack, 0
	.set _ZN12_GLOBAL__N_135rocblas_gemm_batched_general_kernelIfLi16ELi16ELi32ELi32ELi8ELi32ELi8ELi8ELi32ELc84ELc78EKfS1_fEEvlllT_PT11_llS4_llS2_PT12_llPT13_lli.has_recursion, 0
	.set _ZN12_GLOBAL__N_135rocblas_gemm_batched_general_kernelIfLi16ELi16ELi32ELi32ELi8ELi32ELi8ELi8ELi32ELc84ELc78EKfS1_fEEvlllT_PT11_llS4_llS2_PT12_llPT13_lli.has_indirect_call, 0
	.section	.AMDGPU.csdata,"",@progbits
; Kernel info:
; codeLenInByte = 1760
; TotalNumSgprs: 44
; NumVgprs: 52
; ScratchSize: 0
; MemoryBound: 0
; FloatMode: 240
; IeeeMode: 1
; LDSByteSize: 2048 bytes/workgroup (compile time only)
; SGPRBlocks: 0
; VGPRBlocks: 3
; NumSGPRsForWavesPerEU: 44
; NumVGPRsForWavesPerEU: 52
; NamedBarCnt: 0
; Occupancy: 16
; WaveLimiterHint : 0
; COMPUTE_PGM_RSRC2:SCRATCH_EN: 0
; COMPUTE_PGM_RSRC2:USER_SGPR: 2
; COMPUTE_PGM_RSRC2:TRAP_HANDLER: 0
; COMPUTE_PGM_RSRC2:TGID_X_EN: 1
; COMPUTE_PGM_RSRC2:TGID_Y_EN: 1
; COMPUTE_PGM_RSRC2:TGID_Z_EN: 1
; COMPUTE_PGM_RSRC2:TIDIG_COMP_CNT: 1
	.section	.text._ZN12_GLOBAL__N_135rocblas_gemm_batched_general_kernelIfLi16ELi16ELi32ELi32ELi8ELi32ELi8ELi8ELi32ELc78ELc84EKfS1_fEEvlllT_PT11_llS4_llS2_PT12_llPT13_lli,"axG",@progbits,_ZN12_GLOBAL__N_135rocblas_gemm_batched_general_kernelIfLi16ELi16ELi32ELi32ELi8ELi32ELi8ELi8ELi32ELc78ELc84EKfS1_fEEvlllT_PT11_llS4_llS2_PT12_llPT13_lli,comdat
	.globl	_ZN12_GLOBAL__N_135rocblas_gemm_batched_general_kernelIfLi16ELi16ELi32ELi32ELi8ELi32ELi8ELi8ELi32ELc78ELc84EKfS1_fEEvlllT_PT11_llS4_llS2_PT12_llPT13_lli ; -- Begin function _ZN12_GLOBAL__N_135rocblas_gemm_batched_general_kernelIfLi16ELi16ELi32ELi32ELi8ELi32ELi8ELi8ELi32ELc78ELc84EKfS1_fEEvlllT_PT11_llS4_llS2_PT12_llPT13_lli
	.p2align	8
	.type	_ZN12_GLOBAL__N_135rocblas_gemm_batched_general_kernelIfLi16ELi16ELi32ELi32ELi8ELi32ELi8ELi8ELi32ELc78ELc84EKfS1_fEEvlllT_PT11_llS4_llS2_PT12_llPT13_lli,@function
_ZN12_GLOBAL__N_135rocblas_gemm_batched_general_kernelIfLi16ELi16ELi32ELi32ELi8ELi32ELi8ELi8ELi32ELc78ELc84EKfS1_fEEvlllT_PT11_llS4_llS2_PT12_llPT13_lli: ; @_ZN12_GLOBAL__N_135rocblas_gemm_batched_general_kernelIfLi16ELi16ELi32ELi32ELi8ELi32ELi8ELi8ELi32ELc78ELc84EKfS1_fEEvlllT_PT11_llS4_llS2_PT12_llPT13_lli
; %bb.0:
	s_load_b32 s33, s[0:1], 0x88
	s_bfe_u32 s2, ttmp6, 0x40014
	s_lshr_b32 s3, ttmp7, 16
	s_add_co_i32 s2, s2, 1
	s_bfe_u32 s5, ttmp6, 0x40008
	s_mul_i32 s4, s3, s2
	s_getreg_b32 s2, hwreg(HW_REG_IB_STS2, 6, 4)
	s_add_co_i32 s5, s5, s4
	s_cmp_eq_u32 s2, 0
	s_mov_b32 s35, 0
	s_cselect_b32 s34, s3, s5
	s_wait_kmcnt 0x0
	s_cmp_ge_i32 s34, s33
	s_cbranch_scc1 .LBB327_34
; %bb.1:
	s_clause 0x3
	s_load_b128 s[4:7], s[0:1], 0x0
	s_load_b256 s[16:23], s[0:1], 0x20
	s_load_b128 s[28:31], s[0:1], 0x40
	s_load_b32 s41, s[0:1], 0x50
	v_bfe_u32 v8, v0, 10, 10
	v_and_b32_e32 v10, 0x3ff, v0
	s_clause 0x1
	s_load_b128 s[24:27], s[0:1], 0x78
	s_load_b256 s[8:15], s[0:1], 0x58
	s_bfe_u32 s3, ttmp6, 0x4000c
	s_bfe_u32 s37, ttmp6, 0x40010
	s_add_co_i32 s3, s3, 1
	v_lshl_add_u32 v1, v8, 4, v10
	v_dual_mov_b32 v9, 0 :: v_dual_bitop2_b32 v0, 7, v0 bitop3:0x40
	s_and_b32 s38, ttmp7, 0xffff
	s_add_co_i32 s37, s37, 1
	s_delay_alu instid0(VALU_DEP_2) | instskip(NEXT) | instid1(VALU_DEP_2)
	v_dual_lshrrev_b32 v2, 5, v1 :: v_dual_bitop2_b32 v11, 31, v1 bitop3:0x40
	v_dual_mov_b32 v3, v9 :: v_dual_lshrrev_b32 v12, 3, v1
	v_dual_mov_b32 v1, v9 :: v_dual_mov_b32 v13, v9
	s_and_b32 s36, ttmp6, 15
	s_mul_i32 s3, ttmp9, s3
	s_mul_i32 s37, s38, s37
	s_bfe_u32 s39, ttmp6, 0x40004
	s_add_co_i32 s36, s36, s3
	s_add_co_i32 s39, s39, s37
	s_wait_kmcnt 0x0
	v_mul_u64_e32 v[14:15], s[28:29], v[0:1]
	v_mul_u64_e32 v[16:17], s[18:19], v[2:3]
	s_cmp_eq_u32 s2, 0
	s_mov_b32 s3, s35
	s_cselect_b32 s40, s38, s39
	s_cselect_b32 s42, ttmp9, s36
	s_lshl_b32 s2, s40, 5
	s_ashr_i32 s43, s42, 31
	v_add_nc_u64_e32 v[18:19], s[2:3], v[8:9]
	v_add_nc_u64_e32 v[6:7], s[2:3], v[12:13]
	s_lshl_b64 s[44:45], s[42:43], 5
	v_dual_lshlrev_b32 v21, 2, v0 :: v_dual_lshlrev_b32 v20, 2, v11
	v_dual_mov_b32 v5, s45 :: v_dual_bitop2_b32 v4, s44, v11 bitop3:0x54
	s_delay_alu instid0(VALU_DEP_4)
	v_mul_u64_e32 v[22:23], s[10:11], v[18:19]
	v_dual_mov_b32 v11, v9 :: v_dual_lshlrev_b32 v30, 2, v10
	s_load_b96 s[36:38], s[0:1], 0x10
	s_wait_xcnt 0x0
	v_cmp_gt_i64_e64 s1, s[6:7], v[6:7]
	v_mul_u64_e32 v[6:7], s[24:25], v[18:19]
	v_cmp_gt_i64_e64 s0, s[4:5], v[4:5]
	v_add_nc_u64_e32 v[4:5], s[44:45], v[10:11]
	s_cmp_eq_f32 s41, 0
	v_lshl_or_b32 v13, v12, 5, v21
	s_mov_b32 s45, s35
	v_lshl_add_u32 v31, v8, 5, 0x400
	s_cselect_b32 s39, -1, 0
	s_lshl_b32 s44, s40, 7
	v_add_nc_u64_e32 v[10:11], 16, v[4:5]
	s_lshl_b64 s[42:43], s[42:43], 7
	v_add_nc_u32_e32 v29, 0x400, v13
	v_lshl_add_u64 v[14:15], v[14:15], 2, s[44:45]
	v_dual_mov_b32 v21, v9 :: v_dual_lshlrev_b32 v8, 2, v12
	v_lshl_add_u64 v[12:13], v[16:17], 2, s[42:43]
	v_cmp_gt_i64_e64 s2, s[6:7], v[18:19]
	v_add_nc_u64_e32 v[18:19], 16, v[18:19]
	v_cmp_gt_i64_e64 s3, s[4:5], v[4:5]
	v_cmp_gt_i64_e64 s4, s[4:5], v[10:11]
	v_add_nc_u64_e32 v[10:11], v[14:15], v[8:9]
	v_add_nc_u64_e32 v[12:13], v[12:13], v[20:21]
	v_lshl_or_b32 v28, v2, 7, v20
	s_wait_kmcnt 0x0
	s_mov_b32 s40, s38
	v_cmp_gt_i64_e64 s5, s[6:7], v[18:19]
	s_lshl_b64 s[6:7], s[24:25], 4
	v_cmp_gt_i64_e64 s24, s[36:37], 0
	v_add_nc_u64_e32 v[10:11], s[22:23], v[10:11]
	v_add_nc_u64_e32 v[12:13], s[16:17], v[12:13]
	v_lshl_add_u64 v[8:9], v[22:23], 2, s[8:9]
	s_lshl_b64 s[10:11], s[10:11], 4
	s_lshl_b64 s[8:9], s[30:31], 2
	;; [unrolled: 1-line block ×5, first 2 shown]
	s_branch .LBB327_4
.LBB327_2:                              ;   in Loop: Header=BB327_4 Depth=1
	s_wait_xcnt 0x0
	s_or_b32 exec_lo, exec_lo, s25
.LBB327_3:                              ;   in Loop: Header=BB327_4 Depth=1
	s_add_co_i32 s34, s34, 0x10000
	s_delay_alu instid0(SALU_CYCLE_1)
	s_cmp_lt_i32 s34, s33
	s_cbranch_scc0 .LBB327_34
.LBB327_4:                              ; =>This Loop Header: Depth=1
                                        ;     Child Loop BB327_7 Depth 2
	v_dual_mov_b32 v17, 0 :: v_dual_mov_b32 v16, 0
	v_dual_mov_b32 v15, 0 :: v_dual_mov_b32 v14, 0
	s_and_not1_b32 vcc_lo, exec_lo, s24
	s_cbranch_vccnz .LBB327_11
; %bb.5:                                ;   in Loop: Header=BB327_4 Depth=1
	v_mad_nc_u64_u32 v[18:19], s8, s34, v[10:11]
	v_mad_nc_u64_u32 v[20:21], s20, s34, v[12:13]
	v_mov_b32_e32 v16, 0
	s_mov_b64 s[22:23], 0
	s_delay_alu instid0(VALU_DEP_1)
	v_dual_mov_b32 v17, v16 :: v_dual_mov_b32 v14, v16
	v_mov_b32_e32 v15, v16
	v_mad_u32 v19, s9, s34, v19
	v_mad_u32 v21, s21, s34, v21
	s_branch .LBB327_7
.LBB327_6:                              ;   in Loop: Header=BB327_7 Depth=2
	s_wait_xcnt 0x0
	s_or_b32 exec_lo, exec_lo, s25
	s_wait_loadcnt 0x0
	ds_store_b32 v29, v23
	s_wait_dscnt 0x0
	s_barrier_signal -1
	s_barrier_wait -1
	ds_load_b128 v[22:25], v31
	ds_load_2addr_b32 v[26:27], v30 offset1:16
	ds_load_b128 v[32:35], v31 offset:512
	ds_load_2addr_b32 v[44:45], v30 offset0:32 offset1:48
	ds_load_2addr_b32 v[46:47], v30 offset0:64 offset1:80
	;; [unrolled: 1-line block ×3, first 2 shown]
	ds_load_b128 v[36:39], v31 offset:16
	ds_load_2addr_b32 v[50:51], v30 offset0:128 offset1:144
	ds_load_b128 v[40:43], v31 offset:528
	s_add_nc_u64 s[22:23], s[22:23], 8
	v_add_nc_u64_e32 v[18:19], s[16:17], v[18:19]
	v_cmp_lt_i64_e64 s25, s[22:23], s[36:37]
	v_add_nc_u64_e32 v[20:21], s[18:19], v[20:21]
	s_and_b32 vcc_lo, exec_lo, s25
	s_wait_dscnt 0x7
	v_pk_fma_f32 v[16:17], v[26:27], v[22:23], v[16:17] op_sel_hi:[1,0,1]
	s_wait_dscnt 0x6
	v_pk_fma_f32 v[14:15], v[26:27], v[32:33], v[14:15] op_sel_hi:[1,0,1]
	ds_load_2addr_b32 v[26:27], v30 offset0:160 offset1:176
	s_wait_dscnt 0x6
	v_pk_fma_f32 v[16:17], v[44:45], v[22:23], v[16:17] op_sel:[0,1,0]
	v_pk_fma_f32 v[14:15], v[44:45], v[32:33], v[14:15] op_sel:[0,1,0]
	ds_load_2addr_b32 v[22:23], v30 offset0:192 offset1:208
	v_dual_mov_b32 v32, v25 :: v_dual_mov_b32 v44, v35
	s_wait_dscnt 0x6
	v_pk_fma_f32 v[16:17], v[46:47], v[24:25], v[16:17] op_sel_hi:[1,0,1]
	v_pk_fma_f32 v[14:15], v[46:47], v[34:35], v[14:15] op_sel_hi:[1,0,1]
	ds_load_2addr_b32 v[24:25], v30 offset0:224 offset1:240
	s_wait_dscnt 0x0
	s_barrier_signal -1
	v_pk_fma_f32 v[16:17], v[48:49], v[32:33], v[16:17] op_sel_hi:[1,0,1]
	v_pk_fma_f32 v[14:15], v[48:49], v[44:45], v[14:15] op_sel_hi:[1,0,1]
	s_barrier_wait -1
	v_mov_b32_e32 v32, v43
	s_delay_alu instid0(VALU_DEP_3) | instskip(NEXT) | instid1(VALU_DEP_3)
	v_pk_fma_f32 v[16:17], v[50:51], v[36:37], v[16:17] op_sel_hi:[1,0,1]
	v_pk_fma_f32 v[14:15], v[50:51], v[40:41], v[14:15] op_sel_hi:[1,0,1]
	s_delay_alu instid0(VALU_DEP_2) | instskip(NEXT) | instid1(VALU_DEP_2)
	v_pk_fma_f32 v[16:17], v[26:27], v[36:37], v[16:17] op_sel:[0,1,0]
	v_pk_fma_f32 v[14:15], v[26:27], v[40:41], v[14:15] op_sel:[0,1,0]
	v_mov_b32_e32 v26, v39
	s_delay_alu instid0(VALU_DEP_3) | instskip(NEXT) | instid1(VALU_DEP_3)
	v_pk_fma_f32 v[16:17], v[22:23], v[38:39], v[16:17] op_sel_hi:[1,0,1]
	v_pk_fma_f32 v[14:15], v[22:23], v[42:43], v[14:15] op_sel_hi:[1,0,1]
	s_delay_alu instid0(VALU_DEP_2) | instskip(NEXT) | instid1(VALU_DEP_2)
	v_pk_fma_f32 v[16:17], v[24:25], v[26:27], v[16:17] op_sel_hi:[1,0,1]
	v_pk_fma_f32 v[14:15], v[24:25], v[32:33], v[14:15] op_sel_hi:[1,0,1]
	s_cbranch_vccz .LBB327_11
.LBB327_7:                              ;   Parent Loop BB327_4 Depth=1
                                        ; =>  This Inner Loop Header: Depth=2
	v_add_nc_u64_e32 v[22:23], s[22:23], v[2:3]
	s_delay_alu instid0(VALU_DEP_1) | instskip(SKIP_2) | instid1(SALU_CYCLE_1)
	v_cmp_gt_i64_e32 vcc_lo, s[36:37], v[22:23]
	v_mov_b32_e32 v22, 0
	s_and_b32 s28, s0, vcc_lo
	s_and_saveexec_b32 s25, s28
	s_cbranch_execz .LBB327_9
; %bb.8:                                ;   in Loop: Header=BB327_7 Depth=2
	global_load_b32 v22, v[20:21], off
.LBB327_9:                              ;   in Loop: Header=BB327_7 Depth=2
	s_wait_xcnt 0x0
	s_or_b32 exec_lo, exec_lo, s25
	v_add_nc_u64_e32 v[24:25], s[22:23], v[0:1]
	v_mov_b32_e32 v23, 0
	s_wait_loadcnt 0x0
	ds_store_b32 v28, v22
	v_cmp_gt_i64_e32 vcc_lo, s[36:37], v[24:25]
	s_and_b32 s28, vcc_lo, s1
	s_delay_alu instid0(SALU_CYCLE_1)
	s_and_saveexec_b32 s25, s28
	s_cbranch_execz .LBB327_6
; %bb.10:                               ;   in Loop: Header=BB327_7 Depth=2
	global_load_b32 v23, v[18:19], off
	s_branch .LBB327_6
.LBB327_11:                             ;   in Loop: Header=BB327_4 Depth=1
	s_mul_u64 s[22:23], s[26:27], s[34:35]
	s_and_not1_b32 vcc_lo, exec_lo, s39
	s_lshl_b64 s[22:23], s[22:23], 2
	s_delay_alu instid0(SALU_CYCLE_1)
	s_add_nc_u64 s[22:23], s[14:15], s[22:23]
	s_cbranch_vccnz .LBB327_16
; %bb.12:                               ;   in Loop: Header=BB327_4 Depth=1
	s_and_saveexec_b32 s25, s2
	s_cbranch_execz .LBB327_23
; %bb.13:                               ;   in Loop: Header=BB327_4 Depth=1
	v_lshl_add_u64 v[18:19], v[6:7], 2, s[22:23]
	s_delay_alu instid0(VALU_DEP_1)
	v_lshl_add_u64 v[20:21], v[4:5], 2, v[18:19]
	s_and_saveexec_b32 s28, s3
	s_cbranch_execnz .LBB327_17
; %bb.14:                               ;   in Loop: Header=BB327_4 Depth=1
	s_or_b32 exec_lo, exec_lo, s28
	s_and_saveexec_b32 s28, s4
	s_cbranch_execnz .LBB327_18
.LBB327_15:                             ;   in Loop: Header=BB327_4 Depth=1
	s_or_b32 exec_lo, exec_lo, s28
	s_delay_alu instid0(SALU_CYCLE_1)
	s_and_b32 exec_lo, exec_lo, s5
	s_cbranch_execnz .LBB327_19
	s_branch .LBB327_23
.LBB327_16:                             ;   in Loop: Header=BB327_4 Depth=1
	s_branch .LBB327_24
.LBB327_17:                             ;   in Loop: Header=BB327_4 Depth=1
	v_mul_f32_e32 v22, s38, v16
	global_store_b32 v[20:21], v22, off
	s_wait_xcnt 0x0
	s_or_b32 exec_lo, exec_lo, s28
	s_and_saveexec_b32 s28, s4
	s_cbranch_execz .LBB327_15
.LBB327_18:                             ;   in Loop: Header=BB327_4 Depth=1
	v_mul_f32_e32 v22, s38, v17
	global_store_b32 v[20:21], v22, off offset:64
	s_wait_xcnt 0x0
	s_or_b32 exec_lo, exec_lo, s28
	s_delay_alu instid0(SALU_CYCLE_1)
	s_and_b32 exec_lo, exec_lo, s5
	s_cbranch_execz .LBB327_23
.LBB327_19:                             ;   in Loop: Header=BB327_4 Depth=1
	v_lshl_add_u64 v[18:19], s[6:7], 2, v[18:19]
	s_delay_alu instid0(VALU_DEP_1)
	v_lshl_add_u64 v[18:19], v[4:5], 2, v[18:19]
	s_and_saveexec_b32 s28, s3
	s_cbranch_execz .LBB327_21
; %bb.20:                               ;   in Loop: Header=BB327_4 Depth=1
	v_mul_f32_e32 v20, s38, v14
	global_store_b32 v[18:19], v20, off
.LBB327_21:                             ;   in Loop: Header=BB327_4 Depth=1
	s_wait_xcnt 0x0
	s_or_b32 exec_lo, exec_lo, s28
	s_delay_alu instid0(SALU_CYCLE_1)
	s_and_b32 exec_lo, exec_lo, s4
	s_cbranch_execz .LBB327_23
; %bb.22:                               ;   in Loop: Header=BB327_4 Depth=1
	v_mul_f32_e32 v20, s38, v15
	global_store_b32 v[18:19], v20, off offset:64
.LBB327_23:                             ;   in Loop: Header=BB327_4 Depth=1
	s_wait_xcnt 0x0
	s_or_b32 exec_lo, exec_lo, s25
	s_cbranch_execnz .LBB327_3
.LBB327_24:                             ;   in Loop: Header=BB327_4 Depth=1
	s_and_saveexec_b32 s25, s2
	s_cbranch_execz .LBB327_2
; %bb.25:                               ;   in Loop: Header=BB327_4 Depth=1
	s_mul_u64 s[28:29], s[12:13], s[34:35]
	v_lshlrev_b64_e32 v[18:19], 2, v[4:5]
	v_lshl_add_u64 v[20:21], s[28:29], 2, v[8:9]
	v_lshl_add_u64 v[22:23], v[6:7], 2, s[22:23]
	s_delay_alu instid0(VALU_DEP_2) | instskip(NEXT) | instid1(VALU_DEP_2)
	v_add_nc_u64_e32 v[26:27], v[20:21], v[18:19]
	v_add_nc_u64_e32 v[24:25], v[22:23], v[18:19]
	s_and_saveexec_b32 s22, s3
	s_cbranch_execnz .LBB327_28
; %bb.26:                               ;   in Loop: Header=BB327_4 Depth=1
	s_or_b32 exec_lo, exec_lo, s22
	s_and_saveexec_b32 s22, s4
	s_cbranch_execnz .LBB327_29
.LBB327_27:                             ;   in Loop: Header=BB327_4 Depth=1
	s_or_b32 exec_lo, exec_lo, s22
	s_delay_alu instid0(SALU_CYCLE_1)
	s_and_b32 exec_lo, exec_lo, s5
	s_cbranch_execz .LBB327_2
	s_branch .LBB327_30
.LBB327_28:                             ;   in Loop: Header=BB327_4 Depth=1
	global_load_b32 v33, v[26:27], off
	v_mov_b64_e32 v[34:35], s[40:41]
	v_mov_b32_e32 v32, v16
	s_wait_loadcnt 0x0
	s_delay_alu instid0(VALU_DEP_1) | instskip(NEXT) | instid1(VALU_DEP_1)
	v_pk_mul_f32 v[32:33], v[34:35], v[32:33]
	v_add_f32_e32 v16, v32, v33
	global_store_b32 v[24:25], v16, off
	s_wait_xcnt 0x0
	s_or_b32 exec_lo, exec_lo, s22
	s_and_saveexec_b32 s22, s4
	s_cbranch_execz .LBB327_27
.LBB327_29:                             ;   in Loop: Header=BB327_4 Depth=1
	global_load_b32 v27, v[26:27], off offset:64
	s_wait_xcnt 0x0
	v_mov_b32_e32 v26, v17
	v_mov_b64_e32 v[16:17], s[40:41]
	s_wait_loadcnt 0x0
	s_delay_alu instid0(VALU_DEP_1) | instskip(NEXT) | instid1(VALU_DEP_1)
	v_pk_mul_f32 v[16:17], v[16:17], v[26:27]
	v_add_f32_e32 v16, v16, v17
	global_store_b32 v[24:25], v16, off offset:64
	s_wait_xcnt 0x0
	s_or_b32 exec_lo, exec_lo, s22
	s_delay_alu instid0(SALU_CYCLE_1)
	s_and_b32 exec_lo, exec_lo, s5
	s_cbranch_execz .LBB327_2
.LBB327_30:                             ;   in Loop: Header=BB327_4 Depth=1
	v_lshl_add_u64 v[16:17], s[10:11], 2, v[20:21]
	v_lshl_add_u64 v[22:23], s[6:7], 2, v[22:23]
	s_delay_alu instid0(VALU_DEP_2) | instskip(NEXT) | instid1(VALU_DEP_2)
	v_add_nc_u64_e32 v[20:21], v[16:17], v[18:19]
	v_add_nc_u64_e32 v[16:17], v[22:23], v[18:19]
	s_and_saveexec_b32 s22, s3
	s_cbranch_execz .LBB327_32
; %bb.31:                               ;   in Loop: Header=BB327_4 Depth=1
	global_load_b32 v19, v[20:21], off
	v_mov_b64_e32 v[22:23], s[40:41]
	v_mov_b32_e32 v18, v14
	s_wait_loadcnt 0x0
	s_delay_alu instid0(VALU_DEP_1) | instskip(NEXT) | instid1(VALU_DEP_1)
	v_pk_mul_f32 v[18:19], v[22:23], v[18:19]
	v_add_f32_e32 v14, v18, v19
	global_store_b32 v[16:17], v14, off
.LBB327_32:                             ;   in Loop: Header=BB327_4 Depth=1
	s_wait_xcnt 0x0
	s_or_b32 exec_lo, exec_lo, s22
	s_delay_alu instid0(SALU_CYCLE_1)
	s_and_b32 exec_lo, exec_lo, s4
	s_cbranch_execz .LBB327_2
; %bb.33:                               ;   in Loop: Header=BB327_4 Depth=1
	global_load_b32 v19, v[20:21], off offset:64
	v_mov_b32_e32 v18, v15
	v_mov_b64_e32 v[14:15], s[40:41]
	s_wait_loadcnt 0x0
	s_delay_alu instid0(VALU_DEP_1) | instskip(NEXT) | instid1(VALU_DEP_1)
	v_pk_mul_f32 v[14:15], v[14:15], v[18:19]
	v_add_f32_e32 v14, v14, v15
	global_store_b32 v[16:17], v14, off offset:64
	s_branch .LBB327_2
.LBB327_34:
	s_endpgm
	.section	.rodata,"a",@progbits
	.p2align	6, 0x0
	.amdhsa_kernel _ZN12_GLOBAL__N_135rocblas_gemm_batched_general_kernelIfLi16ELi16ELi32ELi32ELi8ELi32ELi8ELi8ELi32ELc78ELc84EKfS1_fEEvlllT_PT11_llS4_llS2_PT12_llPT13_lli
		.amdhsa_group_segment_fixed_size 2048
		.amdhsa_private_segment_fixed_size 0
		.amdhsa_kernarg_size 140
		.amdhsa_user_sgpr_count 2
		.amdhsa_user_sgpr_dispatch_ptr 0
		.amdhsa_user_sgpr_queue_ptr 0
		.amdhsa_user_sgpr_kernarg_segment_ptr 1
		.amdhsa_user_sgpr_dispatch_id 0
		.amdhsa_user_sgpr_kernarg_preload_length 0
		.amdhsa_user_sgpr_kernarg_preload_offset 0
		.amdhsa_user_sgpr_private_segment_size 0
		.amdhsa_wavefront_size32 1
		.amdhsa_uses_dynamic_stack 0
		.amdhsa_enable_private_segment 0
		.amdhsa_system_sgpr_workgroup_id_x 1
		.amdhsa_system_sgpr_workgroup_id_y 1
		.amdhsa_system_sgpr_workgroup_id_z 1
		.amdhsa_system_sgpr_workgroup_info 0
		.amdhsa_system_vgpr_workitem_id 1
		.amdhsa_next_free_vgpr 52
		.amdhsa_next_free_sgpr 46
		.amdhsa_named_barrier_count 0
		.amdhsa_reserve_vcc 1
		.amdhsa_float_round_mode_32 0
		.amdhsa_float_round_mode_16_64 0
		.amdhsa_float_denorm_mode_32 3
		.amdhsa_float_denorm_mode_16_64 3
		.amdhsa_fp16_overflow 0
		.amdhsa_memory_ordered 1
		.amdhsa_forward_progress 1
		.amdhsa_inst_pref_size 14
		.amdhsa_round_robin_scheduling 0
		.amdhsa_exception_fp_ieee_invalid_op 0
		.amdhsa_exception_fp_denorm_src 0
		.amdhsa_exception_fp_ieee_div_zero 0
		.amdhsa_exception_fp_ieee_overflow 0
		.amdhsa_exception_fp_ieee_underflow 0
		.amdhsa_exception_fp_ieee_inexact 0
		.amdhsa_exception_int_div_zero 0
	.end_amdhsa_kernel
	.section	.text._ZN12_GLOBAL__N_135rocblas_gemm_batched_general_kernelIfLi16ELi16ELi32ELi32ELi8ELi32ELi8ELi8ELi32ELc78ELc84EKfS1_fEEvlllT_PT11_llS4_llS2_PT12_llPT13_lli,"axG",@progbits,_ZN12_GLOBAL__N_135rocblas_gemm_batched_general_kernelIfLi16ELi16ELi32ELi32ELi8ELi32ELi8ELi8ELi32ELc78ELc84EKfS1_fEEvlllT_PT11_llS4_llS2_PT12_llPT13_lli,comdat
.Lfunc_end327:
	.size	_ZN12_GLOBAL__N_135rocblas_gemm_batched_general_kernelIfLi16ELi16ELi32ELi32ELi8ELi32ELi8ELi8ELi32ELc78ELc84EKfS1_fEEvlllT_PT11_llS4_llS2_PT12_llPT13_lli, .Lfunc_end327-_ZN12_GLOBAL__N_135rocblas_gemm_batched_general_kernelIfLi16ELi16ELi32ELi32ELi8ELi32ELi8ELi8ELi32ELc78ELc84EKfS1_fEEvlllT_PT11_llS4_llS2_PT12_llPT13_lli
                                        ; -- End function
	.set _ZN12_GLOBAL__N_135rocblas_gemm_batched_general_kernelIfLi16ELi16ELi32ELi32ELi8ELi32ELi8ELi8ELi32ELc78ELc84EKfS1_fEEvlllT_PT11_llS4_llS2_PT12_llPT13_lli.num_vgpr, 52
	.set _ZN12_GLOBAL__N_135rocblas_gemm_batched_general_kernelIfLi16ELi16ELi32ELi32ELi8ELi32ELi8ELi8ELi32ELc78ELc84EKfS1_fEEvlllT_PT11_llS4_llS2_PT12_llPT13_lli.num_agpr, 0
	.set _ZN12_GLOBAL__N_135rocblas_gemm_batched_general_kernelIfLi16ELi16ELi32ELi32ELi8ELi32ELi8ELi8ELi32ELc78ELc84EKfS1_fEEvlllT_PT11_llS4_llS2_PT12_llPT13_lli.numbered_sgpr, 46
	.set _ZN12_GLOBAL__N_135rocblas_gemm_batched_general_kernelIfLi16ELi16ELi32ELi32ELi8ELi32ELi8ELi8ELi32ELc78ELc84EKfS1_fEEvlllT_PT11_llS4_llS2_PT12_llPT13_lli.num_named_barrier, 0
	.set _ZN12_GLOBAL__N_135rocblas_gemm_batched_general_kernelIfLi16ELi16ELi32ELi32ELi8ELi32ELi8ELi8ELi32ELc78ELc84EKfS1_fEEvlllT_PT11_llS4_llS2_PT12_llPT13_lli.private_seg_size, 0
	.set _ZN12_GLOBAL__N_135rocblas_gemm_batched_general_kernelIfLi16ELi16ELi32ELi32ELi8ELi32ELi8ELi8ELi32ELc78ELc84EKfS1_fEEvlllT_PT11_llS4_llS2_PT12_llPT13_lli.uses_vcc, 1
	.set _ZN12_GLOBAL__N_135rocblas_gemm_batched_general_kernelIfLi16ELi16ELi32ELi32ELi8ELi32ELi8ELi8ELi32ELc78ELc84EKfS1_fEEvlllT_PT11_llS4_llS2_PT12_llPT13_lli.uses_flat_scratch, 0
	.set _ZN12_GLOBAL__N_135rocblas_gemm_batched_general_kernelIfLi16ELi16ELi32ELi32ELi8ELi32ELi8ELi8ELi32ELc78ELc84EKfS1_fEEvlllT_PT11_llS4_llS2_PT12_llPT13_lli.has_dyn_sized_stack, 0
	.set _ZN12_GLOBAL__N_135rocblas_gemm_batched_general_kernelIfLi16ELi16ELi32ELi32ELi8ELi32ELi8ELi8ELi32ELc78ELc84EKfS1_fEEvlllT_PT11_llS4_llS2_PT12_llPT13_lli.has_recursion, 0
	.set _ZN12_GLOBAL__N_135rocblas_gemm_batched_general_kernelIfLi16ELi16ELi32ELi32ELi8ELi32ELi8ELi8ELi32ELc78ELc84EKfS1_fEEvlllT_PT11_llS4_llS2_PT12_llPT13_lli.has_indirect_call, 0
	.section	.AMDGPU.csdata,"",@progbits
; Kernel info:
; codeLenInByte = 1784
; TotalNumSgprs: 48
; NumVgprs: 52
; ScratchSize: 0
; MemoryBound: 0
; FloatMode: 240
; IeeeMode: 1
; LDSByteSize: 2048 bytes/workgroup (compile time only)
; SGPRBlocks: 0
; VGPRBlocks: 3
; NumSGPRsForWavesPerEU: 48
; NumVGPRsForWavesPerEU: 52
; NamedBarCnt: 0
; Occupancy: 16
; WaveLimiterHint : 0
; COMPUTE_PGM_RSRC2:SCRATCH_EN: 0
; COMPUTE_PGM_RSRC2:USER_SGPR: 2
; COMPUTE_PGM_RSRC2:TRAP_HANDLER: 0
; COMPUTE_PGM_RSRC2:TGID_X_EN: 1
; COMPUTE_PGM_RSRC2:TGID_Y_EN: 1
; COMPUTE_PGM_RSRC2:TGID_Z_EN: 1
; COMPUTE_PGM_RSRC2:TIDIG_COMP_CNT: 1
	.section	.text._ZN12_GLOBAL__N_135rocblas_gemm_batched_general_kernelIfLi16ELi16ELi32ELi32ELi8ELi32ELi8ELi8ELi32ELc84ELc84EKfS1_fEEvlllT_PT11_llS4_llS2_PT12_llPT13_lli,"axG",@progbits,_ZN12_GLOBAL__N_135rocblas_gemm_batched_general_kernelIfLi16ELi16ELi32ELi32ELi8ELi32ELi8ELi8ELi32ELc84ELc84EKfS1_fEEvlllT_PT11_llS4_llS2_PT12_llPT13_lli,comdat
	.globl	_ZN12_GLOBAL__N_135rocblas_gemm_batched_general_kernelIfLi16ELi16ELi32ELi32ELi8ELi32ELi8ELi8ELi32ELc84ELc84EKfS1_fEEvlllT_PT11_llS4_llS2_PT12_llPT13_lli ; -- Begin function _ZN12_GLOBAL__N_135rocblas_gemm_batched_general_kernelIfLi16ELi16ELi32ELi32ELi8ELi32ELi8ELi8ELi32ELc84ELc84EKfS1_fEEvlllT_PT11_llS4_llS2_PT12_llPT13_lli
	.p2align	8
	.type	_ZN12_GLOBAL__N_135rocblas_gemm_batched_general_kernelIfLi16ELi16ELi32ELi32ELi8ELi32ELi8ELi8ELi32ELc84ELc84EKfS1_fEEvlllT_PT11_llS4_llS2_PT12_llPT13_lli,@function
_ZN12_GLOBAL__N_135rocblas_gemm_batched_general_kernelIfLi16ELi16ELi32ELi32ELi8ELi32ELi8ELi8ELi32ELc84ELc84EKfS1_fEEvlllT_PT11_llS4_llS2_PT12_llPT13_lli: ; @_ZN12_GLOBAL__N_135rocblas_gemm_batched_general_kernelIfLi16ELi16ELi32ELi32ELi8ELi32ELi8ELi8ELi32ELc84ELc84EKfS1_fEEvlllT_PT11_llS4_llS2_PT12_llPT13_lli
; %bb.0:
	s_load_b32 s33, s[0:1], 0x88
	s_bfe_u32 s2, ttmp6, 0x40014
	s_lshr_b32 s3, ttmp7, 16
	s_add_co_i32 s2, s2, 1
	s_bfe_u32 s5, ttmp6, 0x40008
	s_mul_i32 s4, s3, s2
	s_getreg_b32 s2, hwreg(HW_REG_IB_STS2, 6, 4)
	s_add_co_i32 s5, s5, s4
	s_cmp_eq_u32 s2, 0
	s_mov_b32 s35, 0
	s_cselect_b32 s34, s3, s5
	s_wait_kmcnt 0x0
	s_cmp_ge_i32 s34, s33
	s_cbranch_scc1 .LBB328_34
; %bb.1:
	s_clause 0x4
	s_load_b128 s[4:7], s[0:1], 0x0
	s_load_b256 s[16:23], s[0:1], 0x20
	s_load_b128 s[28:31], s[0:1], 0x40
	s_load_b32 s41, s[0:1], 0x50
	s_load_b256 s[8:15], s[0:1], 0x58
	v_bfe_u32 v8, v0, 10, 10
	v_and_b32_e32 v10, 0x3ff, v0
	v_dual_mov_b32 v9, 0 :: v_dual_bitop2_b32 v0, 7, v0 bitop3:0x40
	s_bfe_u32 s3, ttmp6, 0x4000c
	s_bfe_u32 s25, ttmp6, 0x40010
	s_add_co_i32 s3, s3, 1
	s_and_b32 s26, ttmp7, 0xffff
	s_add_co_i32 s25, s25, 1
	s_and_b32 s24, ttmp6, 15
	s_mul_i32 s3, ttmp9, s3
	s_mul_i32 s25, s26, s25
	s_bfe_u32 s27, ttmp6, 0x40004
	v_lshl_add_u32 v2, v8, 4, v10
	v_mov_b32_e32 v1, v9
	s_add_co_i32 s24, s24, s3
	s_add_co_i32 s27, s27, s25
	s_cmp_eq_u32 s2, 0
	v_and_b32_e32 v3, 31, v2
	s_cselect_b32 s2, ttmp9, s24
	s_wait_kmcnt 0x0
	v_mul_u64_e32 v[12:13], s[28:29], v[0:1]
	s_cselect_b32 s40, s26, s27
	s_ashr_i32 s3, s2, 31
	s_clause 0x1
	s_load_b128 s[24:27], s[0:1], 0x78
	s_load_b96 s[36:38], s[0:1], 0x10
	s_lshl_b64 s[2:3], s[2:3], 5
	s_lshl_b32 s42, s40, 5
	v_dual_mov_b32 v5, s3 :: v_dual_bitop2_b32 v4, s2, v3 bitop3:0x54
	s_mov_b32 s43, s35
	v_dual_mov_b32 v11, v9 :: v_dual_lshrrev_b32 v16, 3, v2
	v_add_nc_u64_e32 v[14:15], s[42:43], v[8:9]
	s_delay_alu instid0(VALU_DEP_3)
	v_mul_u64_e32 v[18:19], s[18:19], v[4:5]
	v_dual_mov_b32 v17, v9 :: v_dual_lshrrev_b32 v2, 5, v2
	s_wait_xcnt 0x0
	v_cmp_gt_i64_e64 s0, s[4:5], v[4:5]
	s_cmp_eq_f32 s41, 0
	v_dual_lshlrev_b32 v22, 2, v0 :: v_dual_lshlrev_b32 v23, 2, v3
	v_mul_u64_e32 v[20:21], s[10:11], v[14:15]
	v_add_nc_u64_e32 v[6:7], s[42:43], v[16:17]
	s_cselect_b32 s39, -1, 0
	s_wait_kmcnt 0x0
	v_mul_u64_e32 v[4:5], s[24:25], v[14:15]
	v_mov_b32_e32 v3, v9
	v_lshl_add_u32 v30, v8, 5, 0x400
	v_lshlrev_b32_e32 v8, 2, v16
	v_lshl_or_b32 v17, v16, 5, v22
	v_cmp_gt_i64_e64 s1, s[6:7], v[6:7]
	v_add_nc_u64_e32 v[6:7], s[2:3], v[10:11]
	s_lshl_b32 s2, s40, 7
	s_mov_b32 s3, s35
	v_lshlrev_b32_e32 v31, 2, v10
	v_lshl_add_u64 v[12:13], v[12:13], 2, s[2:3]
	v_lshl_or_b32 v28, v2, 7, v23
	v_add_nc_u32_e32 v29, 0x400, v17
	v_add_nc_u64_e32 v[16:17], 16, v[6:7]
	v_add_nc_u64_e32 v[22:23], 16, v[14:15]
	;; [unrolled: 1-line block ×3, first 2 shown]
	v_lshlrev_b32_e32 v8, 2, v2
	v_cmp_gt_i64_e64 s2, s[6:7], v[14:15]
	v_cmp_gt_i64_e64 s3, s[4:5], v[6:7]
	s_mov_b32 s40, s38
	v_cmp_gt_i64_e64 s4, s[4:5], v[16:17]
	v_cmp_gt_i64_e64 s5, s[6:7], v[22:23]
	v_lshl_add_u64 v[12:13], v[18:19], 2, v[8:9]
	v_add_nc_u64_e32 v[10:11], s[22:23], v[10:11]
	v_cmp_gt_i64_e64 s22, s[36:37], 0
	s_lshl_b64 s[6:7], s[24:25], 4
	s_lshl_b64 s[10:11], s[10:11], 4
	v_add_nc_u64_e32 v[12:13], s[16:17], v[12:13]
	s_lshl_b64 s[16:17], s[28:29], 5
	v_lshl_add_u64 v[8:9], v[20:21], 2, s[8:9]
	s_lshl_b64 s[8:9], s[30:31], 2
	s_lshl_b64 s[18:19], s[20:21], 2
	s_branch .LBB328_4
.LBB328_2:                              ;   in Loop: Header=BB328_4 Depth=1
	s_wait_xcnt 0x0
	s_or_b32 exec_lo, exec_lo, s23
.LBB328_3:                              ;   in Loop: Header=BB328_4 Depth=1
	s_add_co_i32 s34, s34, 0x10000
	s_delay_alu instid0(SALU_CYCLE_1)
	s_cmp_lt_i32 s34, s33
	s_cbranch_scc0 .LBB328_34
.LBB328_4:                              ; =>This Loop Header: Depth=1
                                        ;     Child Loop BB328_7 Depth 2
	v_dual_mov_b32 v17, 0 :: v_dual_mov_b32 v16, 0
	v_dual_mov_b32 v15, 0 :: v_dual_mov_b32 v14, 0
	s_and_not1_b32 vcc_lo, exec_lo, s22
	s_cbranch_vccnz .LBB328_11
; %bb.5:                                ;   in Loop: Header=BB328_4 Depth=1
	v_mad_nc_u64_u32 v[18:19], s8, s34, v[10:11]
	v_mad_nc_u64_u32 v[20:21], s18, s34, v[12:13]
	v_mov_b32_e32 v16, 0
	s_mov_b64 s[20:21], 0
	s_delay_alu instid0(VALU_DEP_1)
	v_dual_mov_b32 v17, v16 :: v_dual_mov_b32 v14, v16
	v_mov_b32_e32 v15, v16
	v_mad_u32 v19, s9, s34, v19
	v_mad_u32 v21, s19, s34, v21
	s_branch .LBB328_7
.LBB328_6:                              ;   in Loop: Header=BB328_7 Depth=2
	s_wait_xcnt 0x0
	s_or_b32 exec_lo, exec_lo, s23
	s_wait_loadcnt 0x0
	ds_store_b32 v29, v23
	s_wait_dscnt 0x0
	s_barrier_signal -1
	s_barrier_wait -1
	ds_load_b128 v[22:25], v30
	ds_load_2addr_b32 v[26:27], v31 offset1:16
	ds_load_b128 v[32:35], v30 offset:512
	ds_load_2addr_b32 v[44:45], v31 offset0:32 offset1:48
	ds_load_2addr_b32 v[46:47], v31 offset0:64 offset1:80
	;; [unrolled: 1-line block ×3, first 2 shown]
	ds_load_b128 v[36:39], v30 offset:16
	ds_load_2addr_b32 v[50:51], v31 offset0:128 offset1:144
	ds_load_b128 v[40:43], v30 offset:528
	s_add_nc_u64 s[20:21], s[20:21], 8
	v_add_nc_u64_e32 v[18:19], s[16:17], v[18:19]
	v_cmp_lt_i64_e64 s23, s[20:21], s[36:37]
	v_add_nc_u64_e32 v[20:21], 32, v[20:21]
	s_and_b32 vcc_lo, exec_lo, s23
	s_wait_dscnt 0x7
	v_pk_fma_f32 v[16:17], v[26:27], v[22:23], v[16:17] op_sel_hi:[1,0,1]
	s_wait_dscnt 0x6
	v_pk_fma_f32 v[14:15], v[26:27], v[32:33], v[14:15] op_sel_hi:[1,0,1]
	ds_load_2addr_b32 v[26:27], v31 offset0:160 offset1:176
	s_wait_dscnt 0x6
	v_pk_fma_f32 v[16:17], v[44:45], v[22:23], v[16:17] op_sel:[0,1,0]
	v_pk_fma_f32 v[14:15], v[44:45], v[32:33], v[14:15] op_sel:[0,1,0]
	ds_load_2addr_b32 v[22:23], v31 offset0:192 offset1:208
	v_dual_mov_b32 v32, v25 :: v_dual_mov_b32 v44, v35
	s_wait_dscnt 0x6
	v_pk_fma_f32 v[16:17], v[46:47], v[24:25], v[16:17] op_sel_hi:[1,0,1]
	v_pk_fma_f32 v[14:15], v[46:47], v[34:35], v[14:15] op_sel_hi:[1,0,1]
	ds_load_2addr_b32 v[24:25], v31 offset0:224 offset1:240
	s_wait_dscnt 0x0
	s_barrier_signal -1
	v_pk_fma_f32 v[16:17], v[48:49], v[32:33], v[16:17] op_sel_hi:[1,0,1]
	v_pk_fma_f32 v[14:15], v[48:49], v[44:45], v[14:15] op_sel_hi:[1,0,1]
	s_barrier_wait -1
	v_mov_b32_e32 v32, v43
	s_delay_alu instid0(VALU_DEP_3) | instskip(NEXT) | instid1(VALU_DEP_3)
	v_pk_fma_f32 v[16:17], v[50:51], v[36:37], v[16:17] op_sel_hi:[1,0,1]
	v_pk_fma_f32 v[14:15], v[50:51], v[40:41], v[14:15] op_sel_hi:[1,0,1]
	s_delay_alu instid0(VALU_DEP_2) | instskip(NEXT) | instid1(VALU_DEP_2)
	v_pk_fma_f32 v[16:17], v[26:27], v[36:37], v[16:17] op_sel:[0,1,0]
	v_pk_fma_f32 v[14:15], v[26:27], v[40:41], v[14:15] op_sel:[0,1,0]
	v_mov_b32_e32 v26, v39
	s_delay_alu instid0(VALU_DEP_3) | instskip(NEXT) | instid1(VALU_DEP_3)
	v_pk_fma_f32 v[16:17], v[22:23], v[38:39], v[16:17] op_sel_hi:[1,0,1]
	v_pk_fma_f32 v[14:15], v[22:23], v[42:43], v[14:15] op_sel_hi:[1,0,1]
	s_delay_alu instid0(VALU_DEP_2) | instskip(NEXT) | instid1(VALU_DEP_2)
	v_pk_fma_f32 v[16:17], v[24:25], v[26:27], v[16:17] op_sel_hi:[1,0,1]
	v_pk_fma_f32 v[14:15], v[24:25], v[32:33], v[14:15] op_sel_hi:[1,0,1]
	s_cbranch_vccz .LBB328_11
.LBB328_7:                              ;   Parent Loop BB328_4 Depth=1
                                        ; =>  This Inner Loop Header: Depth=2
	v_add_nc_u64_e32 v[22:23], s[20:21], v[2:3]
	s_delay_alu instid0(VALU_DEP_1) | instskip(SKIP_2) | instid1(SALU_CYCLE_1)
	v_cmp_gt_i64_e32 vcc_lo, s[36:37], v[22:23]
	v_mov_b32_e32 v22, 0
	s_and_b32 s24, s0, vcc_lo
	s_and_saveexec_b32 s23, s24
	s_cbranch_execz .LBB328_9
; %bb.8:                                ;   in Loop: Header=BB328_7 Depth=2
	global_load_b32 v22, v[20:21], off
.LBB328_9:                              ;   in Loop: Header=BB328_7 Depth=2
	s_wait_xcnt 0x0
	s_or_b32 exec_lo, exec_lo, s23
	v_add_nc_u64_e32 v[24:25], s[20:21], v[0:1]
	v_mov_b32_e32 v23, 0
	s_wait_loadcnt 0x0
	ds_store_b32 v28, v22
	v_cmp_gt_i64_e32 vcc_lo, s[36:37], v[24:25]
	s_and_b32 s24, vcc_lo, s1
	s_delay_alu instid0(SALU_CYCLE_1)
	s_and_saveexec_b32 s23, s24
	s_cbranch_execz .LBB328_6
; %bb.10:                               ;   in Loop: Header=BB328_7 Depth=2
	global_load_b32 v23, v[18:19], off
	s_branch .LBB328_6
.LBB328_11:                             ;   in Loop: Header=BB328_4 Depth=1
	s_mul_u64 s[20:21], s[26:27], s[34:35]
	s_and_not1_b32 vcc_lo, exec_lo, s39
	s_lshl_b64 s[20:21], s[20:21], 2
	s_delay_alu instid0(SALU_CYCLE_1)
	s_add_nc_u64 s[20:21], s[14:15], s[20:21]
	s_cbranch_vccnz .LBB328_16
; %bb.12:                               ;   in Loop: Header=BB328_4 Depth=1
	s_and_saveexec_b32 s23, s2
	s_cbranch_execz .LBB328_23
; %bb.13:                               ;   in Loop: Header=BB328_4 Depth=1
	v_lshl_add_u64 v[18:19], v[4:5], 2, s[20:21]
	s_delay_alu instid0(VALU_DEP_1)
	v_lshl_add_u64 v[20:21], v[6:7], 2, v[18:19]
	s_and_saveexec_b32 s24, s3
	s_cbranch_execnz .LBB328_17
; %bb.14:                               ;   in Loop: Header=BB328_4 Depth=1
	s_or_b32 exec_lo, exec_lo, s24
	s_and_saveexec_b32 s24, s4
	s_cbranch_execnz .LBB328_18
.LBB328_15:                             ;   in Loop: Header=BB328_4 Depth=1
	s_or_b32 exec_lo, exec_lo, s24
	s_delay_alu instid0(SALU_CYCLE_1)
	s_and_b32 exec_lo, exec_lo, s5
	s_cbranch_execnz .LBB328_19
	s_branch .LBB328_23
.LBB328_16:                             ;   in Loop: Header=BB328_4 Depth=1
	s_branch .LBB328_24
.LBB328_17:                             ;   in Loop: Header=BB328_4 Depth=1
	v_mul_f32_e32 v22, s38, v16
	global_store_b32 v[20:21], v22, off
	s_wait_xcnt 0x0
	s_or_b32 exec_lo, exec_lo, s24
	s_and_saveexec_b32 s24, s4
	s_cbranch_execz .LBB328_15
.LBB328_18:                             ;   in Loop: Header=BB328_4 Depth=1
	v_mul_f32_e32 v22, s38, v17
	global_store_b32 v[20:21], v22, off offset:64
	s_wait_xcnt 0x0
	s_or_b32 exec_lo, exec_lo, s24
	s_delay_alu instid0(SALU_CYCLE_1)
	s_and_b32 exec_lo, exec_lo, s5
	s_cbranch_execz .LBB328_23
.LBB328_19:                             ;   in Loop: Header=BB328_4 Depth=1
	v_lshl_add_u64 v[18:19], s[6:7], 2, v[18:19]
	s_delay_alu instid0(VALU_DEP_1)
	v_lshl_add_u64 v[18:19], v[6:7], 2, v[18:19]
	s_and_saveexec_b32 s24, s3
	s_cbranch_execz .LBB328_21
; %bb.20:                               ;   in Loop: Header=BB328_4 Depth=1
	v_mul_f32_e32 v20, s38, v14
	global_store_b32 v[18:19], v20, off
.LBB328_21:                             ;   in Loop: Header=BB328_4 Depth=1
	s_wait_xcnt 0x0
	s_or_b32 exec_lo, exec_lo, s24
	s_delay_alu instid0(SALU_CYCLE_1)
	s_and_b32 exec_lo, exec_lo, s4
	s_cbranch_execz .LBB328_23
; %bb.22:                               ;   in Loop: Header=BB328_4 Depth=1
	v_mul_f32_e32 v20, s38, v15
	global_store_b32 v[18:19], v20, off offset:64
.LBB328_23:                             ;   in Loop: Header=BB328_4 Depth=1
	s_wait_xcnt 0x0
	s_or_b32 exec_lo, exec_lo, s23
	s_cbranch_execnz .LBB328_3
.LBB328_24:                             ;   in Loop: Header=BB328_4 Depth=1
	s_and_saveexec_b32 s23, s2
	s_cbranch_execz .LBB328_2
; %bb.25:                               ;   in Loop: Header=BB328_4 Depth=1
	s_mul_u64 s[24:25], s[12:13], s[34:35]
	v_lshlrev_b64_e32 v[18:19], 2, v[6:7]
	v_lshl_add_u64 v[20:21], s[24:25], 2, v[8:9]
	v_lshl_add_u64 v[22:23], v[4:5], 2, s[20:21]
	s_delay_alu instid0(VALU_DEP_2) | instskip(NEXT) | instid1(VALU_DEP_2)
	v_add_nc_u64_e32 v[26:27], v[20:21], v[18:19]
	v_add_nc_u64_e32 v[24:25], v[22:23], v[18:19]
	s_and_saveexec_b32 s20, s3
	s_cbranch_execnz .LBB328_28
; %bb.26:                               ;   in Loop: Header=BB328_4 Depth=1
	s_or_b32 exec_lo, exec_lo, s20
	s_and_saveexec_b32 s20, s4
	s_cbranch_execnz .LBB328_29
.LBB328_27:                             ;   in Loop: Header=BB328_4 Depth=1
	s_or_b32 exec_lo, exec_lo, s20
	s_delay_alu instid0(SALU_CYCLE_1)
	s_and_b32 exec_lo, exec_lo, s5
	s_cbranch_execz .LBB328_2
	s_branch .LBB328_30
.LBB328_28:                             ;   in Loop: Header=BB328_4 Depth=1
	global_load_b32 v33, v[26:27], off
	v_mov_b64_e32 v[34:35], s[40:41]
	v_mov_b32_e32 v32, v16
	s_wait_loadcnt 0x0
	s_delay_alu instid0(VALU_DEP_1) | instskip(NEXT) | instid1(VALU_DEP_1)
	v_pk_mul_f32 v[32:33], v[34:35], v[32:33]
	v_add_f32_e32 v16, v32, v33
	global_store_b32 v[24:25], v16, off
	s_wait_xcnt 0x0
	s_or_b32 exec_lo, exec_lo, s20
	s_and_saveexec_b32 s20, s4
	s_cbranch_execz .LBB328_27
.LBB328_29:                             ;   in Loop: Header=BB328_4 Depth=1
	global_load_b32 v27, v[26:27], off offset:64
	s_wait_xcnt 0x0
	v_mov_b32_e32 v26, v17
	v_mov_b64_e32 v[16:17], s[40:41]
	s_wait_loadcnt 0x0
	s_delay_alu instid0(VALU_DEP_1) | instskip(NEXT) | instid1(VALU_DEP_1)
	v_pk_mul_f32 v[16:17], v[16:17], v[26:27]
	v_add_f32_e32 v16, v16, v17
	global_store_b32 v[24:25], v16, off offset:64
	s_wait_xcnt 0x0
	s_or_b32 exec_lo, exec_lo, s20
	s_delay_alu instid0(SALU_CYCLE_1)
	s_and_b32 exec_lo, exec_lo, s5
	s_cbranch_execz .LBB328_2
.LBB328_30:                             ;   in Loop: Header=BB328_4 Depth=1
	v_lshl_add_u64 v[16:17], s[10:11], 2, v[20:21]
	v_lshl_add_u64 v[22:23], s[6:7], 2, v[22:23]
	s_delay_alu instid0(VALU_DEP_2) | instskip(NEXT) | instid1(VALU_DEP_2)
	v_add_nc_u64_e32 v[20:21], v[16:17], v[18:19]
	v_add_nc_u64_e32 v[16:17], v[22:23], v[18:19]
	s_and_saveexec_b32 s20, s3
	s_cbranch_execz .LBB328_32
; %bb.31:                               ;   in Loop: Header=BB328_4 Depth=1
	global_load_b32 v19, v[20:21], off
	v_mov_b64_e32 v[22:23], s[40:41]
	v_mov_b32_e32 v18, v14
	s_wait_loadcnt 0x0
	s_delay_alu instid0(VALU_DEP_1) | instskip(NEXT) | instid1(VALU_DEP_1)
	v_pk_mul_f32 v[18:19], v[22:23], v[18:19]
	v_add_f32_e32 v14, v18, v19
	global_store_b32 v[16:17], v14, off
.LBB328_32:                             ;   in Loop: Header=BB328_4 Depth=1
	s_wait_xcnt 0x0
	s_or_b32 exec_lo, exec_lo, s20
	s_delay_alu instid0(SALU_CYCLE_1)
	s_and_b32 exec_lo, exec_lo, s4
	s_cbranch_execz .LBB328_2
; %bb.33:                               ;   in Loop: Header=BB328_4 Depth=1
	global_load_b32 v19, v[20:21], off offset:64
	v_mov_b32_e32 v18, v15
	v_mov_b64_e32 v[14:15], s[40:41]
	s_wait_loadcnt 0x0
	s_delay_alu instid0(VALU_DEP_1) | instskip(NEXT) | instid1(VALU_DEP_1)
	v_pk_mul_f32 v[14:15], v[14:15], v[18:19]
	v_add_f32_e32 v14, v14, v15
	global_store_b32 v[16:17], v14, off offset:64
	s_branch .LBB328_2
.LBB328_34:
	s_endpgm
	.section	.rodata,"a",@progbits
	.p2align	6, 0x0
	.amdhsa_kernel _ZN12_GLOBAL__N_135rocblas_gemm_batched_general_kernelIfLi16ELi16ELi32ELi32ELi8ELi32ELi8ELi8ELi32ELc84ELc84EKfS1_fEEvlllT_PT11_llS4_llS2_PT12_llPT13_lli
		.amdhsa_group_segment_fixed_size 2048
		.amdhsa_private_segment_fixed_size 0
		.amdhsa_kernarg_size 140
		.amdhsa_user_sgpr_count 2
		.amdhsa_user_sgpr_dispatch_ptr 0
		.amdhsa_user_sgpr_queue_ptr 0
		.amdhsa_user_sgpr_kernarg_segment_ptr 1
		.amdhsa_user_sgpr_dispatch_id 0
		.amdhsa_user_sgpr_kernarg_preload_length 0
		.amdhsa_user_sgpr_kernarg_preload_offset 0
		.amdhsa_user_sgpr_private_segment_size 0
		.amdhsa_wavefront_size32 1
		.amdhsa_uses_dynamic_stack 0
		.amdhsa_enable_private_segment 0
		.amdhsa_system_sgpr_workgroup_id_x 1
		.amdhsa_system_sgpr_workgroup_id_y 1
		.amdhsa_system_sgpr_workgroup_id_z 1
		.amdhsa_system_sgpr_workgroup_info 0
		.amdhsa_system_vgpr_workitem_id 1
		.amdhsa_next_free_vgpr 52
		.amdhsa_next_free_sgpr 44
		.amdhsa_named_barrier_count 0
		.amdhsa_reserve_vcc 1
		.amdhsa_float_round_mode_32 0
		.amdhsa_float_round_mode_16_64 0
		.amdhsa_float_denorm_mode_32 3
		.amdhsa_float_denorm_mode_16_64 3
		.amdhsa_fp16_overflow 0
		.amdhsa_memory_ordered 1
		.amdhsa_forward_progress 1
		.amdhsa_inst_pref_size 14
		.amdhsa_round_robin_scheduling 0
		.amdhsa_exception_fp_ieee_invalid_op 0
		.amdhsa_exception_fp_denorm_src 0
		.amdhsa_exception_fp_ieee_div_zero 0
		.amdhsa_exception_fp_ieee_overflow 0
		.amdhsa_exception_fp_ieee_underflow 0
		.amdhsa_exception_fp_ieee_inexact 0
		.amdhsa_exception_int_div_zero 0
	.end_amdhsa_kernel
	.section	.text._ZN12_GLOBAL__N_135rocblas_gemm_batched_general_kernelIfLi16ELi16ELi32ELi32ELi8ELi32ELi8ELi8ELi32ELc84ELc84EKfS1_fEEvlllT_PT11_llS4_llS2_PT12_llPT13_lli,"axG",@progbits,_ZN12_GLOBAL__N_135rocblas_gemm_batched_general_kernelIfLi16ELi16ELi32ELi32ELi8ELi32ELi8ELi8ELi32ELc84ELc84EKfS1_fEEvlllT_PT11_llS4_llS2_PT12_llPT13_lli,comdat
.Lfunc_end328:
	.size	_ZN12_GLOBAL__N_135rocblas_gemm_batched_general_kernelIfLi16ELi16ELi32ELi32ELi8ELi32ELi8ELi8ELi32ELc84ELc84EKfS1_fEEvlllT_PT11_llS4_llS2_PT12_llPT13_lli, .Lfunc_end328-_ZN12_GLOBAL__N_135rocblas_gemm_batched_general_kernelIfLi16ELi16ELi32ELi32ELi8ELi32ELi8ELi8ELi32ELc84ELc84EKfS1_fEEvlllT_PT11_llS4_llS2_PT12_llPT13_lli
                                        ; -- End function
	.set _ZN12_GLOBAL__N_135rocblas_gemm_batched_general_kernelIfLi16ELi16ELi32ELi32ELi8ELi32ELi8ELi8ELi32ELc84ELc84EKfS1_fEEvlllT_PT11_llS4_llS2_PT12_llPT13_lli.num_vgpr, 52
	.set _ZN12_GLOBAL__N_135rocblas_gemm_batched_general_kernelIfLi16ELi16ELi32ELi32ELi8ELi32ELi8ELi8ELi32ELc84ELc84EKfS1_fEEvlllT_PT11_llS4_llS2_PT12_llPT13_lli.num_agpr, 0
	.set _ZN12_GLOBAL__N_135rocblas_gemm_batched_general_kernelIfLi16ELi16ELi32ELi32ELi8ELi32ELi8ELi8ELi32ELc84ELc84EKfS1_fEEvlllT_PT11_llS4_llS2_PT12_llPT13_lli.numbered_sgpr, 44
	.set _ZN12_GLOBAL__N_135rocblas_gemm_batched_general_kernelIfLi16ELi16ELi32ELi32ELi8ELi32ELi8ELi8ELi32ELc84ELc84EKfS1_fEEvlllT_PT11_llS4_llS2_PT12_llPT13_lli.num_named_barrier, 0
	.set _ZN12_GLOBAL__N_135rocblas_gemm_batched_general_kernelIfLi16ELi16ELi32ELi32ELi8ELi32ELi8ELi8ELi32ELc84ELc84EKfS1_fEEvlllT_PT11_llS4_llS2_PT12_llPT13_lli.private_seg_size, 0
	.set _ZN12_GLOBAL__N_135rocblas_gemm_batched_general_kernelIfLi16ELi16ELi32ELi32ELi8ELi32ELi8ELi8ELi32ELc84ELc84EKfS1_fEEvlllT_PT11_llS4_llS2_PT12_llPT13_lli.uses_vcc, 1
	.set _ZN12_GLOBAL__N_135rocblas_gemm_batched_general_kernelIfLi16ELi16ELi32ELi32ELi8ELi32ELi8ELi8ELi32ELc84ELc84EKfS1_fEEvlllT_PT11_llS4_llS2_PT12_llPT13_lli.uses_flat_scratch, 0
	.set _ZN12_GLOBAL__N_135rocblas_gemm_batched_general_kernelIfLi16ELi16ELi32ELi32ELi8ELi32ELi8ELi8ELi32ELc84ELc84EKfS1_fEEvlllT_PT11_llS4_llS2_PT12_llPT13_lli.has_dyn_sized_stack, 0
	.set _ZN12_GLOBAL__N_135rocblas_gemm_batched_general_kernelIfLi16ELi16ELi32ELi32ELi8ELi32ELi8ELi8ELi32ELc84ELc84EKfS1_fEEvlllT_PT11_llS4_llS2_PT12_llPT13_lli.has_recursion, 0
	.set _ZN12_GLOBAL__N_135rocblas_gemm_batched_general_kernelIfLi16ELi16ELi32ELi32ELi8ELi32ELi8ELi8ELi32ELc84ELc84EKfS1_fEEvlllT_PT11_llS4_llS2_PT12_llPT13_lli.has_indirect_call, 0
	.section	.AMDGPU.csdata,"",@progbits
; Kernel info:
; codeLenInByte = 1760
; TotalNumSgprs: 46
; NumVgprs: 52
; ScratchSize: 0
; MemoryBound: 0
; FloatMode: 240
; IeeeMode: 1
; LDSByteSize: 2048 bytes/workgroup (compile time only)
; SGPRBlocks: 0
; VGPRBlocks: 3
; NumSGPRsForWavesPerEU: 46
; NumVGPRsForWavesPerEU: 52
; NamedBarCnt: 0
; Occupancy: 16
; WaveLimiterHint : 0
; COMPUTE_PGM_RSRC2:SCRATCH_EN: 0
; COMPUTE_PGM_RSRC2:USER_SGPR: 2
; COMPUTE_PGM_RSRC2:TRAP_HANDLER: 0
; COMPUTE_PGM_RSRC2:TGID_X_EN: 1
; COMPUTE_PGM_RSRC2:TGID_Y_EN: 1
; COMPUTE_PGM_RSRC2:TGID_Z_EN: 1
; COMPUTE_PGM_RSRC2:TIDIG_COMP_CNT: 1
	.section	.text._ZN12_GLOBAL__N_135rocblas_gemm_batched_general_kernelIfLi16ELi16ELi32ELi32ELi8ELi32ELi8ELi8ELi32ELc67ELc67EKfS1_fEEvlllT_PT11_llS4_llS2_PT12_llPT13_lli,"axG",@progbits,_ZN12_GLOBAL__N_135rocblas_gemm_batched_general_kernelIfLi16ELi16ELi32ELi32ELi8ELi32ELi8ELi8ELi32ELc67ELc67EKfS1_fEEvlllT_PT11_llS4_llS2_PT12_llPT13_lli,comdat
	.globl	_ZN12_GLOBAL__N_135rocblas_gemm_batched_general_kernelIfLi16ELi16ELi32ELi32ELi8ELi32ELi8ELi8ELi32ELc67ELc67EKfS1_fEEvlllT_PT11_llS4_llS2_PT12_llPT13_lli ; -- Begin function _ZN12_GLOBAL__N_135rocblas_gemm_batched_general_kernelIfLi16ELi16ELi32ELi32ELi8ELi32ELi8ELi8ELi32ELc67ELc67EKfS1_fEEvlllT_PT11_llS4_llS2_PT12_llPT13_lli
	.p2align	8
	.type	_ZN12_GLOBAL__N_135rocblas_gemm_batched_general_kernelIfLi16ELi16ELi32ELi32ELi8ELi32ELi8ELi8ELi32ELc67ELc67EKfS1_fEEvlllT_PT11_llS4_llS2_PT12_llPT13_lli,@function
_ZN12_GLOBAL__N_135rocblas_gemm_batched_general_kernelIfLi16ELi16ELi32ELi32ELi8ELi32ELi8ELi8ELi32ELc67ELc67EKfS1_fEEvlllT_PT11_llS4_llS2_PT12_llPT13_lli: ; @_ZN12_GLOBAL__N_135rocblas_gemm_batched_general_kernelIfLi16ELi16ELi32ELi32ELi8ELi32ELi8ELi8ELi32ELc67ELc67EKfS1_fEEvlllT_PT11_llS4_llS2_PT12_llPT13_lli
; %bb.0:
	s_load_b32 s33, s[0:1], 0x88
	s_bfe_u32 s2, ttmp6, 0x40014
	s_lshr_b32 s3, ttmp7, 16
	s_add_co_i32 s2, s2, 1
	s_bfe_u32 s5, ttmp6, 0x40008
	s_mul_i32 s4, s3, s2
	s_getreg_b32 s2, hwreg(HW_REG_IB_STS2, 6, 4)
	s_add_co_i32 s5, s5, s4
	s_cmp_eq_u32 s2, 0
	s_mov_b32 s35, 0
	s_cselect_b32 s34, s3, s5
	s_wait_kmcnt 0x0
	s_cmp_ge_i32 s34, s33
	s_cbranch_scc1 .LBB329_34
; %bb.1:
	s_clause 0x4
	s_load_b128 s[4:7], s[0:1], 0x0
	s_load_b256 s[16:23], s[0:1], 0x20
	s_load_b128 s[28:31], s[0:1], 0x40
	s_load_b32 s41, s[0:1], 0x50
	s_load_b256 s[8:15], s[0:1], 0x58
	v_bfe_u32 v8, v0, 10, 10
	v_and_b32_e32 v10, 0x3ff, v0
	v_dual_mov_b32 v9, 0 :: v_dual_bitop2_b32 v0, 7, v0 bitop3:0x40
	s_bfe_u32 s3, ttmp6, 0x4000c
	s_bfe_u32 s25, ttmp6, 0x40010
	s_add_co_i32 s3, s3, 1
	s_and_b32 s26, ttmp7, 0xffff
	s_add_co_i32 s25, s25, 1
	s_and_b32 s24, ttmp6, 15
	s_mul_i32 s3, ttmp9, s3
	s_mul_i32 s25, s26, s25
	s_bfe_u32 s27, ttmp6, 0x40004
	v_lshl_add_u32 v2, v8, 4, v10
	v_mov_b32_e32 v1, v9
	s_add_co_i32 s24, s24, s3
	s_add_co_i32 s27, s27, s25
	s_cmp_eq_u32 s2, 0
	v_and_b32_e32 v3, 31, v2
	s_cselect_b32 s2, ttmp9, s24
	s_wait_kmcnt 0x0
	v_mul_u64_e32 v[12:13], s[28:29], v[0:1]
	s_cselect_b32 s40, s26, s27
	s_ashr_i32 s3, s2, 31
	s_clause 0x1
	s_load_b128 s[24:27], s[0:1], 0x78
	s_load_b96 s[36:38], s[0:1], 0x10
	s_lshl_b64 s[2:3], s[2:3], 5
	s_lshl_b32 s42, s40, 5
	v_dual_mov_b32 v5, s3 :: v_dual_bitop2_b32 v4, s2, v3 bitop3:0x54
	s_mov_b32 s43, s35
	v_dual_mov_b32 v11, v9 :: v_dual_lshrrev_b32 v16, 3, v2
	v_add_nc_u64_e32 v[14:15], s[42:43], v[8:9]
	s_delay_alu instid0(VALU_DEP_3)
	v_mul_u64_e32 v[18:19], s[18:19], v[4:5]
	v_dual_mov_b32 v17, v9 :: v_dual_lshrrev_b32 v2, 5, v2
	s_wait_xcnt 0x0
	v_cmp_gt_i64_e64 s0, s[4:5], v[4:5]
	s_cmp_eq_f32 s41, 0
	v_dual_lshlrev_b32 v22, 2, v0 :: v_dual_lshlrev_b32 v23, 2, v3
	v_mul_u64_e32 v[20:21], s[10:11], v[14:15]
	v_add_nc_u64_e32 v[6:7], s[42:43], v[16:17]
	s_cselect_b32 s39, -1, 0
	s_wait_kmcnt 0x0
	v_mul_u64_e32 v[4:5], s[24:25], v[14:15]
	v_mov_b32_e32 v3, v9
	v_lshl_add_u32 v30, v8, 5, 0x400
	v_lshlrev_b32_e32 v8, 2, v16
	v_lshl_or_b32 v17, v16, 5, v22
	v_cmp_gt_i64_e64 s1, s[6:7], v[6:7]
	v_add_nc_u64_e32 v[6:7], s[2:3], v[10:11]
	s_lshl_b32 s2, s40, 7
	s_mov_b32 s3, s35
	v_lshlrev_b32_e32 v31, 2, v10
	v_lshl_add_u64 v[12:13], v[12:13], 2, s[2:3]
	v_lshl_or_b32 v28, v2, 7, v23
	v_add_nc_u32_e32 v29, 0x400, v17
	v_add_nc_u64_e32 v[16:17], 16, v[6:7]
	v_add_nc_u64_e32 v[22:23], 16, v[14:15]
	;; [unrolled: 1-line block ×3, first 2 shown]
	v_lshlrev_b32_e32 v8, 2, v2
	v_cmp_gt_i64_e64 s2, s[6:7], v[14:15]
	v_cmp_gt_i64_e64 s3, s[4:5], v[6:7]
	s_mov_b32 s40, s38
	v_cmp_gt_i64_e64 s4, s[4:5], v[16:17]
	v_cmp_gt_i64_e64 s5, s[6:7], v[22:23]
	v_lshl_add_u64 v[12:13], v[18:19], 2, v[8:9]
	v_add_nc_u64_e32 v[10:11], s[22:23], v[10:11]
	v_cmp_gt_i64_e64 s22, s[36:37], 0
	s_lshl_b64 s[6:7], s[24:25], 4
	s_lshl_b64 s[10:11], s[10:11], 4
	v_add_nc_u64_e32 v[12:13], s[16:17], v[12:13]
	s_lshl_b64 s[16:17], s[28:29], 5
	v_lshl_add_u64 v[8:9], v[20:21], 2, s[8:9]
	s_lshl_b64 s[8:9], s[30:31], 2
	s_lshl_b64 s[18:19], s[20:21], 2
	s_branch .LBB329_4
.LBB329_2:                              ;   in Loop: Header=BB329_4 Depth=1
	s_wait_xcnt 0x0
	s_or_b32 exec_lo, exec_lo, s23
.LBB329_3:                              ;   in Loop: Header=BB329_4 Depth=1
	s_add_co_i32 s34, s34, 0x10000
	s_delay_alu instid0(SALU_CYCLE_1)
	s_cmp_lt_i32 s34, s33
	s_cbranch_scc0 .LBB329_34
.LBB329_4:                              ; =>This Loop Header: Depth=1
                                        ;     Child Loop BB329_7 Depth 2
	v_dual_mov_b32 v17, 0 :: v_dual_mov_b32 v16, 0
	v_dual_mov_b32 v15, 0 :: v_dual_mov_b32 v14, 0
	s_and_not1_b32 vcc_lo, exec_lo, s22
	s_cbranch_vccnz .LBB329_11
; %bb.5:                                ;   in Loop: Header=BB329_4 Depth=1
	v_mad_nc_u64_u32 v[18:19], s8, s34, v[10:11]
	v_mad_nc_u64_u32 v[20:21], s18, s34, v[12:13]
	v_mov_b32_e32 v16, 0
	s_mov_b64 s[20:21], 0
	s_delay_alu instid0(VALU_DEP_1)
	v_dual_mov_b32 v17, v16 :: v_dual_mov_b32 v14, v16
	v_mov_b32_e32 v15, v16
	v_mad_u32 v19, s9, s34, v19
	v_mad_u32 v21, s19, s34, v21
	s_branch .LBB329_7
.LBB329_6:                              ;   in Loop: Header=BB329_7 Depth=2
	s_wait_xcnt 0x0
	s_or_b32 exec_lo, exec_lo, s23
	s_wait_loadcnt 0x0
	ds_store_b32 v29, v23
	s_wait_dscnt 0x0
	s_barrier_signal -1
	s_barrier_wait -1
	ds_load_b128 v[22:25], v30
	ds_load_2addr_b32 v[26:27], v31 offset1:16
	ds_load_b128 v[32:35], v30 offset:512
	ds_load_2addr_b32 v[44:45], v31 offset0:32 offset1:48
	ds_load_2addr_b32 v[46:47], v31 offset0:64 offset1:80
	ds_load_2addr_b32 v[48:49], v31 offset0:96 offset1:112
	ds_load_b128 v[36:39], v30 offset:16
	ds_load_2addr_b32 v[50:51], v31 offset0:128 offset1:144
	ds_load_b128 v[40:43], v30 offset:528
	s_add_nc_u64 s[20:21], s[20:21], 8
	v_add_nc_u64_e32 v[18:19], s[16:17], v[18:19]
	v_cmp_lt_i64_e64 s23, s[20:21], s[36:37]
	v_add_nc_u64_e32 v[20:21], 32, v[20:21]
	s_and_b32 vcc_lo, exec_lo, s23
	s_wait_dscnt 0x7
	v_pk_fma_f32 v[16:17], v[26:27], v[22:23], v[16:17] op_sel_hi:[1,0,1]
	s_wait_dscnt 0x6
	v_pk_fma_f32 v[14:15], v[26:27], v[32:33], v[14:15] op_sel_hi:[1,0,1]
	ds_load_2addr_b32 v[26:27], v31 offset0:160 offset1:176
	s_wait_dscnt 0x6
	v_pk_fma_f32 v[16:17], v[44:45], v[22:23], v[16:17] op_sel:[0,1,0]
	v_pk_fma_f32 v[14:15], v[44:45], v[32:33], v[14:15] op_sel:[0,1,0]
	ds_load_2addr_b32 v[22:23], v31 offset0:192 offset1:208
	v_dual_mov_b32 v32, v25 :: v_dual_mov_b32 v44, v35
	s_wait_dscnt 0x6
	v_pk_fma_f32 v[16:17], v[46:47], v[24:25], v[16:17] op_sel_hi:[1,0,1]
	v_pk_fma_f32 v[14:15], v[46:47], v[34:35], v[14:15] op_sel_hi:[1,0,1]
	ds_load_2addr_b32 v[24:25], v31 offset0:224 offset1:240
	s_wait_dscnt 0x0
	s_barrier_signal -1
	v_pk_fma_f32 v[16:17], v[48:49], v[32:33], v[16:17] op_sel_hi:[1,0,1]
	v_pk_fma_f32 v[14:15], v[48:49], v[44:45], v[14:15] op_sel_hi:[1,0,1]
	s_barrier_wait -1
	v_mov_b32_e32 v32, v43
	s_delay_alu instid0(VALU_DEP_3) | instskip(NEXT) | instid1(VALU_DEP_3)
	v_pk_fma_f32 v[16:17], v[50:51], v[36:37], v[16:17] op_sel_hi:[1,0,1]
	v_pk_fma_f32 v[14:15], v[50:51], v[40:41], v[14:15] op_sel_hi:[1,0,1]
	s_delay_alu instid0(VALU_DEP_2) | instskip(NEXT) | instid1(VALU_DEP_2)
	v_pk_fma_f32 v[16:17], v[26:27], v[36:37], v[16:17] op_sel:[0,1,0]
	v_pk_fma_f32 v[14:15], v[26:27], v[40:41], v[14:15] op_sel:[0,1,0]
	v_mov_b32_e32 v26, v39
	s_delay_alu instid0(VALU_DEP_3) | instskip(NEXT) | instid1(VALU_DEP_3)
	v_pk_fma_f32 v[16:17], v[22:23], v[38:39], v[16:17] op_sel_hi:[1,0,1]
	v_pk_fma_f32 v[14:15], v[22:23], v[42:43], v[14:15] op_sel_hi:[1,0,1]
	s_delay_alu instid0(VALU_DEP_2) | instskip(NEXT) | instid1(VALU_DEP_2)
	v_pk_fma_f32 v[16:17], v[24:25], v[26:27], v[16:17] op_sel_hi:[1,0,1]
	v_pk_fma_f32 v[14:15], v[24:25], v[32:33], v[14:15] op_sel_hi:[1,0,1]
	s_cbranch_vccz .LBB329_11
.LBB329_7:                              ;   Parent Loop BB329_4 Depth=1
                                        ; =>  This Inner Loop Header: Depth=2
	v_add_nc_u64_e32 v[22:23], s[20:21], v[2:3]
	s_delay_alu instid0(VALU_DEP_1) | instskip(SKIP_2) | instid1(SALU_CYCLE_1)
	v_cmp_gt_i64_e32 vcc_lo, s[36:37], v[22:23]
	v_mov_b32_e32 v22, 0
	s_and_b32 s24, s0, vcc_lo
	s_and_saveexec_b32 s23, s24
	s_cbranch_execz .LBB329_9
; %bb.8:                                ;   in Loop: Header=BB329_7 Depth=2
	global_load_b32 v22, v[20:21], off
.LBB329_9:                              ;   in Loop: Header=BB329_7 Depth=2
	s_wait_xcnt 0x0
	s_or_b32 exec_lo, exec_lo, s23
	v_add_nc_u64_e32 v[24:25], s[20:21], v[0:1]
	v_mov_b32_e32 v23, 0
	s_wait_loadcnt 0x0
	ds_store_b32 v28, v22
	v_cmp_gt_i64_e32 vcc_lo, s[36:37], v[24:25]
	s_and_b32 s24, vcc_lo, s1
	s_delay_alu instid0(SALU_CYCLE_1)
	s_and_saveexec_b32 s23, s24
	s_cbranch_execz .LBB329_6
; %bb.10:                               ;   in Loop: Header=BB329_7 Depth=2
	global_load_b32 v23, v[18:19], off
	s_branch .LBB329_6
.LBB329_11:                             ;   in Loop: Header=BB329_4 Depth=1
	s_mul_u64 s[20:21], s[26:27], s[34:35]
	s_and_not1_b32 vcc_lo, exec_lo, s39
	s_lshl_b64 s[20:21], s[20:21], 2
	s_delay_alu instid0(SALU_CYCLE_1)
	s_add_nc_u64 s[20:21], s[14:15], s[20:21]
	s_cbranch_vccnz .LBB329_16
; %bb.12:                               ;   in Loop: Header=BB329_4 Depth=1
	s_and_saveexec_b32 s23, s2
	s_cbranch_execz .LBB329_23
; %bb.13:                               ;   in Loop: Header=BB329_4 Depth=1
	v_lshl_add_u64 v[18:19], v[4:5], 2, s[20:21]
	s_delay_alu instid0(VALU_DEP_1)
	v_lshl_add_u64 v[20:21], v[6:7], 2, v[18:19]
	s_and_saveexec_b32 s24, s3
	s_cbranch_execnz .LBB329_17
; %bb.14:                               ;   in Loop: Header=BB329_4 Depth=1
	s_or_b32 exec_lo, exec_lo, s24
	s_and_saveexec_b32 s24, s4
	s_cbranch_execnz .LBB329_18
.LBB329_15:                             ;   in Loop: Header=BB329_4 Depth=1
	s_or_b32 exec_lo, exec_lo, s24
	s_delay_alu instid0(SALU_CYCLE_1)
	s_and_b32 exec_lo, exec_lo, s5
	s_cbranch_execnz .LBB329_19
	s_branch .LBB329_23
.LBB329_16:                             ;   in Loop: Header=BB329_4 Depth=1
	s_branch .LBB329_24
.LBB329_17:                             ;   in Loop: Header=BB329_4 Depth=1
	v_mul_f32_e32 v22, s38, v16
	global_store_b32 v[20:21], v22, off
	s_wait_xcnt 0x0
	s_or_b32 exec_lo, exec_lo, s24
	s_and_saveexec_b32 s24, s4
	s_cbranch_execz .LBB329_15
.LBB329_18:                             ;   in Loop: Header=BB329_4 Depth=1
	v_mul_f32_e32 v22, s38, v17
	global_store_b32 v[20:21], v22, off offset:64
	s_wait_xcnt 0x0
	s_or_b32 exec_lo, exec_lo, s24
	s_delay_alu instid0(SALU_CYCLE_1)
	s_and_b32 exec_lo, exec_lo, s5
	s_cbranch_execz .LBB329_23
.LBB329_19:                             ;   in Loop: Header=BB329_4 Depth=1
	v_lshl_add_u64 v[18:19], s[6:7], 2, v[18:19]
	s_delay_alu instid0(VALU_DEP_1)
	v_lshl_add_u64 v[18:19], v[6:7], 2, v[18:19]
	s_and_saveexec_b32 s24, s3
	s_cbranch_execz .LBB329_21
; %bb.20:                               ;   in Loop: Header=BB329_4 Depth=1
	v_mul_f32_e32 v20, s38, v14
	global_store_b32 v[18:19], v20, off
.LBB329_21:                             ;   in Loop: Header=BB329_4 Depth=1
	s_wait_xcnt 0x0
	s_or_b32 exec_lo, exec_lo, s24
	s_delay_alu instid0(SALU_CYCLE_1)
	s_and_b32 exec_lo, exec_lo, s4
	s_cbranch_execz .LBB329_23
; %bb.22:                               ;   in Loop: Header=BB329_4 Depth=1
	v_mul_f32_e32 v20, s38, v15
	global_store_b32 v[18:19], v20, off offset:64
.LBB329_23:                             ;   in Loop: Header=BB329_4 Depth=1
	s_wait_xcnt 0x0
	s_or_b32 exec_lo, exec_lo, s23
	s_cbranch_execnz .LBB329_3
.LBB329_24:                             ;   in Loop: Header=BB329_4 Depth=1
	s_and_saveexec_b32 s23, s2
	s_cbranch_execz .LBB329_2
; %bb.25:                               ;   in Loop: Header=BB329_4 Depth=1
	s_mul_u64 s[24:25], s[12:13], s[34:35]
	v_lshlrev_b64_e32 v[18:19], 2, v[6:7]
	v_lshl_add_u64 v[20:21], s[24:25], 2, v[8:9]
	v_lshl_add_u64 v[22:23], v[4:5], 2, s[20:21]
	s_delay_alu instid0(VALU_DEP_2) | instskip(NEXT) | instid1(VALU_DEP_2)
	v_add_nc_u64_e32 v[26:27], v[20:21], v[18:19]
	v_add_nc_u64_e32 v[24:25], v[22:23], v[18:19]
	s_and_saveexec_b32 s20, s3
	s_cbranch_execnz .LBB329_28
; %bb.26:                               ;   in Loop: Header=BB329_4 Depth=1
	s_or_b32 exec_lo, exec_lo, s20
	s_and_saveexec_b32 s20, s4
	s_cbranch_execnz .LBB329_29
.LBB329_27:                             ;   in Loop: Header=BB329_4 Depth=1
	s_or_b32 exec_lo, exec_lo, s20
	s_delay_alu instid0(SALU_CYCLE_1)
	s_and_b32 exec_lo, exec_lo, s5
	s_cbranch_execz .LBB329_2
	s_branch .LBB329_30
.LBB329_28:                             ;   in Loop: Header=BB329_4 Depth=1
	global_load_b32 v33, v[26:27], off
	v_mov_b64_e32 v[34:35], s[40:41]
	v_mov_b32_e32 v32, v16
	s_wait_loadcnt 0x0
	s_delay_alu instid0(VALU_DEP_1) | instskip(NEXT) | instid1(VALU_DEP_1)
	v_pk_mul_f32 v[32:33], v[34:35], v[32:33]
	v_add_f32_e32 v16, v32, v33
	global_store_b32 v[24:25], v16, off
	s_wait_xcnt 0x0
	s_or_b32 exec_lo, exec_lo, s20
	s_and_saveexec_b32 s20, s4
	s_cbranch_execz .LBB329_27
.LBB329_29:                             ;   in Loop: Header=BB329_4 Depth=1
	global_load_b32 v27, v[26:27], off offset:64
	s_wait_xcnt 0x0
	v_mov_b32_e32 v26, v17
	v_mov_b64_e32 v[16:17], s[40:41]
	s_wait_loadcnt 0x0
	s_delay_alu instid0(VALU_DEP_1) | instskip(NEXT) | instid1(VALU_DEP_1)
	v_pk_mul_f32 v[16:17], v[16:17], v[26:27]
	v_add_f32_e32 v16, v16, v17
	global_store_b32 v[24:25], v16, off offset:64
	s_wait_xcnt 0x0
	s_or_b32 exec_lo, exec_lo, s20
	s_delay_alu instid0(SALU_CYCLE_1)
	s_and_b32 exec_lo, exec_lo, s5
	s_cbranch_execz .LBB329_2
.LBB329_30:                             ;   in Loop: Header=BB329_4 Depth=1
	v_lshl_add_u64 v[16:17], s[10:11], 2, v[20:21]
	v_lshl_add_u64 v[22:23], s[6:7], 2, v[22:23]
	s_delay_alu instid0(VALU_DEP_2) | instskip(NEXT) | instid1(VALU_DEP_2)
	v_add_nc_u64_e32 v[20:21], v[16:17], v[18:19]
	v_add_nc_u64_e32 v[16:17], v[22:23], v[18:19]
	s_and_saveexec_b32 s20, s3
	s_cbranch_execz .LBB329_32
; %bb.31:                               ;   in Loop: Header=BB329_4 Depth=1
	global_load_b32 v19, v[20:21], off
	v_mov_b64_e32 v[22:23], s[40:41]
	v_mov_b32_e32 v18, v14
	s_wait_loadcnt 0x0
	s_delay_alu instid0(VALU_DEP_1) | instskip(NEXT) | instid1(VALU_DEP_1)
	v_pk_mul_f32 v[18:19], v[22:23], v[18:19]
	v_add_f32_e32 v14, v18, v19
	global_store_b32 v[16:17], v14, off
.LBB329_32:                             ;   in Loop: Header=BB329_4 Depth=1
	s_wait_xcnt 0x0
	s_or_b32 exec_lo, exec_lo, s20
	s_delay_alu instid0(SALU_CYCLE_1)
	s_and_b32 exec_lo, exec_lo, s4
	s_cbranch_execz .LBB329_2
; %bb.33:                               ;   in Loop: Header=BB329_4 Depth=1
	global_load_b32 v19, v[20:21], off offset:64
	v_mov_b32_e32 v18, v15
	v_mov_b64_e32 v[14:15], s[40:41]
	s_wait_loadcnt 0x0
	s_delay_alu instid0(VALU_DEP_1) | instskip(NEXT) | instid1(VALU_DEP_1)
	v_pk_mul_f32 v[14:15], v[14:15], v[18:19]
	v_add_f32_e32 v14, v14, v15
	global_store_b32 v[16:17], v14, off offset:64
	s_branch .LBB329_2
.LBB329_34:
	s_endpgm
	.section	.rodata,"a",@progbits
	.p2align	6, 0x0
	.amdhsa_kernel _ZN12_GLOBAL__N_135rocblas_gemm_batched_general_kernelIfLi16ELi16ELi32ELi32ELi8ELi32ELi8ELi8ELi32ELc67ELc67EKfS1_fEEvlllT_PT11_llS4_llS2_PT12_llPT13_lli
		.amdhsa_group_segment_fixed_size 2048
		.amdhsa_private_segment_fixed_size 0
		.amdhsa_kernarg_size 140
		.amdhsa_user_sgpr_count 2
		.amdhsa_user_sgpr_dispatch_ptr 0
		.amdhsa_user_sgpr_queue_ptr 0
		.amdhsa_user_sgpr_kernarg_segment_ptr 1
		.amdhsa_user_sgpr_dispatch_id 0
		.amdhsa_user_sgpr_kernarg_preload_length 0
		.amdhsa_user_sgpr_kernarg_preload_offset 0
		.amdhsa_user_sgpr_private_segment_size 0
		.amdhsa_wavefront_size32 1
		.amdhsa_uses_dynamic_stack 0
		.amdhsa_enable_private_segment 0
		.amdhsa_system_sgpr_workgroup_id_x 1
		.amdhsa_system_sgpr_workgroup_id_y 1
		.amdhsa_system_sgpr_workgroup_id_z 1
		.amdhsa_system_sgpr_workgroup_info 0
		.amdhsa_system_vgpr_workitem_id 1
		.amdhsa_next_free_vgpr 52
		.amdhsa_next_free_sgpr 44
		.amdhsa_named_barrier_count 0
		.amdhsa_reserve_vcc 1
		.amdhsa_float_round_mode_32 0
		.amdhsa_float_round_mode_16_64 0
		.amdhsa_float_denorm_mode_32 3
		.amdhsa_float_denorm_mode_16_64 3
		.amdhsa_fp16_overflow 0
		.amdhsa_memory_ordered 1
		.amdhsa_forward_progress 1
		.amdhsa_inst_pref_size 14
		.amdhsa_round_robin_scheduling 0
		.amdhsa_exception_fp_ieee_invalid_op 0
		.amdhsa_exception_fp_denorm_src 0
		.amdhsa_exception_fp_ieee_div_zero 0
		.amdhsa_exception_fp_ieee_overflow 0
		.amdhsa_exception_fp_ieee_underflow 0
		.amdhsa_exception_fp_ieee_inexact 0
		.amdhsa_exception_int_div_zero 0
	.end_amdhsa_kernel
	.section	.text._ZN12_GLOBAL__N_135rocblas_gemm_batched_general_kernelIfLi16ELi16ELi32ELi32ELi8ELi32ELi8ELi8ELi32ELc67ELc67EKfS1_fEEvlllT_PT11_llS4_llS2_PT12_llPT13_lli,"axG",@progbits,_ZN12_GLOBAL__N_135rocblas_gemm_batched_general_kernelIfLi16ELi16ELi32ELi32ELi8ELi32ELi8ELi8ELi32ELc67ELc67EKfS1_fEEvlllT_PT11_llS4_llS2_PT12_llPT13_lli,comdat
.Lfunc_end329:
	.size	_ZN12_GLOBAL__N_135rocblas_gemm_batched_general_kernelIfLi16ELi16ELi32ELi32ELi8ELi32ELi8ELi8ELi32ELc67ELc67EKfS1_fEEvlllT_PT11_llS4_llS2_PT12_llPT13_lli, .Lfunc_end329-_ZN12_GLOBAL__N_135rocblas_gemm_batched_general_kernelIfLi16ELi16ELi32ELi32ELi8ELi32ELi8ELi8ELi32ELc67ELc67EKfS1_fEEvlllT_PT11_llS4_llS2_PT12_llPT13_lli
                                        ; -- End function
	.set _ZN12_GLOBAL__N_135rocblas_gemm_batched_general_kernelIfLi16ELi16ELi32ELi32ELi8ELi32ELi8ELi8ELi32ELc67ELc67EKfS1_fEEvlllT_PT11_llS4_llS2_PT12_llPT13_lli.num_vgpr, 52
	.set _ZN12_GLOBAL__N_135rocblas_gemm_batched_general_kernelIfLi16ELi16ELi32ELi32ELi8ELi32ELi8ELi8ELi32ELc67ELc67EKfS1_fEEvlllT_PT11_llS4_llS2_PT12_llPT13_lli.num_agpr, 0
	.set _ZN12_GLOBAL__N_135rocblas_gemm_batched_general_kernelIfLi16ELi16ELi32ELi32ELi8ELi32ELi8ELi8ELi32ELc67ELc67EKfS1_fEEvlllT_PT11_llS4_llS2_PT12_llPT13_lli.numbered_sgpr, 44
	.set _ZN12_GLOBAL__N_135rocblas_gemm_batched_general_kernelIfLi16ELi16ELi32ELi32ELi8ELi32ELi8ELi8ELi32ELc67ELc67EKfS1_fEEvlllT_PT11_llS4_llS2_PT12_llPT13_lli.num_named_barrier, 0
	.set _ZN12_GLOBAL__N_135rocblas_gemm_batched_general_kernelIfLi16ELi16ELi32ELi32ELi8ELi32ELi8ELi8ELi32ELc67ELc67EKfS1_fEEvlllT_PT11_llS4_llS2_PT12_llPT13_lli.private_seg_size, 0
	.set _ZN12_GLOBAL__N_135rocblas_gemm_batched_general_kernelIfLi16ELi16ELi32ELi32ELi8ELi32ELi8ELi8ELi32ELc67ELc67EKfS1_fEEvlllT_PT11_llS4_llS2_PT12_llPT13_lli.uses_vcc, 1
	.set _ZN12_GLOBAL__N_135rocblas_gemm_batched_general_kernelIfLi16ELi16ELi32ELi32ELi8ELi32ELi8ELi8ELi32ELc67ELc67EKfS1_fEEvlllT_PT11_llS4_llS2_PT12_llPT13_lli.uses_flat_scratch, 0
	.set _ZN12_GLOBAL__N_135rocblas_gemm_batched_general_kernelIfLi16ELi16ELi32ELi32ELi8ELi32ELi8ELi8ELi32ELc67ELc67EKfS1_fEEvlllT_PT11_llS4_llS2_PT12_llPT13_lli.has_dyn_sized_stack, 0
	.set _ZN12_GLOBAL__N_135rocblas_gemm_batched_general_kernelIfLi16ELi16ELi32ELi32ELi8ELi32ELi8ELi8ELi32ELc67ELc67EKfS1_fEEvlllT_PT11_llS4_llS2_PT12_llPT13_lli.has_recursion, 0
	.set _ZN12_GLOBAL__N_135rocblas_gemm_batched_general_kernelIfLi16ELi16ELi32ELi32ELi8ELi32ELi8ELi8ELi32ELc67ELc67EKfS1_fEEvlllT_PT11_llS4_llS2_PT12_llPT13_lli.has_indirect_call, 0
	.section	.AMDGPU.csdata,"",@progbits
; Kernel info:
; codeLenInByte = 1760
; TotalNumSgprs: 46
; NumVgprs: 52
; ScratchSize: 0
; MemoryBound: 0
; FloatMode: 240
; IeeeMode: 1
; LDSByteSize: 2048 bytes/workgroup (compile time only)
; SGPRBlocks: 0
; VGPRBlocks: 3
; NumSGPRsForWavesPerEU: 46
; NumVGPRsForWavesPerEU: 52
; NamedBarCnt: 0
; Occupancy: 16
; WaveLimiterHint : 0
; COMPUTE_PGM_RSRC2:SCRATCH_EN: 0
; COMPUTE_PGM_RSRC2:USER_SGPR: 2
; COMPUTE_PGM_RSRC2:TRAP_HANDLER: 0
; COMPUTE_PGM_RSRC2:TGID_X_EN: 1
; COMPUTE_PGM_RSRC2:TGID_Y_EN: 1
; COMPUTE_PGM_RSRC2:TGID_Z_EN: 1
; COMPUTE_PGM_RSRC2:TIDIG_COMP_CNT: 1
	.section	.text._ZN12_GLOBAL__N_135rocblas_gemm_batched_general_kernelIfLi16ELi16ELi32ELi32ELi8ELi32ELi8ELi8ELi32ELc67ELc78EKfS1_fEEvlllT_PT11_llS4_llS2_PT12_llPT13_lli,"axG",@progbits,_ZN12_GLOBAL__N_135rocblas_gemm_batched_general_kernelIfLi16ELi16ELi32ELi32ELi8ELi32ELi8ELi8ELi32ELc67ELc78EKfS1_fEEvlllT_PT11_llS4_llS2_PT12_llPT13_lli,comdat
	.globl	_ZN12_GLOBAL__N_135rocblas_gemm_batched_general_kernelIfLi16ELi16ELi32ELi32ELi8ELi32ELi8ELi8ELi32ELc67ELc78EKfS1_fEEvlllT_PT11_llS4_llS2_PT12_llPT13_lli ; -- Begin function _ZN12_GLOBAL__N_135rocblas_gemm_batched_general_kernelIfLi16ELi16ELi32ELi32ELi8ELi32ELi8ELi8ELi32ELc67ELc78EKfS1_fEEvlllT_PT11_llS4_llS2_PT12_llPT13_lli
	.p2align	8
	.type	_ZN12_GLOBAL__N_135rocblas_gemm_batched_general_kernelIfLi16ELi16ELi32ELi32ELi8ELi32ELi8ELi8ELi32ELc67ELc78EKfS1_fEEvlllT_PT11_llS4_llS2_PT12_llPT13_lli,@function
_ZN12_GLOBAL__N_135rocblas_gemm_batched_general_kernelIfLi16ELi16ELi32ELi32ELi8ELi32ELi8ELi8ELi32ELc67ELc78EKfS1_fEEvlllT_PT11_llS4_llS2_PT12_llPT13_lli: ; @_ZN12_GLOBAL__N_135rocblas_gemm_batched_general_kernelIfLi16ELi16ELi32ELi32ELi8ELi32ELi8ELi8ELi32ELc67ELc78EKfS1_fEEvlllT_PT11_llS4_llS2_PT12_llPT13_lli
; %bb.0:
	s_load_b32 s33, s[0:1], 0x88
	s_bfe_u32 s2, ttmp6, 0x40014
	s_lshr_b32 s3, ttmp7, 16
	s_add_co_i32 s2, s2, 1
	s_bfe_u32 s5, ttmp6, 0x40008
	s_mul_i32 s4, s3, s2
	s_getreg_b32 s2, hwreg(HW_REG_IB_STS2, 6, 4)
	s_add_co_i32 s5, s5, s4
	s_cmp_eq_u32 s2, 0
	s_mov_b32 s35, 0
	s_cselect_b32 s34, s3, s5
	s_wait_kmcnt 0x0
	s_cmp_ge_i32 s34, s33
	s_cbranch_scc1 .LBB330_34
; %bb.1:
	v_bfe_u32 v8, v0, 10, 10
	v_and_b32_e32 v10, 0x3ff, v0
	s_clause 0x1
	s_load_b256 s[16:23], s[0:1], 0x20
	s_load_b128 s[4:7], s[0:1], 0x40
	s_bfe_u32 s3, ttmp6, 0x4000c
	s_bfe_u32 s29, ttmp6, 0x40010
	s_add_co_i32 s3, s3, 1
	s_and_b32 s30, ttmp7, 0xffff
	s_add_co_i32 s29, s29, 1
	v_lshl_add_u32 v1, v8, 4, v10
	v_mov_b32_e32 v9, 0
	s_and_b32 s28, ttmp6, 15
	s_mul_i32 s3, ttmp9, s3
	s_mul_i32 s29, s30, s29
	s_bfe_u32 s31, ttmp6, 0x40004
	s_add_co_i32 s28, s28, s3
	s_add_co_i32 s31, s31, s29
	s_clause 0x1
	s_load_b128 s[24:27], s[0:1], 0x78
	s_load_b256 s[8:15], s[0:1], 0x58
	s_cmp_eq_u32 s2, 0
	v_dual_lshrrev_b32 v6, 3, v1 :: v_dual_bitop2_b32 v4, 31, v1 bitop3:0x40
	v_mov_b32_e32 v7, v9
	s_cselect_b32 s2, ttmp9, s28
	s_cselect_b32 s28, s30, s31
	s_ashr_i32 s3, s2, 31
	s_lshl_b32 s36, s28, 5
	s_mov_b32 s37, s35
	s_lshl_b64 s[2:3], s[2:3], 5
	v_add_nc_u64_e32 v[12:13], s[36:37], v[6:7]
	v_dual_mov_b32 v15, s3 :: v_dual_bitop2_b32 v14, s2, v4 bitop3:0x54
	v_add_nc_u64_e32 v[16:17], s[36:37], v[8:9]
	s_clause 0x1
	s_load_b128 s[28:31], s[0:1], 0x0
	s_load_b96 s[36:38], s[0:1], 0x10
	v_dual_mov_b32 v11, v9 :: v_dual_bitop2_b32 v0, 7, v0 bitop3:0x40
	s_wait_kmcnt 0x0
	v_mul_u64_e32 v[18:19], s[4:5], v[12:13]
	v_mul_u64_e32 v[20:21], s[18:19], v[14:15]
	;; [unrolled: 1-line block ×3, first 2 shown]
	v_dual_lshlrev_b32 v25, 2, v4 :: v_dual_lshlrev_b32 v30, 2, v10
	v_mul_u64_e32 v[4:5], s[24:25], v[16:17]
	v_dual_lshrrev_b32 v2, 5, v1 :: v_dual_lshlrev_b32 v24, 2, v0
	s_load_b32 s41, s[0:1], 0x50
	v_lshl_add_u32 v31, v8, 5, 0x400
	v_dual_mov_b32 v3, v9 :: v_dual_mov_b32 v1, v9
	s_delay_alu instid0(VALU_DEP_3)
	v_lshl_or_b32 v26, v6, 5, v24
	v_add_nc_u64_e32 v[6:7], s[2:3], v[10:11]
	v_lshl_or_b32 v28, v2, 7, v25
	v_dual_mov_b32 v25, v9 :: v_dual_lshlrev_b32 v8, 2, v2
	s_wait_xcnt 0x0
	v_cmp_gt_i64_e64 s1, s[30:31], v[12:13]
	v_add_nc_u64_e32 v[12:13], 16, v[16:17]
	v_cmp_gt_i64_e64 s0, s[28:29], v[14:15]
	v_add_nc_u64_e32 v[10:11], 16, v[6:7]
	v_cmp_gt_i64_e64 s2, s[30:31], v[16:17]
	v_cmp_gt_i64_e64 s3, s[28:29], v[6:7]
	v_add_nc_u32_e32 v29, 0x400, v26
	s_mov_b32 s40, s38
	v_cmp_gt_i64_e64 s5, s[30:31], v[12:13]
	v_cmp_gt_i64_e64 s4, s[28:29], v[10:11]
	s_wait_kmcnt 0x0
	s_cmp_eq_f32 s41, 0
	v_lshl_add_u64 v[10:11], v[18:19], 2, v[24:25]
	v_lshl_add_u64 v[12:13], v[20:21], 2, v[8:9]
	;; [unrolled: 1-line block ×3, first 2 shown]
	s_cselect_b32 s39, -1, 0
	s_lshl_b64 s[18:19], s[24:25], 4
	v_add_nc_u64_e32 v[10:11], s[22:23], v[10:11]
	v_add_nc_u64_e32 v[12:13], s[16:17], v[12:13]
	v_cmp_gt_i64_e64 s22, s[36:37], 0
	s_lshl_b64 s[8:9], s[10:11], 4
	s_lshl_b64 s[6:7], s[6:7], 2
	;; [unrolled: 1-line block ×3, first 2 shown]
	s_branch .LBB330_4
.LBB330_2:                              ;   in Loop: Header=BB330_4 Depth=1
	s_wait_xcnt 0x0
	s_or_b32 exec_lo, exec_lo, s20
.LBB330_3:                              ;   in Loop: Header=BB330_4 Depth=1
	s_add_co_i32 s34, s34, 0x10000
	s_delay_alu instid0(SALU_CYCLE_1)
	s_cmp_lt_i32 s34, s33
	s_cbranch_scc0 .LBB330_34
.LBB330_4:                              ; =>This Loop Header: Depth=1
                                        ;     Child Loop BB330_7 Depth 2
	v_dual_mov_b32 v17, 0 :: v_dual_mov_b32 v16, 0
	v_dual_mov_b32 v15, 0 :: v_dual_mov_b32 v14, 0
	s_and_not1_b32 vcc_lo, exec_lo, s22
	s_cbranch_vccnz .LBB330_11
; %bb.5:                                ;   in Loop: Header=BB330_4 Depth=1
	v_mad_nc_u64_u32 v[18:19], s6, s34, v[10:11]
	v_mad_nc_u64_u32 v[20:21], s10, s34, v[12:13]
	v_mov_b32_e32 v16, 0
	s_mov_b64 s[16:17], 0
	s_delay_alu instid0(VALU_DEP_1)
	v_dual_mov_b32 v17, v16 :: v_dual_mov_b32 v14, v16
	v_mov_b32_e32 v15, v16
	v_mad_u32 v19, s7, s34, v19
	v_mad_u32 v21, s11, s34, v21
	s_branch .LBB330_7
.LBB330_6:                              ;   in Loop: Header=BB330_7 Depth=2
	s_wait_xcnt 0x0
	s_or_b32 exec_lo, exec_lo, s20
	s_wait_loadcnt 0x0
	ds_store_b32 v29, v23
	s_wait_dscnt 0x0
	s_barrier_signal -1
	s_barrier_wait -1
	ds_load_b128 v[22:25], v31
	ds_load_2addr_b32 v[26:27], v30 offset1:16
	ds_load_b128 v[32:35], v31 offset:512
	ds_load_2addr_b32 v[44:45], v30 offset0:32 offset1:48
	ds_load_2addr_b32 v[46:47], v30 offset0:64 offset1:80
	;; [unrolled: 1-line block ×3, first 2 shown]
	ds_load_b128 v[36:39], v31 offset:16
	ds_load_2addr_b32 v[50:51], v30 offset0:128 offset1:144
	ds_load_b128 v[40:43], v31 offset:528
	s_add_nc_u64 s[16:17], s[16:17], 8
	v_add_nc_u64_e32 v[18:19], 32, v[18:19]
	v_cmp_lt_i64_e64 s20, s[16:17], s[36:37]
	v_add_nc_u64_e32 v[20:21], 32, v[20:21]
	s_and_b32 vcc_lo, exec_lo, s20
	s_wait_dscnt 0x7
	v_pk_fma_f32 v[16:17], v[26:27], v[22:23], v[16:17] op_sel_hi:[1,0,1]
	s_wait_dscnt 0x6
	v_pk_fma_f32 v[14:15], v[26:27], v[32:33], v[14:15] op_sel_hi:[1,0,1]
	ds_load_2addr_b32 v[26:27], v30 offset0:160 offset1:176
	s_wait_dscnt 0x6
	v_pk_fma_f32 v[16:17], v[44:45], v[22:23], v[16:17] op_sel:[0,1,0]
	v_pk_fma_f32 v[14:15], v[44:45], v[32:33], v[14:15] op_sel:[0,1,0]
	ds_load_2addr_b32 v[22:23], v30 offset0:192 offset1:208
	v_dual_mov_b32 v32, v25 :: v_dual_mov_b32 v44, v35
	s_wait_dscnt 0x6
	v_pk_fma_f32 v[16:17], v[46:47], v[24:25], v[16:17] op_sel_hi:[1,0,1]
	v_pk_fma_f32 v[14:15], v[46:47], v[34:35], v[14:15] op_sel_hi:[1,0,1]
	ds_load_2addr_b32 v[24:25], v30 offset0:224 offset1:240
	s_wait_dscnt 0x0
	s_barrier_signal -1
	v_pk_fma_f32 v[16:17], v[48:49], v[32:33], v[16:17] op_sel_hi:[1,0,1]
	v_pk_fma_f32 v[14:15], v[48:49], v[44:45], v[14:15] op_sel_hi:[1,0,1]
	s_barrier_wait -1
	v_mov_b32_e32 v32, v43
	s_delay_alu instid0(VALU_DEP_3) | instskip(NEXT) | instid1(VALU_DEP_3)
	v_pk_fma_f32 v[16:17], v[50:51], v[36:37], v[16:17] op_sel_hi:[1,0,1]
	v_pk_fma_f32 v[14:15], v[50:51], v[40:41], v[14:15] op_sel_hi:[1,0,1]
	s_delay_alu instid0(VALU_DEP_2) | instskip(NEXT) | instid1(VALU_DEP_2)
	v_pk_fma_f32 v[16:17], v[26:27], v[36:37], v[16:17] op_sel:[0,1,0]
	v_pk_fma_f32 v[14:15], v[26:27], v[40:41], v[14:15] op_sel:[0,1,0]
	v_mov_b32_e32 v26, v39
	s_delay_alu instid0(VALU_DEP_3) | instskip(NEXT) | instid1(VALU_DEP_3)
	v_pk_fma_f32 v[16:17], v[22:23], v[38:39], v[16:17] op_sel_hi:[1,0,1]
	v_pk_fma_f32 v[14:15], v[22:23], v[42:43], v[14:15] op_sel_hi:[1,0,1]
	s_delay_alu instid0(VALU_DEP_2) | instskip(NEXT) | instid1(VALU_DEP_2)
	v_pk_fma_f32 v[16:17], v[24:25], v[26:27], v[16:17] op_sel_hi:[1,0,1]
	v_pk_fma_f32 v[14:15], v[24:25], v[32:33], v[14:15] op_sel_hi:[1,0,1]
	s_cbranch_vccz .LBB330_11
.LBB330_7:                              ;   Parent Loop BB330_4 Depth=1
                                        ; =>  This Inner Loop Header: Depth=2
	v_add_nc_u64_e32 v[22:23], s[16:17], v[2:3]
	s_delay_alu instid0(VALU_DEP_1) | instskip(SKIP_2) | instid1(SALU_CYCLE_1)
	v_cmp_gt_i64_e32 vcc_lo, s[36:37], v[22:23]
	v_mov_b32_e32 v22, 0
	s_and_b32 s21, s0, vcc_lo
	s_and_saveexec_b32 s20, s21
	s_cbranch_execz .LBB330_9
; %bb.8:                                ;   in Loop: Header=BB330_7 Depth=2
	global_load_b32 v22, v[20:21], off
.LBB330_9:                              ;   in Loop: Header=BB330_7 Depth=2
	s_wait_xcnt 0x0
	s_or_b32 exec_lo, exec_lo, s20
	v_add_nc_u64_e32 v[24:25], s[16:17], v[0:1]
	v_mov_b32_e32 v23, 0
	s_wait_loadcnt 0x0
	ds_store_b32 v28, v22
	v_cmp_gt_i64_e32 vcc_lo, s[36:37], v[24:25]
	s_and_b32 s21, vcc_lo, s1
	s_delay_alu instid0(SALU_CYCLE_1)
	s_and_saveexec_b32 s20, s21
	s_cbranch_execz .LBB330_6
; %bb.10:                               ;   in Loop: Header=BB330_7 Depth=2
	global_load_b32 v23, v[18:19], off
	s_branch .LBB330_6
.LBB330_11:                             ;   in Loop: Header=BB330_4 Depth=1
	s_mul_u64 s[16:17], s[26:27], s[34:35]
	s_and_not1_b32 vcc_lo, exec_lo, s39
	s_lshl_b64 s[16:17], s[16:17], 2
	s_delay_alu instid0(SALU_CYCLE_1)
	s_add_nc_u64 s[16:17], s[14:15], s[16:17]
	s_cbranch_vccnz .LBB330_16
; %bb.12:                               ;   in Loop: Header=BB330_4 Depth=1
	s_and_saveexec_b32 s20, s2
	s_cbranch_execz .LBB330_23
; %bb.13:                               ;   in Loop: Header=BB330_4 Depth=1
	v_lshl_add_u64 v[18:19], v[4:5], 2, s[16:17]
	s_delay_alu instid0(VALU_DEP_1)
	v_lshl_add_u64 v[20:21], v[6:7], 2, v[18:19]
	s_and_saveexec_b32 s21, s3
	s_cbranch_execnz .LBB330_17
; %bb.14:                               ;   in Loop: Header=BB330_4 Depth=1
	s_or_b32 exec_lo, exec_lo, s21
	s_and_saveexec_b32 s21, s4
	s_cbranch_execnz .LBB330_18
.LBB330_15:                             ;   in Loop: Header=BB330_4 Depth=1
	s_or_b32 exec_lo, exec_lo, s21
	s_delay_alu instid0(SALU_CYCLE_1)
	s_and_b32 exec_lo, exec_lo, s5
	s_cbranch_execnz .LBB330_19
	s_branch .LBB330_23
.LBB330_16:                             ;   in Loop: Header=BB330_4 Depth=1
	s_branch .LBB330_24
.LBB330_17:                             ;   in Loop: Header=BB330_4 Depth=1
	v_mul_f32_e32 v22, s38, v16
	global_store_b32 v[20:21], v22, off
	s_wait_xcnt 0x0
	s_or_b32 exec_lo, exec_lo, s21
	s_and_saveexec_b32 s21, s4
	s_cbranch_execz .LBB330_15
.LBB330_18:                             ;   in Loop: Header=BB330_4 Depth=1
	v_mul_f32_e32 v22, s38, v17
	global_store_b32 v[20:21], v22, off offset:64
	s_wait_xcnt 0x0
	s_or_b32 exec_lo, exec_lo, s21
	s_delay_alu instid0(SALU_CYCLE_1)
	s_and_b32 exec_lo, exec_lo, s5
	s_cbranch_execz .LBB330_23
.LBB330_19:                             ;   in Loop: Header=BB330_4 Depth=1
	v_lshl_add_u64 v[18:19], s[18:19], 2, v[18:19]
	s_delay_alu instid0(VALU_DEP_1)
	v_lshl_add_u64 v[18:19], v[6:7], 2, v[18:19]
	s_and_saveexec_b32 s21, s3
	s_cbranch_execz .LBB330_21
; %bb.20:                               ;   in Loop: Header=BB330_4 Depth=1
	v_mul_f32_e32 v20, s38, v14
	global_store_b32 v[18:19], v20, off
.LBB330_21:                             ;   in Loop: Header=BB330_4 Depth=1
	s_wait_xcnt 0x0
	s_or_b32 exec_lo, exec_lo, s21
	s_delay_alu instid0(SALU_CYCLE_1)
	s_and_b32 exec_lo, exec_lo, s4
	s_cbranch_execz .LBB330_23
; %bb.22:                               ;   in Loop: Header=BB330_4 Depth=1
	v_mul_f32_e32 v20, s38, v15
	global_store_b32 v[18:19], v20, off offset:64
.LBB330_23:                             ;   in Loop: Header=BB330_4 Depth=1
	s_wait_xcnt 0x0
	s_or_b32 exec_lo, exec_lo, s20
	s_cbranch_execnz .LBB330_3
.LBB330_24:                             ;   in Loop: Header=BB330_4 Depth=1
	s_and_saveexec_b32 s20, s2
	s_cbranch_execz .LBB330_2
; %bb.25:                               ;   in Loop: Header=BB330_4 Depth=1
	s_mul_u64 s[24:25], s[12:13], s[34:35]
	v_lshlrev_b64_e32 v[18:19], 2, v[6:7]
	v_lshl_add_u64 v[20:21], s[24:25], 2, v[8:9]
	v_lshl_add_u64 v[22:23], v[4:5], 2, s[16:17]
	s_delay_alu instid0(VALU_DEP_2) | instskip(NEXT) | instid1(VALU_DEP_2)
	v_add_nc_u64_e32 v[26:27], v[20:21], v[18:19]
	v_add_nc_u64_e32 v[24:25], v[22:23], v[18:19]
	s_and_saveexec_b32 s16, s3
	s_cbranch_execnz .LBB330_28
; %bb.26:                               ;   in Loop: Header=BB330_4 Depth=1
	s_or_b32 exec_lo, exec_lo, s16
	s_and_saveexec_b32 s16, s4
	s_cbranch_execnz .LBB330_29
.LBB330_27:                             ;   in Loop: Header=BB330_4 Depth=1
	s_or_b32 exec_lo, exec_lo, s16
	s_delay_alu instid0(SALU_CYCLE_1)
	s_and_b32 exec_lo, exec_lo, s5
	s_cbranch_execz .LBB330_2
	s_branch .LBB330_30
.LBB330_28:                             ;   in Loop: Header=BB330_4 Depth=1
	global_load_b32 v33, v[26:27], off
	v_mov_b64_e32 v[34:35], s[40:41]
	v_mov_b32_e32 v32, v16
	s_wait_loadcnt 0x0
	s_delay_alu instid0(VALU_DEP_1) | instskip(NEXT) | instid1(VALU_DEP_1)
	v_pk_mul_f32 v[32:33], v[34:35], v[32:33]
	v_add_f32_e32 v16, v32, v33
	global_store_b32 v[24:25], v16, off
	s_wait_xcnt 0x0
	s_or_b32 exec_lo, exec_lo, s16
	s_and_saveexec_b32 s16, s4
	s_cbranch_execz .LBB330_27
.LBB330_29:                             ;   in Loop: Header=BB330_4 Depth=1
	global_load_b32 v27, v[26:27], off offset:64
	s_wait_xcnt 0x0
	v_mov_b32_e32 v26, v17
	v_mov_b64_e32 v[16:17], s[40:41]
	s_wait_loadcnt 0x0
	s_delay_alu instid0(VALU_DEP_1) | instskip(NEXT) | instid1(VALU_DEP_1)
	v_pk_mul_f32 v[16:17], v[16:17], v[26:27]
	v_add_f32_e32 v16, v16, v17
	global_store_b32 v[24:25], v16, off offset:64
	s_wait_xcnt 0x0
	s_or_b32 exec_lo, exec_lo, s16
	s_delay_alu instid0(SALU_CYCLE_1)
	s_and_b32 exec_lo, exec_lo, s5
	s_cbranch_execz .LBB330_2
.LBB330_30:                             ;   in Loop: Header=BB330_4 Depth=1
	v_lshl_add_u64 v[16:17], s[8:9], 2, v[20:21]
	v_lshl_add_u64 v[22:23], s[18:19], 2, v[22:23]
	s_delay_alu instid0(VALU_DEP_2) | instskip(NEXT) | instid1(VALU_DEP_2)
	v_add_nc_u64_e32 v[20:21], v[16:17], v[18:19]
	v_add_nc_u64_e32 v[16:17], v[22:23], v[18:19]
	s_and_saveexec_b32 s16, s3
	s_cbranch_execz .LBB330_32
; %bb.31:                               ;   in Loop: Header=BB330_4 Depth=1
	global_load_b32 v19, v[20:21], off
	v_mov_b64_e32 v[22:23], s[40:41]
	v_mov_b32_e32 v18, v14
	s_wait_loadcnt 0x0
	s_delay_alu instid0(VALU_DEP_1) | instskip(NEXT) | instid1(VALU_DEP_1)
	v_pk_mul_f32 v[18:19], v[22:23], v[18:19]
	v_add_f32_e32 v14, v18, v19
	global_store_b32 v[16:17], v14, off
.LBB330_32:                             ;   in Loop: Header=BB330_4 Depth=1
	s_wait_xcnt 0x0
	s_or_b32 exec_lo, exec_lo, s16
	s_delay_alu instid0(SALU_CYCLE_1)
	s_and_b32 exec_lo, exec_lo, s4
	s_cbranch_execz .LBB330_2
; %bb.33:                               ;   in Loop: Header=BB330_4 Depth=1
	global_load_b32 v19, v[20:21], off offset:64
	v_mov_b32_e32 v18, v15
	v_mov_b64_e32 v[14:15], s[40:41]
	s_wait_loadcnt 0x0
	s_delay_alu instid0(VALU_DEP_1) | instskip(NEXT) | instid1(VALU_DEP_1)
	v_pk_mul_f32 v[14:15], v[14:15], v[18:19]
	v_add_f32_e32 v14, v14, v15
	global_store_b32 v[16:17], v14, off offset:64
	s_branch .LBB330_2
.LBB330_34:
	s_endpgm
	.section	.rodata,"a",@progbits
	.p2align	6, 0x0
	.amdhsa_kernel _ZN12_GLOBAL__N_135rocblas_gemm_batched_general_kernelIfLi16ELi16ELi32ELi32ELi8ELi32ELi8ELi8ELi32ELc67ELc78EKfS1_fEEvlllT_PT11_llS4_llS2_PT12_llPT13_lli
		.amdhsa_group_segment_fixed_size 2048
		.amdhsa_private_segment_fixed_size 0
		.amdhsa_kernarg_size 140
		.amdhsa_user_sgpr_count 2
		.amdhsa_user_sgpr_dispatch_ptr 0
		.amdhsa_user_sgpr_queue_ptr 0
		.amdhsa_user_sgpr_kernarg_segment_ptr 1
		.amdhsa_user_sgpr_dispatch_id 0
		.amdhsa_user_sgpr_kernarg_preload_length 0
		.amdhsa_user_sgpr_kernarg_preload_offset 0
		.amdhsa_user_sgpr_private_segment_size 0
		.amdhsa_wavefront_size32 1
		.amdhsa_uses_dynamic_stack 0
		.amdhsa_enable_private_segment 0
		.amdhsa_system_sgpr_workgroup_id_x 1
		.amdhsa_system_sgpr_workgroup_id_y 1
		.amdhsa_system_sgpr_workgroup_id_z 1
		.amdhsa_system_sgpr_workgroup_info 0
		.amdhsa_system_vgpr_workitem_id 1
		.amdhsa_next_free_vgpr 52
		.amdhsa_next_free_sgpr 42
		.amdhsa_named_barrier_count 0
		.amdhsa_reserve_vcc 1
		.amdhsa_float_round_mode_32 0
		.amdhsa_float_round_mode_16_64 0
		.amdhsa_float_denorm_mode_32 3
		.amdhsa_float_denorm_mode_16_64 3
		.amdhsa_fp16_overflow 0
		.amdhsa_memory_ordered 1
		.amdhsa_forward_progress 1
		.amdhsa_inst_pref_size 14
		.amdhsa_round_robin_scheduling 0
		.amdhsa_exception_fp_ieee_invalid_op 0
		.amdhsa_exception_fp_denorm_src 0
		.amdhsa_exception_fp_ieee_div_zero 0
		.amdhsa_exception_fp_ieee_overflow 0
		.amdhsa_exception_fp_ieee_underflow 0
		.amdhsa_exception_fp_ieee_inexact 0
		.amdhsa_exception_int_div_zero 0
	.end_amdhsa_kernel
	.section	.text._ZN12_GLOBAL__N_135rocblas_gemm_batched_general_kernelIfLi16ELi16ELi32ELi32ELi8ELi32ELi8ELi8ELi32ELc67ELc78EKfS1_fEEvlllT_PT11_llS4_llS2_PT12_llPT13_lli,"axG",@progbits,_ZN12_GLOBAL__N_135rocblas_gemm_batched_general_kernelIfLi16ELi16ELi32ELi32ELi8ELi32ELi8ELi8ELi32ELc67ELc78EKfS1_fEEvlllT_PT11_llS4_llS2_PT12_llPT13_lli,comdat
.Lfunc_end330:
	.size	_ZN12_GLOBAL__N_135rocblas_gemm_batched_general_kernelIfLi16ELi16ELi32ELi32ELi8ELi32ELi8ELi8ELi32ELc67ELc78EKfS1_fEEvlllT_PT11_llS4_llS2_PT12_llPT13_lli, .Lfunc_end330-_ZN12_GLOBAL__N_135rocblas_gemm_batched_general_kernelIfLi16ELi16ELi32ELi32ELi8ELi32ELi8ELi8ELi32ELc67ELc78EKfS1_fEEvlllT_PT11_llS4_llS2_PT12_llPT13_lli
                                        ; -- End function
	.set _ZN12_GLOBAL__N_135rocblas_gemm_batched_general_kernelIfLi16ELi16ELi32ELi32ELi8ELi32ELi8ELi8ELi32ELc67ELc78EKfS1_fEEvlllT_PT11_llS4_llS2_PT12_llPT13_lli.num_vgpr, 52
	.set _ZN12_GLOBAL__N_135rocblas_gemm_batched_general_kernelIfLi16ELi16ELi32ELi32ELi8ELi32ELi8ELi8ELi32ELc67ELc78EKfS1_fEEvlllT_PT11_llS4_llS2_PT12_llPT13_lli.num_agpr, 0
	.set _ZN12_GLOBAL__N_135rocblas_gemm_batched_general_kernelIfLi16ELi16ELi32ELi32ELi8ELi32ELi8ELi8ELi32ELc67ELc78EKfS1_fEEvlllT_PT11_llS4_llS2_PT12_llPT13_lli.numbered_sgpr, 42
	.set _ZN12_GLOBAL__N_135rocblas_gemm_batched_general_kernelIfLi16ELi16ELi32ELi32ELi8ELi32ELi8ELi8ELi32ELc67ELc78EKfS1_fEEvlllT_PT11_llS4_llS2_PT12_llPT13_lli.num_named_barrier, 0
	.set _ZN12_GLOBAL__N_135rocblas_gemm_batched_general_kernelIfLi16ELi16ELi32ELi32ELi8ELi32ELi8ELi8ELi32ELc67ELc78EKfS1_fEEvlllT_PT11_llS4_llS2_PT12_llPT13_lli.private_seg_size, 0
	.set _ZN12_GLOBAL__N_135rocblas_gemm_batched_general_kernelIfLi16ELi16ELi32ELi32ELi8ELi32ELi8ELi8ELi32ELc67ELc78EKfS1_fEEvlllT_PT11_llS4_llS2_PT12_llPT13_lli.uses_vcc, 1
	.set _ZN12_GLOBAL__N_135rocblas_gemm_batched_general_kernelIfLi16ELi16ELi32ELi32ELi8ELi32ELi8ELi8ELi32ELc67ELc78EKfS1_fEEvlllT_PT11_llS4_llS2_PT12_llPT13_lli.uses_flat_scratch, 0
	.set _ZN12_GLOBAL__N_135rocblas_gemm_batched_general_kernelIfLi16ELi16ELi32ELi32ELi8ELi32ELi8ELi8ELi32ELc67ELc78EKfS1_fEEvlllT_PT11_llS4_llS2_PT12_llPT13_lli.has_dyn_sized_stack, 0
	.set _ZN12_GLOBAL__N_135rocblas_gemm_batched_general_kernelIfLi16ELi16ELi32ELi32ELi8ELi32ELi8ELi8ELi32ELc67ELc78EKfS1_fEEvlllT_PT11_llS4_llS2_PT12_llPT13_lli.has_recursion, 0
	.set _ZN12_GLOBAL__N_135rocblas_gemm_batched_general_kernelIfLi16ELi16ELi32ELi32ELi8ELi32ELi8ELi8ELi32ELc67ELc78EKfS1_fEEvlllT_PT11_llS4_llS2_PT12_llPT13_lli.has_indirect_call, 0
	.section	.AMDGPU.csdata,"",@progbits
; Kernel info:
; codeLenInByte = 1760
; TotalNumSgprs: 44
; NumVgprs: 52
; ScratchSize: 0
; MemoryBound: 0
; FloatMode: 240
; IeeeMode: 1
; LDSByteSize: 2048 bytes/workgroup (compile time only)
; SGPRBlocks: 0
; VGPRBlocks: 3
; NumSGPRsForWavesPerEU: 44
; NumVGPRsForWavesPerEU: 52
; NamedBarCnt: 0
; Occupancy: 16
; WaveLimiterHint : 0
; COMPUTE_PGM_RSRC2:SCRATCH_EN: 0
; COMPUTE_PGM_RSRC2:USER_SGPR: 2
; COMPUTE_PGM_RSRC2:TRAP_HANDLER: 0
; COMPUTE_PGM_RSRC2:TGID_X_EN: 1
; COMPUTE_PGM_RSRC2:TGID_Y_EN: 1
; COMPUTE_PGM_RSRC2:TGID_Z_EN: 1
; COMPUTE_PGM_RSRC2:TIDIG_COMP_CNT: 1
	.section	.text._ZN12_GLOBAL__N_135rocblas_gemm_batched_general_kernelIfLi16ELi16ELi32ELi32ELi8ELi32ELi8ELi8ELi32ELc67ELc84EKfS1_fEEvlllT_PT11_llS4_llS2_PT12_llPT13_lli,"axG",@progbits,_ZN12_GLOBAL__N_135rocblas_gemm_batched_general_kernelIfLi16ELi16ELi32ELi32ELi8ELi32ELi8ELi8ELi32ELc67ELc84EKfS1_fEEvlllT_PT11_llS4_llS2_PT12_llPT13_lli,comdat
	.globl	_ZN12_GLOBAL__N_135rocblas_gemm_batched_general_kernelIfLi16ELi16ELi32ELi32ELi8ELi32ELi8ELi8ELi32ELc67ELc84EKfS1_fEEvlllT_PT11_llS4_llS2_PT12_llPT13_lli ; -- Begin function _ZN12_GLOBAL__N_135rocblas_gemm_batched_general_kernelIfLi16ELi16ELi32ELi32ELi8ELi32ELi8ELi8ELi32ELc67ELc84EKfS1_fEEvlllT_PT11_llS4_llS2_PT12_llPT13_lli
	.p2align	8
	.type	_ZN12_GLOBAL__N_135rocblas_gemm_batched_general_kernelIfLi16ELi16ELi32ELi32ELi8ELi32ELi8ELi8ELi32ELc67ELc84EKfS1_fEEvlllT_PT11_llS4_llS2_PT12_llPT13_lli,@function
_ZN12_GLOBAL__N_135rocblas_gemm_batched_general_kernelIfLi16ELi16ELi32ELi32ELi8ELi32ELi8ELi8ELi32ELc67ELc84EKfS1_fEEvlllT_PT11_llS4_llS2_PT12_llPT13_lli: ; @_ZN12_GLOBAL__N_135rocblas_gemm_batched_general_kernelIfLi16ELi16ELi32ELi32ELi8ELi32ELi8ELi8ELi32ELc67ELc84EKfS1_fEEvlllT_PT11_llS4_llS2_PT12_llPT13_lli
; %bb.0:
	s_load_b32 s33, s[0:1], 0x88
	s_bfe_u32 s2, ttmp6, 0x40014
	s_lshr_b32 s3, ttmp7, 16
	s_add_co_i32 s2, s2, 1
	s_bfe_u32 s5, ttmp6, 0x40008
	s_mul_i32 s4, s3, s2
	s_getreg_b32 s2, hwreg(HW_REG_IB_STS2, 6, 4)
	s_add_co_i32 s5, s5, s4
	s_cmp_eq_u32 s2, 0
	s_mov_b32 s35, 0
	s_cselect_b32 s34, s3, s5
	s_wait_kmcnt 0x0
	s_cmp_ge_i32 s34, s33
	s_cbranch_scc1 .LBB331_34
; %bb.1:
	s_clause 0x4
	s_load_b128 s[4:7], s[0:1], 0x0
	s_load_b256 s[16:23], s[0:1], 0x20
	s_load_b128 s[28:31], s[0:1], 0x40
	s_load_b32 s41, s[0:1], 0x50
	s_load_b256 s[8:15], s[0:1], 0x58
	v_bfe_u32 v8, v0, 10, 10
	v_and_b32_e32 v10, 0x3ff, v0
	v_dual_mov_b32 v9, 0 :: v_dual_bitop2_b32 v0, 7, v0 bitop3:0x40
	s_bfe_u32 s3, ttmp6, 0x4000c
	s_bfe_u32 s25, ttmp6, 0x40010
	s_add_co_i32 s3, s3, 1
	s_and_b32 s26, ttmp7, 0xffff
	s_add_co_i32 s25, s25, 1
	s_and_b32 s24, ttmp6, 15
	s_mul_i32 s3, ttmp9, s3
	s_mul_i32 s25, s26, s25
	s_bfe_u32 s27, ttmp6, 0x40004
	v_lshl_add_u32 v2, v8, 4, v10
	v_mov_b32_e32 v1, v9
	s_add_co_i32 s24, s24, s3
	s_add_co_i32 s27, s27, s25
	s_cmp_eq_u32 s2, 0
	v_and_b32_e32 v3, 31, v2
	s_cselect_b32 s2, ttmp9, s24
	s_wait_kmcnt 0x0
	v_mul_u64_e32 v[12:13], s[28:29], v[0:1]
	s_cselect_b32 s40, s26, s27
	s_ashr_i32 s3, s2, 31
	s_clause 0x1
	s_load_b128 s[24:27], s[0:1], 0x78
	s_load_b96 s[36:38], s[0:1], 0x10
	s_lshl_b64 s[2:3], s[2:3], 5
	s_lshl_b32 s42, s40, 5
	v_dual_mov_b32 v5, s3 :: v_dual_bitop2_b32 v4, s2, v3 bitop3:0x54
	s_mov_b32 s43, s35
	v_dual_mov_b32 v11, v9 :: v_dual_lshrrev_b32 v16, 3, v2
	v_add_nc_u64_e32 v[14:15], s[42:43], v[8:9]
	s_delay_alu instid0(VALU_DEP_3)
	v_mul_u64_e32 v[18:19], s[18:19], v[4:5]
	v_dual_mov_b32 v17, v9 :: v_dual_lshrrev_b32 v2, 5, v2
	s_wait_xcnt 0x0
	v_cmp_gt_i64_e64 s0, s[4:5], v[4:5]
	s_cmp_eq_f32 s41, 0
	v_dual_lshlrev_b32 v22, 2, v0 :: v_dual_lshlrev_b32 v23, 2, v3
	v_mul_u64_e32 v[20:21], s[10:11], v[14:15]
	v_add_nc_u64_e32 v[6:7], s[42:43], v[16:17]
	s_cselect_b32 s39, -1, 0
	s_wait_kmcnt 0x0
	v_mul_u64_e32 v[4:5], s[24:25], v[14:15]
	v_mov_b32_e32 v3, v9
	v_lshl_add_u32 v30, v8, 5, 0x400
	v_lshlrev_b32_e32 v8, 2, v16
	v_lshl_or_b32 v17, v16, 5, v22
	v_cmp_gt_i64_e64 s1, s[6:7], v[6:7]
	v_add_nc_u64_e32 v[6:7], s[2:3], v[10:11]
	s_lshl_b32 s2, s40, 7
	s_mov_b32 s3, s35
	v_lshlrev_b32_e32 v31, 2, v10
	v_lshl_add_u64 v[12:13], v[12:13], 2, s[2:3]
	v_lshl_or_b32 v28, v2, 7, v23
	v_add_nc_u32_e32 v29, 0x400, v17
	v_add_nc_u64_e32 v[16:17], 16, v[6:7]
	v_add_nc_u64_e32 v[22:23], 16, v[14:15]
	;; [unrolled: 1-line block ×3, first 2 shown]
	v_lshlrev_b32_e32 v8, 2, v2
	v_cmp_gt_i64_e64 s2, s[6:7], v[14:15]
	v_cmp_gt_i64_e64 s3, s[4:5], v[6:7]
	s_mov_b32 s40, s38
	v_cmp_gt_i64_e64 s4, s[4:5], v[16:17]
	v_cmp_gt_i64_e64 s5, s[6:7], v[22:23]
	v_lshl_add_u64 v[12:13], v[18:19], 2, v[8:9]
	v_add_nc_u64_e32 v[10:11], s[22:23], v[10:11]
	v_cmp_gt_i64_e64 s22, s[36:37], 0
	s_lshl_b64 s[6:7], s[24:25], 4
	s_lshl_b64 s[10:11], s[10:11], 4
	v_add_nc_u64_e32 v[12:13], s[16:17], v[12:13]
	s_lshl_b64 s[16:17], s[28:29], 5
	v_lshl_add_u64 v[8:9], v[20:21], 2, s[8:9]
	s_lshl_b64 s[8:9], s[30:31], 2
	s_lshl_b64 s[18:19], s[20:21], 2
	s_branch .LBB331_4
.LBB331_2:                              ;   in Loop: Header=BB331_4 Depth=1
	s_wait_xcnt 0x0
	s_or_b32 exec_lo, exec_lo, s23
.LBB331_3:                              ;   in Loop: Header=BB331_4 Depth=1
	s_add_co_i32 s34, s34, 0x10000
	s_delay_alu instid0(SALU_CYCLE_1)
	s_cmp_lt_i32 s34, s33
	s_cbranch_scc0 .LBB331_34
.LBB331_4:                              ; =>This Loop Header: Depth=1
                                        ;     Child Loop BB331_7 Depth 2
	v_dual_mov_b32 v17, 0 :: v_dual_mov_b32 v16, 0
	v_dual_mov_b32 v15, 0 :: v_dual_mov_b32 v14, 0
	s_and_not1_b32 vcc_lo, exec_lo, s22
	s_cbranch_vccnz .LBB331_11
; %bb.5:                                ;   in Loop: Header=BB331_4 Depth=1
	v_mad_nc_u64_u32 v[18:19], s8, s34, v[10:11]
	v_mad_nc_u64_u32 v[20:21], s18, s34, v[12:13]
	v_mov_b32_e32 v16, 0
	s_mov_b64 s[20:21], 0
	s_delay_alu instid0(VALU_DEP_1)
	v_dual_mov_b32 v17, v16 :: v_dual_mov_b32 v14, v16
	v_mov_b32_e32 v15, v16
	v_mad_u32 v19, s9, s34, v19
	v_mad_u32 v21, s19, s34, v21
	s_branch .LBB331_7
.LBB331_6:                              ;   in Loop: Header=BB331_7 Depth=2
	s_wait_xcnt 0x0
	s_or_b32 exec_lo, exec_lo, s23
	s_wait_loadcnt 0x0
	ds_store_b32 v29, v23
	s_wait_dscnt 0x0
	s_barrier_signal -1
	s_barrier_wait -1
	ds_load_b128 v[22:25], v30
	ds_load_2addr_b32 v[26:27], v31 offset1:16
	ds_load_b128 v[32:35], v30 offset:512
	ds_load_2addr_b32 v[44:45], v31 offset0:32 offset1:48
	ds_load_2addr_b32 v[46:47], v31 offset0:64 offset1:80
	;; [unrolled: 1-line block ×3, first 2 shown]
	ds_load_b128 v[36:39], v30 offset:16
	ds_load_2addr_b32 v[50:51], v31 offset0:128 offset1:144
	ds_load_b128 v[40:43], v30 offset:528
	s_add_nc_u64 s[20:21], s[20:21], 8
	v_add_nc_u64_e32 v[18:19], s[16:17], v[18:19]
	v_cmp_lt_i64_e64 s23, s[20:21], s[36:37]
	v_add_nc_u64_e32 v[20:21], 32, v[20:21]
	s_and_b32 vcc_lo, exec_lo, s23
	s_wait_dscnt 0x7
	v_pk_fma_f32 v[16:17], v[26:27], v[22:23], v[16:17] op_sel_hi:[1,0,1]
	s_wait_dscnt 0x6
	v_pk_fma_f32 v[14:15], v[26:27], v[32:33], v[14:15] op_sel_hi:[1,0,1]
	ds_load_2addr_b32 v[26:27], v31 offset0:160 offset1:176
	s_wait_dscnt 0x6
	v_pk_fma_f32 v[16:17], v[44:45], v[22:23], v[16:17] op_sel:[0,1,0]
	v_pk_fma_f32 v[14:15], v[44:45], v[32:33], v[14:15] op_sel:[0,1,0]
	ds_load_2addr_b32 v[22:23], v31 offset0:192 offset1:208
	v_dual_mov_b32 v32, v25 :: v_dual_mov_b32 v44, v35
	s_wait_dscnt 0x6
	v_pk_fma_f32 v[16:17], v[46:47], v[24:25], v[16:17] op_sel_hi:[1,0,1]
	v_pk_fma_f32 v[14:15], v[46:47], v[34:35], v[14:15] op_sel_hi:[1,0,1]
	ds_load_2addr_b32 v[24:25], v31 offset0:224 offset1:240
	s_wait_dscnt 0x0
	s_barrier_signal -1
	v_pk_fma_f32 v[16:17], v[48:49], v[32:33], v[16:17] op_sel_hi:[1,0,1]
	v_pk_fma_f32 v[14:15], v[48:49], v[44:45], v[14:15] op_sel_hi:[1,0,1]
	s_barrier_wait -1
	v_mov_b32_e32 v32, v43
	s_delay_alu instid0(VALU_DEP_3) | instskip(NEXT) | instid1(VALU_DEP_3)
	v_pk_fma_f32 v[16:17], v[50:51], v[36:37], v[16:17] op_sel_hi:[1,0,1]
	v_pk_fma_f32 v[14:15], v[50:51], v[40:41], v[14:15] op_sel_hi:[1,0,1]
	s_delay_alu instid0(VALU_DEP_2) | instskip(NEXT) | instid1(VALU_DEP_2)
	v_pk_fma_f32 v[16:17], v[26:27], v[36:37], v[16:17] op_sel:[0,1,0]
	v_pk_fma_f32 v[14:15], v[26:27], v[40:41], v[14:15] op_sel:[0,1,0]
	v_mov_b32_e32 v26, v39
	s_delay_alu instid0(VALU_DEP_3) | instskip(NEXT) | instid1(VALU_DEP_3)
	v_pk_fma_f32 v[16:17], v[22:23], v[38:39], v[16:17] op_sel_hi:[1,0,1]
	v_pk_fma_f32 v[14:15], v[22:23], v[42:43], v[14:15] op_sel_hi:[1,0,1]
	s_delay_alu instid0(VALU_DEP_2) | instskip(NEXT) | instid1(VALU_DEP_2)
	v_pk_fma_f32 v[16:17], v[24:25], v[26:27], v[16:17] op_sel_hi:[1,0,1]
	v_pk_fma_f32 v[14:15], v[24:25], v[32:33], v[14:15] op_sel_hi:[1,0,1]
	s_cbranch_vccz .LBB331_11
.LBB331_7:                              ;   Parent Loop BB331_4 Depth=1
                                        ; =>  This Inner Loop Header: Depth=2
	v_add_nc_u64_e32 v[22:23], s[20:21], v[2:3]
	s_delay_alu instid0(VALU_DEP_1) | instskip(SKIP_2) | instid1(SALU_CYCLE_1)
	v_cmp_gt_i64_e32 vcc_lo, s[36:37], v[22:23]
	v_mov_b32_e32 v22, 0
	s_and_b32 s24, s0, vcc_lo
	s_and_saveexec_b32 s23, s24
	s_cbranch_execz .LBB331_9
; %bb.8:                                ;   in Loop: Header=BB331_7 Depth=2
	global_load_b32 v22, v[20:21], off
.LBB331_9:                              ;   in Loop: Header=BB331_7 Depth=2
	s_wait_xcnt 0x0
	s_or_b32 exec_lo, exec_lo, s23
	v_add_nc_u64_e32 v[24:25], s[20:21], v[0:1]
	v_mov_b32_e32 v23, 0
	s_wait_loadcnt 0x0
	ds_store_b32 v28, v22
	v_cmp_gt_i64_e32 vcc_lo, s[36:37], v[24:25]
	s_and_b32 s24, vcc_lo, s1
	s_delay_alu instid0(SALU_CYCLE_1)
	s_and_saveexec_b32 s23, s24
	s_cbranch_execz .LBB331_6
; %bb.10:                               ;   in Loop: Header=BB331_7 Depth=2
	global_load_b32 v23, v[18:19], off
	s_branch .LBB331_6
.LBB331_11:                             ;   in Loop: Header=BB331_4 Depth=1
	s_mul_u64 s[20:21], s[26:27], s[34:35]
	s_and_not1_b32 vcc_lo, exec_lo, s39
	s_lshl_b64 s[20:21], s[20:21], 2
	s_delay_alu instid0(SALU_CYCLE_1)
	s_add_nc_u64 s[20:21], s[14:15], s[20:21]
	s_cbranch_vccnz .LBB331_16
; %bb.12:                               ;   in Loop: Header=BB331_4 Depth=1
	s_and_saveexec_b32 s23, s2
	s_cbranch_execz .LBB331_23
; %bb.13:                               ;   in Loop: Header=BB331_4 Depth=1
	v_lshl_add_u64 v[18:19], v[4:5], 2, s[20:21]
	s_delay_alu instid0(VALU_DEP_1)
	v_lshl_add_u64 v[20:21], v[6:7], 2, v[18:19]
	s_and_saveexec_b32 s24, s3
	s_cbranch_execnz .LBB331_17
; %bb.14:                               ;   in Loop: Header=BB331_4 Depth=1
	s_or_b32 exec_lo, exec_lo, s24
	s_and_saveexec_b32 s24, s4
	s_cbranch_execnz .LBB331_18
.LBB331_15:                             ;   in Loop: Header=BB331_4 Depth=1
	s_or_b32 exec_lo, exec_lo, s24
	s_delay_alu instid0(SALU_CYCLE_1)
	s_and_b32 exec_lo, exec_lo, s5
	s_cbranch_execnz .LBB331_19
	s_branch .LBB331_23
.LBB331_16:                             ;   in Loop: Header=BB331_4 Depth=1
	s_branch .LBB331_24
.LBB331_17:                             ;   in Loop: Header=BB331_4 Depth=1
	v_mul_f32_e32 v22, s38, v16
	global_store_b32 v[20:21], v22, off
	s_wait_xcnt 0x0
	s_or_b32 exec_lo, exec_lo, s24
	s_and_saveexec_b32 s24, s4
	s_cbranch_execz .LBB331_15
.LBB331_18:                             ;   in Loop: Header=BB331_4 Depth=1
	v_mul_f32_e32 v22, s38, v17
	global_store_b32 v[20:21], v22, off offset:64
	s_wait_xcnt 0x0
	s_or_b32 exec_lo, exec_lo, s24
	s_delay_alu instid0(SALU_CYCLE_1)
	s_and_b32 exec_lo, exec_lo, s5
	s_cbranch_execz .LBB331_23
.LBB331_19:                             ;   in Loop: Header=BB331_4 Depth=1
	v_lshl_add_u64 v[18:19], s[6:7], 2, v[18:19]
	s_delay_alu instid0(VALU_DEP_1)
	v_lshl_add_u64 v[18:19], v[6:7], 2, v[18:19]
	s_and_saveexec_b32 s24, s3
	s_cbranch_execz .LBB331_21
; %bb.20:                               ;   in Loop: Header=BB331_4 Depth=1
	v_mul_f32_e32 v20, s38, v14
	global_store_b32 v[18:19], v20, off
.LBB331_21:                             ;   in Loop: Header=BB331_4 Depth=1
	s_wait_xcnt 0x0
	s_or_b32 exec_lo, exec_lo, s24
	s_delay_alu instid0(SALU_CYCLE_1)
	s_and_b32 exec_lo, exec_lo, s4
	s_cbranch_execz .LBB331_23
; %bb.22:                               ;   in Loop: Header=BB331_4 Depth=1
	v_mul_f32_e32 v20, s38, v15
	global_store_b32 v[18:19], v20, off offset:64
.LBB331_23:                             ;   in Loop: Header=BB331_4 Depth=1
	s_wait_xcnt 0x0
	s_or_b32 exec_lo, exec_lo, s23
	s_cbranch_execnz .LBB331_3
.LBB331_24:                             ;   in Loop: Header=BB331_4 Depth=1
	s_and_saveexec_b32 s23, s2
	s_cbranch_execz .LBB331_2
; %bb.25:                               ;   in Loop: Header=BB331_4 Depth=1
	s_mul_u64 s[24:25], s[12:13], s[34:35]
	v_lshlrev_b64_e32 v[18:19], 2, v[6:7]
	v_lshl_add_u64 v[20:21], s[24:25], 2, v[8:9]
	v_lshl_add_u64 v[22:23], v[4:5], 2, s[20:21]
	s_delay_alu instid0(VALU_DEP_2) | instskip(NEXT) | instid1(VALU_DEP_2)
	v_add_nc_u64_e32 v[26:27], v[20:21], v[18:19]
	v_add_nc_u64_e32 v[24:25], v[22:23], v[18:19]
	s_and_saveexec_b32 s20, s3
	s_cbranch_execnz .LBB331_28
; %bb.26:                               ;   in Loop: Header=BB331_4 Depth=1
	s_or_b32 exec_lo, exec_lo, s20
	s_and_saveexec_b32 s20, s4
	s_cbranch_execnz .LBB331_29
.LBB331_27:                             ;   in Loop: Header=BB331_4 Depth=1
	s_or_b32 exec_lo, exec_lo, s20
	s_delay_alu instid0(SALU_CYCLE_1)
	s_and_b32 exec_lo, exec_lo, s5
	s_cbranch_execz .LBB331_2
	s_branch .LBB331_30
.LBB331_28:                             ;   in Loop: Header=BB331_4 Depth=1
	global_load_b32 v33, v[26:27], off
	v_mov_b64_e32 v[34:35], s[40:41]
	v_mov_b32_e32 v32, v16
	s_wait_loadcnt 0x0
	s_delay_alu instid0(VALU_DEP_1) | instskip(NEXT) | instid1(VALU_DEP_1)
	v_pk_mul_f32 v[32:33], v[34:35], v[32:33]
	v_add_f32_e32 v16, v32, v33
	global_store_b32 v[24:25], v16, off
	s_wait_xcnt 0x0
	s_or_b32 exec_lo, exec_lo, s20
	s_and_saveexec_b32 s20, s4
	s_cbranch_execz .LBB331_27
.LBB331_29:                             ;   in Loop: Header=BB331_4 Depth=1
	global_load_b32 v27, v[26:27], off offset:64
	s_wait_xcnt 0x0
	v_mov_b32_e32 v26, v17
	v_mov_b64_e32 v[16:17], s[40:41]
	s_wait_loadcnt 0x0
	s_delay_alu instid0(VALU_DEP_1) | instskip(NEXT) | instid1(VALU_DEP_1)
	v_pk_mul_f32 v[16:17], v[16:17], v[26:27]
	v_add_f32_e32 v16, v16, v17
	global_store_b32 v[24:25], v16, off offset:64
	s_wait_xcnt 0x0
	s_or_b32 exec_lo, exec_lo, s20
	s_delay_alu instid0(SALU_CYCLE_1)
	s_and_b32 exec_lo, exec_lo, s5
	s_cbranch_execz .LBB331_2
.LBB331_30:                             ;   in Loop: Header=BB331_4 Depth=1
	v_lshl_add_u64 v[16:17], s[10:11], 2, v[20:21]
	v_lshl_add_u64 v[22:23], s[6:7], 2, v[22:23]
	s_delay_alu instid0(VALU_DEP_2) | instskip(NEXT) | instid1(VALU_DEP_2)
	v_add_nc_u64_e32 v[20:21], v[16:17], v[18:19]
	v_add_nc_u64_e32 v[16:17], v[22:23], v[18:19]
	s_and_saveexec_b32 s20, s3
	s_cbranch_execz .LBB331_32
; %bb.31:                               ;   in Loop: Header=BB331_4 Depth=1
	global_load_b32 v19, v[20:21], off
	v_mov_b64_e32 v[22:23], s[40:41]
	v_mov_b32_e32 v18, v14
	s_wait_loadcnt 0x0
	s_delay_alu instid0(VALU_DEP_1) | instskip(NEXT) | instid1(VALU_DEP_1)
	v_pk_mul_f32 v[18:19], v[22:23], v[18:19]
	v_add_f32_e32 v14, v18, v19
	global_store_b32 v[16:17], v14, off
.LBB331_32:                             ;   in Loop: Header=BB331_4 Depth=1
	s_wait_xcnt 0x0
	s_or_b32 exec_lo, exec_lo, s20
	s_delay_alu instid0(SALU_CYCLE_1)
	s_and_b32 exec_lo, exec_lo, s4
	s_cbranch_execz .LBB331_2
; %bb.33:                               ;   in Loop: Header=BB331_4 Depth=1
	global_load_b32 v19, v[20:21], off offset:64
	v_mov_b32_e32 v18, v15
	v_mov_b64_e32 v[14:15], s[40:41]
	s_wait_loadcnt 0x0
	s_delay_alu instid0(VALU_DEP_1) | instskip(NEXT) | instid1(VALU_DEP_1)
	v_pk_mul_f32 v[14:15], v[14:15], v[18:19]
	v_add_f32_e32 v14, v14, v15
	global_store_b32 v[16:17], v14, off offset:64
	s_branch .LBB331_2
.LBB331_34:
	s_endpgm
	.section	.rodata,"a",@progbits
	.p2align	6, 0x0
	.amdhsa_kernel _ZN12_GLOBAL__N_135rocblas_gemm_batched_general_kernelIfLi16ELi16ELi32ELi32ELi8ELi32ELi8ELi8ELi32ELc67ELc84EKfS1_fEEvlllT_PT11_llS4_llS2_PT12_llPT13_lli
		.amdhsa_group_segment_fixed_size 2048
		.amdhsa_private_segment_fixed_size 0
		.amdhsa_kernarg_size 140
		.amdhsa_user_sgpr_count 2
		.amdhsa_user_sgpr_dispatch_ptr 0
		.amdhsa_user_sgpr_queue_ptr 0
		.amdhsa_user_sgpr_kernarg_segment_ptr 1
		.amdhsa_user_sgpr_dispatch_id 0
		.amdhsa_user_sgpr_kernarg_preload_length 0
		.amdhsa_user_sgpr_kernarg_preload_offset 0
		.amdhsa_user_sgpr_private_segment_size 0
		.amdhsa_wavefront_size32 1
		.amdhsa_uses_dynamic_stack 0
		.amdhsa_enable_private_segment 0
		.amdhsa_system_sgpr_workgroup_id_x 1
		.amdhsa_system_sgpr_workgroup_id_y 1
		.amdhsa_system_sgpr_workgroup_id_z 1
		.amdhsa_system_sgpr_workgroup_info 0
		.amdhsa_system_vgpr_workitem_id 1
		.amdhsa_next_free_vgpr 52
		.amdhsa_next_free_sgpr 44
		.amdhsa_named_barrier_count 0
		.amdhsa_reserve_vcc 1
		.amdhsa_float_round_mode_32 0
		.amdhsa_float_round_mode_16_64 0
		.amdhsa_float_denorm_mode_32 3
		.amdhsa_float_denorm_mode_16_64 3
		.amdhsa_fp16_overflow 0
		.amdhsa_memory_ordered 1
		.amdhsa_forward_progress 1
		.amdhsa_inst_pref_size 14
		.amdhsa_round_robin_scheduling 0
		.amdhsa_exception_fp_ieee_invalid_op 0
		.amdhsa_exception_fp_denorm_src 0
		.amdhsa_exception_fp_ieee_div_zero 0
		.amdhsa_exception_fp_ieee_overflow 0
		.amdhsa_exception_fp_ieee_underflow 0
		.amdhsa_exception_fp_ieee_inexact 0
		.amdhsa_exception_int_div_zero 0
	.end_amdhsa_kernel
	.section	.text._ZN12_GLOBAL__N_135rocblas_gemm_batched_general_kernelIfLi16ELi16ELi32ELi32ELi8ELi32ELi8ELi8ELi32ELc67ELc84EKfS1_fEEvlllT_PT11_llS4_llS2_PT12_llPT13_lli,"axG",@progbits,_ZN12_GLOBAL__N_135rocblas_gemm_batched_general_kernelIfLi16ELi16ELi32ELi32ELi8ELi32ELi8ELi8ELi32ELc67ELc84EKfS1_fEEvlllT_PT11_llS4_llS2_PT12_llPT13_lli,comdat
.Lfunc_end331:
	.size	_ZN12_GLOBAL__N_135rocblas_gemm_batched_general_kernelIfLi16ELi16ELi32ELi32ELi8ELi32ELi8ELi8ELi32ELc67ELc84EKfS1_fEEvlllT_PT11_llS4_llS2_PT12_llPT13_lli, .Lfunc_end331-_ZN12_GLOBAL__N_135rocblas_gemm_batched_general_kernelIfLi16ELi16ELi32ELi32ELi8ELi32ELi8ELi8ELi32ELc67ELc84EKfS1_fEEvlllT_PT11_llS4_llS2_PT12_llPT13_lli
                                        ; -- End function
	.set _ZN12_GLOBAL__N_135rocblas_gemm_batched_general_kernelIfLi16ELi16ELi32ELi32ELi8ELi32ELi8ELi8ELi32ELc67ELc84EKfS1_fEEvlllT_PT11_llS4_llS2_PT12_llPT13_lli.num_vgpr, 52
	.set _ZN12_GLOBAL__N_135rocblas_gemm_batched_general_kernelIfLi16ELi16ELi32ELi32ELi8ELi32ELi8ELi8ELi32ELc67ELc84EKfS1_fEEvlllT_PT11_llS4_llS2_PT12_llPT13_lli.num_agpr, 0
	.set _ZN12_GLOBAL__N_135rocblas_gemm_batched_general_kernelIfLi16ELi16ELi32ELi32ELi8ELi32ELi8ELi8ELi32ELc67ELc84EKfS1_fEEvlllT_PT11_llS4_llS2_PT12_llPT13_lli.numbered_sgpr, 44
	.set _ZN12_GLOBAL__N_135rocblas_gemm_batched_general_kernelIfLi16ELi16ELi32ELi32ELi8ELi32ELi8ELi8ELi32ELc67ELc84EKfS1_fEEvlllT_PT11_llS4_llS2_PT12_llPT13_lli.num_named_barrier, 0
	.set _ZN12_GLOBAL__N_135rocblas_gemm_batched_general_kernelIfLi16ELi16ELi32ELi32ELi8ELi32ELi8ELi8ELi32ELc67ELc84EKfS1_fEEvlllT_PT11_llS4_llS2_PT12_llPT13_lli.private_seg_size, 0
	.set _ZN12_GLOBAL__N_135rocblas_gemm_batched_general_kernelIfLi16ELi16ELi32ELi32ELi8ELi32ELi8ELi8ELi32ELc67ELc84EKfS1_fEEvlllT_PT11_llS4_llS2_PT12_llPT13_lli.uses_vcc, 1
	.set _ZN12_GLOBAL__N_135rocblas_gemm_batched_general_kernelIfLi16ELi16ELi32ELi32ELi8ELi32ELi8ELi8ELi32ELc67ELc84EKfS1_fEEvlllT_PT11_llS4_llS2_PT12_llPT13_lli.uses_flat_scratch, 0
	.set _ZN12_GLOBAL__N_135rocblas_gemm_batched_general_kernelIfLi16ELi16ELi32ELi32ELi8ELi32ELi8ELi8ELi32ELc67ELc84EKfS1_fEEvlllT_PT11_llS4_llS2_PT12_llPT13_lli.has_dyn_sized_stack, 0
	.set _ZN12_GLOBAL__N_135rocblas_gemm_batched_general_kernelIfLi16ELi16ELi32ELi32ELi8ELi32ELi8ELi8ELi32ELc67ELc84EKfS1_fEEvlllT_PT11_llS4_llS2_PT12_llPT13_lli.has_recursion, 0
	.set _ZN12_GLOBAL__N_135rocblas_gemm_batched_general_kernelIfLi16ELi16ELi32ELi32ELi8ELi32ELi8ELi8ELi32ELc67ELc84EKfS1_fEEvlllT_PT11_llS4_llS2_PT12_llPT13_lli.has_indirect_call, 0
	.section	.AMDGPU.csdata,"",@progbits
; Kernel info:
; codeLenInByte = 1760
; TotalNumSgprs: 46
; NumVgprs: 52
; ScratchSize: 0
; MemoryBound: 0
; FloatMode: 240
; IeeeMode: 1
; LDSByteSize: 2048 bytes/workgroup (compile time only)
; SGPRBlocks: 0
; VGPRBlocks: 3
; NumSGPRsForWavesPerEU: 46
; NumVGPRsForWavesPerEU: 52
; NamedBarCnt: 0
; Occupancy: 16
; WaveLimiterHint : 0
; COMPUTE_PGM_RSRC2:SCRATCH_EN: 0
; COMPUTE_PGM_RSRC2:USER_SGPR: 2
; COMPUTE_PGM_RSRC2:TRAP_HANDLER: 0
; COMPUTE_PGM_RSRC2:TGID_X_EN: 1
; COMPUTE_PGM_RSRC2:TGID_Y_EN: 1
; COMPUTE_PGM_RSRC2:TGID_Z_EN: 1
; COMPUTE_PGM_RSRC2:TIDIG_COMP_CNT: 1
	.section	.text._ZN12_GLOBAL__N_135rocblas_gemm_batched_general_kernelIfLi16ELi16ELi32ELi32ELi8ELi32ELi8ELi8ELi32ELc78ELc67EKfS1_fEEvlllT_PT11_llS4_llS2_PT12_llPT13_lli,"axG",@progbits,_ZN12_GLOBAL__N_135rocblas_gemm_batched_general_kernelIfLi16ELi16ELi32ELi32ELi8ELi32ELi8ELi8ELi32ELc78ELc67EKfS1_fEEvlllT_PT11_llS4_llS2_PT12_llPT13_lli,comdat
	.globl	_ZN12_GLOBAL__N_135rocblas_gemm_batched_general_kernelIfLi16ELi16ELi32ELi32ELi8ELi32ELi8ELi8ELi32ELc78ELc67EKfS1_fEEvlllT_PT11_llS4_llS2_PT12_llPT13_lli ; -- Begin function _ZN12_GLOBAL__N_135rocblas_gemm_batched_general_kernelIfLi16ELi16ELi32ELi32ELi8ELi32ELi8ELi8ELi32ELc78ELc67EKfS1_fEEvlllT_PT11_llS4_llS2_PT12_llPT13_lli
	.p2align	8
	.type	_ZN12_GLOBAL__N_135rocblas_gemm_batched_general_kernelIfLi16ELi16ELi32ELi32ELi8ELi32ELi8ELi8ELi32ELc78ELc67EKfS1_fEEvlllT_PT11_llS4_llS2_PT12_llPT13_lli,@function
_ZN12_GLOBAL__N_135rocblas_gemm_batched_general_kernelIfLi16ELi16ELi32ELi32ELi8ELi32ELi8ELi8ELi32ELc78ELc67EKfS1_fEEvlllT_PT11_llS4_llS2_PT12_llPT13_lli: ; @_ZN12_GLOBAL__N_135rocblas_gemm_batched_general_kernelIfLi16ELi16ELi32ELi32ELi8ELi32ELi8ELi8ELi32ELc78ELc67EKfS1_fEEvlllT_PT11_llS4_llS2_PT12_llPT13_lli
; %bb.0:
	s_load_b32 s33, s[0:1], 0x88
	s_bfe_u32 s2, ttmp6, 0x40014
	s_lshr_b32 s3, ttmp7, 16
	s_add_co_i32 s2, s2, 1
	s_bfe_u32 s5, ttmp6, 0x40008
	s_mul_i32 s4, s3, s2
	s_getreg_b32 s2, hwreg(HW_REG_IB_STS2, 6, 4)
	s_add_co_i32 s5, s5, s4
	s_cmp_eq_u32 s2, 0
	s_mov_b32 s35, 0
	s_cselect_b32 s34, s3, s5
	s_wait_kmcnt 0x0
	s_cmp_ge_i32 s34, s33
	s_cbranch_scc1 .LBB332_34
; %bb.1:
	s_clause 0x3
	s_load_b128 s[4:7], s[0:1], 0x0
	s_load_b256 s[16:23], s[0:1], 0x20
	s_load_b128 s[28:31], s[0:1], 0x40
	s_load_b32 s41, s[0:1], 0x50
	v_bfe_u32 v8, v0, 10, 10
	v_and_b32_e32 v10, 0x3ff, v0
	s_clause 0x1
	s_load_b128 s[24:27], s[0:1], 0x78
	s_load_b256 s[8:15], s[0:1], 0x58
	s_bfe_u32 s3, ttmp6, 0x4000c
	s_bfe_u32 s37, ttmp6, 0x40010
	s_add_co_i32 s3, s3, 1
	v_lshl_add_u32 v1, v8, 4, v10
	v_dual_mov_b32 v9, 0 :: v_dual_bitop2_b32 v0, 7, v0 bitop3:0x40
	s_and_b32 s38, ttmp7, 0xffff
	s_add_co_i32 s37, s37, 1
	s_delay_alu instid0(VALU_DEP_2) | instskip(NEXT) | instid1(VALU_DEP_2)
	v_dual_lshrrev_b32 v2, 5, v1 :: v_dual_bitop2_b32 v11, 31, v1 bitop3:0x40
	v_dual_mov_b32 v3, v9 :: v_dual_lshrrev_b32 v12, 3, v1
	v_dual_mov_b32 v1, v9 :: v_dual_mov_b32 v13, v9
	s_and_b32 s36, ttmp6, 15
	s_mul_i32 s3, ttmp9, s3
	s_mul_i32 s37, s38, s37
	s_bfe_u32 s39, ttmp6, 0x40004
	s_add_co_i32 s36, s36, s3
	s_add_co_i32 s39, s39, s37
	s_wait_kmcnt 0x0
	v_mul_u64_e32 v[14:15], s[28:29], v[0:1]
	v_mul_u64_e32 v[16:17], s[18:19], v[2:3]
	s_cmp_eq_u32 s2, 0
	s_mov_b32 s3, s35
	s_cselect_b32 s40, s38, s39
	s_cselect_b32 s42, ttmp9, s36
	s_lshl_b32 s2, s40, 5
	s_ashr_i32 s43, s42, 31
	v_add_nc_u64_e32 v[18:19], s[2:3], v[8:9]
	v_add_nc_u64_e32 v[6:7], s[2:3], v[12:13]
	s_lshl_b64 s[44:45], s[42:43], 5
	v_dual_lshlrev_b32 v21, 2, v0 :: v_dual_lshlrev_b32 v20, 2, v11
	v_dual_mov_b32 v5, s45 :: v_dual_bitop2_b32 v4, s44, v11 bitop3:0x54
	s_delay_alu instid0(VALU_DEP_4)
	v_mul_u64_e32 v[22:23], s[10:11], v[18:19]
	v_dual_mov_b32 v11, v9 :: v_dual_lshlrev_b32 v30, 2, v10
	s_load_b96 s[36:38], s[0:1], 0x10
	s_wait_xcnt 0x0
	v_cmp_gt_i64_e64 s1, s[6:7], v[6:7]
	v_mul_u64_e32 v[6:7], s[24:25], v[18:19]
	v_cmp_gt_i64_e64 s0, s[4:5], v[4:5]
	v_add_nc_u64_e32 v[4:5], s[44:45], v[10:11]
	s_cmp_eq_f32 s41, 0
	v_lshl_or_b32 v13, v12, 5, v21
	s_mov_b32 s45, s35
	v_lshl_add_u32 v31, v8, 5, 0x400
	s_cselect_b32 s39, -1, 0
	s_lshl_b32 s44, s40, 7
	v_add_nc_u64_e32 v[10:11], 16, v[4:5]
	s_lshl_b64 s[42:43], s[42:43], 7
	v_add_nc_u32_e32 v29, 0x400, v13
	v_lshl_add_u64 v[14:15], v[14:15], 2, s[44:45]
	v_dual_mov_b32 v21, v9 :: v_dual_lshlrev_b32 v8, 2, v12
	v_lshl_add_u64 v[12:13], v[16:17], 2, s[42:43]
	v_cmp_gt_i64_e64 s2, s[6:7], v[18:19]
	v_add_nc_u64_e32 v[18:19], 16, v[18:19]
	v_cmp_gt_i64_e64 s3, s[4:5], v[4:5]
	v_cmp_gt_i64_e64 s4, s[4:5], v[10:11]
	v_add_nc_u64_e32 v[10:11], v[14:15], v[8:9]
	v_add_nc_u64_e32 v[12:13], v[12:13], v[20:21]
	v_lshl_or_b32 v28, v2, 7, v20
	s_wait_kmcnt 0x0
	s_mov_b32 s40, s38
	v_cmp_gt_i64_e64 s5, s[6:7], v[18:19]
	s_lshl_b64 s[6:7], s[24:25], 4
	v_cmp_gt_i64_e64 s24, s[36:37], 0
	v_add_nc_u64_e32 v[10:11], s[22:23], v[10:11]
	v_add_nc_u64_e32 v[12:13], s[16:17], v[12:13]
	v_lshl_add_u64 v[8:9], v[22:23], 2, s[8:9]
	s_lshl_b64 s[10:11], s[10:11], 4
	s_lshl_b64 s[8:9], s[30:31], 2
	;; [unrolled: 1-line block ×5, first 2 shown]
	s_branch .LBB332_4
.LBB332_2:                              ;   in Loop: Header=BB332_4 Depth=1
	s_wait_xcnt 0x0
	s_or_b32 exec_lo, exec_lo, s25
.LBB332_3:                              ;   in Loop: Header=BB332_4 Depth=1
	s_add_co_i32 s34, s34, 0x10000
	s_delay_alu instid0(SALU_CYCLE_1)
	s_cmp_lt_i32 s34, s33
	s_cbranch_scc0 .LBB332_34
.LBB332_4:                              ; =>This Loop Header: Depth=1
                                        ;     Child Loop BB332_7 Depth 2
	v_dual_mov_b32 v17, 0 :: v_dual_mov_b32 v16, 0
	v_dual_mov_b32 v15, 0 :: v_dual_mov_b32 v14, 0
	s_and_not1_b32 vcc_lo, exec_lo, s24
	s_cbranch_vccnz .LBB332_11
; %bb.5:                                ;   in Loop: Header=BB332_4 Depth=1
	v_mad_nc_u64_u32 v[18:19], s8, s34, v[10:11]
	v_mad_nc_u64_u32 v[20:21], s20, s34, v[12:13]
	v_mov_b32_e32 v16, 0
	s_mov_b64 s[22:23], 0
	s_delay_alu instid0(VALU_DEP_1)
	v_dual_mov_b32 v17, v16 :: v_dual_mov_b32 v14, v16
	v_mov_b32_e32 v15, v16
	v_mad_u32 v19, s9, s34, v19
	v_mad_u32 v21, s21, s34, v21
	s_branch .LBB332_7
.LBB332_6:                              ;   in Loop: Header=BB332_7 Depth=2
	s_wait_xcnt 0x0
	s_or_b32 exec_lo, exec_lo, s25
	s_wait_loadcnt 0x0
	ds_store_b32 v29, v23
	s_wait_dscnt 0x0
	s_barrier_signal -1
	s_barrier_wait -1
	ds_load_b128 v[22:25], v31
	ds_load_2addr_b32 v[26:27], v30 offset1:16
	ds_load_b128 v[32:35], v31 offset:512
	ds_load_2addr_b32 v[44:45], v30 offset0:32 offset1:48
	ds_load_2addr_b32 v[46:47], v30 offset0:64 offset1:80
	ds_load_2addr_b32 v[48:49], v30 offset0:96 offset1:112
	ds_load_b128 v[36:39], v31 offset:16
	ds_load_2addr_b32 v[50:51], v30 offset0:128 offset1:144
	ds_load_b128 v[40:43], v31 offset:528
	s_add_nc_u64 s[22:23], s[22:23], 8
	v_add_nc_u64_e32 v[18:19], s[16:17], v[18:19]
	v_cmp_lt_i64_e64 s25, s[22:23], s[36:37]
	v_add_nc_u64_e32 v[20:21], s[18:19], v[20:21]
	s_and_b32 vcc_lo, exec_lo, s25
	s_wait_dscnt 0x7
	v_pk_fma_f32 v[16:17], v[26:27], v[22:23], v[16:17] op_sel_hi:[1,0,1]
	s_wait_dscnt 0x6
	v_pk_fma_f32 v[14:15], v[26:27], v[32:33], v[14:15] op_sel_hi:[1,0,1]
	ds_load_2addr_b32 v[26:27], v30 offset0:160 offset1:176
	s_wait_dscnt 0x6
	v_pk_fma_f32 v[16:17], v[44:45], v[22:23], v[16:17] op_sel:[0,1,0]
	v_pk_fma_f32 v[14:15], v[44:45], v[32:33], v[14:15] op_sel:[0,1,0]
	ds_load_2addr_b32 v[22:23], v30 offset0:192 offset1:208
	v_dual_mov_b32 v32, v25 :: v_dual_mov_b32 v44, v35
	s_wait_dscnt 0x6
	v_pk_fma_f32 v[16:17], v[46:47], v[24:25], v[16:17] op_sel_hi:[1,0,1]
	v_pk_fma_f32 v[14:15], v[46:47], v[34:35], v[14:15] op_sel_hi:[1,0,1]
	ds_load_2addr_b32 v[24:25], v30 offset0:224 offset1:240
	s_wait_dscnt 0x0
	s_barrier_signal -1
	v_pk_fma_f32 v[16:17], v[48:49], v[32:33], v[16:17] op_sel_hi:[1,0,1]
	v_pk_fma_f32 v[14:15], v[48:49], v[44:45], v[14:15] op_sel_hi:[1,0,1]
	s_barrier_wait -1
	v_mov_b32_e32 v32, v43
	s_delay_alu instid0(VALU_DEP_3) | instskip(NEXT) | instid1(VALU_DEP_3)
	v_pk_fma_f32 v[16:17], v[50:51], v[36:37], v[16:17] op_sel_hi:[1,0,1]
	v_pk_fma_f32 v[14:15], v[50:51], v[40:41], v[14:15] op_sel_hi:[1,0,1]
	s_delay_alu instid0(VALU_DEP_2) | instskip(NEXT) | instid1(VALU_DEP_2)
	v_pk_fma_f32 v[16:17], v[26:27], v[36:37], v[16:17] op_sel:[0,1,0]
	v_pk_fma_f32 v[14:15], v[26:27], v[40:41], v[14:15] op_sel:[0,1,0]
	v_mov_b32_e32 v26, v39
	s_delay_alu instid0(VALU_DEP_3) | instskip(NEXT) | instid1(VALU_DEP_3)
	v_pk_fma_f32 v[16:17], v[22:23], v[38:39], v[16:17] op_sel_hi:[1,0,1]
	v_pk_fma_f32 v[14:15], v[22:23], v[42:43], v[14:15] op_sel_hi:[1,0,1]
	s_delay_alu instid0(VALU_DEP_2) | instskip(NEXT) | instid1(VALU_DEP_2)
	v_pk_fma_f32 v[16:17], v[24:25], v[26:27], v[16:17] op_sel_hi:[1,0,1]
	v_pk_fma_f32 v[14:15], v[24:25], v[32:33], v[14:15] op_sel_hi:[1,0,1]
	s_cbranch_vccz .LBB332_11
.LBB332_7:                              ;   Parent Loop BB332_4 Depth=1
                                        ; =>  This Inner Loop Header: Depth=2
	v_add_nc_u64_e32 v[22:23], s[22:23], v[2:3]
	s_delay_alu instid0(VALU_DEP_1) | instskip(SKIP_2) | instid1(SALU_CYCLE_1)
	v_cmp_gt_i64_e32 vcc_lo, s[36:37], v[22:23]
	v_mov_b32_e32 v22, 0
	s_and_b32 s28, s0, vcc_lo
	s_and_saveexec_b32 s25, s28
	s_cbranch_execz .LBB332_9
; %bb.8:                                ;   in Loop: Header=BB332_7 Depth=2
	global_load_b32 v22, v[20:21], off
.LBB332_9:                              ;   in Loop: Header=BB332_7 Depth=2
	s_wait_xcnt 0x0
	s_or_b32 exec_lo, exec_lo, s25
	v_add_nc_u64_e32 v[24:25], s[22:23], v[0:1]
	v_mov_b32_e32 v23, 0
	s_wait_loadcnt 0x0
	ds_store_b32 v28, v22
	v_cmp_gt_i64_e32 vcc_lo, s[36:37], v[24:25]
	s_and_b32 s28, vcc_lo, s1
	s_delay_alu instid0(SALU_CYCLE_1)
	s_and_saveexec_b32 s25, s28
	s_cbranch_execz .LBB332_6
; %bb.10:                               ;   in Loop: Header=BB332_7 Depth=2
	global_load_b32 v23, v[18:19], off
	s_branch .LBB332_6
.LBB332_11:                             ;   in Loop: Header=BB332_4 Depth=1
	s_mul_u64 s[22:23], s[26:27], s[34:35]
	s_and_not1_b32 vcc_lo, exec_lo, s39
	s_lshl_b64 s[22:23], s[22:23], 2
	s_delay_alu instid0(SALU_CYCLE_1)
	s_add_nc_u64 s[22:23], s[14:15], s[22:23]
	s_cbranch_vccnz .LBB332_16
; %bb.12:                               ;   in Loop: Header=BB332_4 Depth=1
	s_and_saveexec_b32 s25, s2
	s_cbranch_execz .LBB332_23
; %bb.13:                               ;   in Loop: Header=BB332_4 Depth=1
	v_lshl_add_u64 v[18:19], v[6:7], 2, s[22:23]
	s_delay_alu instid0(VALU_DEP_1)
	v_lshl_add_u64 v[20:21], v[4:5], 2, v[18:19]
	s_and_saveexec_b32 s28, s3
	s_cbranch_execnz .LBB332_17
; %bb.14:                               ;   in Loop: Header=BB332_4 Depth=1
	s_or_b32 exec_lo, exec_lo, s28
	s_and_saveexec_b32 s28, s4
	s_cbranch_execnz .LBB332_18
.LBB332_15:                             ;   in Loop: Header=BB332_4 Depth=1
	s_or_b32 exec_lo, exec_lo, s28
	s_delay_alu instid0(SALU_CYCLE_1)
	s_and_b32 exec_lo, exec_lo, s5
	s_cbranch_execnz .LBB332_19
	s_branch .LBB332_23
.LBB332_16:                             ;   in Loop: Header=BB332_4 Depth=1
	s_branch .LBB332_24
.LBB332_17:                             ;   in Loop: Header=BB332_4 Depth=1
	v_mul_f32_e32 v22, s38, v16
	global_store_b32 v[20:21], v22, off
	s_wait_xcnt 0x0
	s_or_b32 exec_lo, exec_lo, s28
	s_and_saveexec_b32 s28, s4
	s_cbranch_execz .LBB332_15
.LBB332_18:                             ;   in Loop: Header=BB332_4 Depth=1
	v_mul_f32_e32 v22, s38, v17
	global_store_b32 v[20:21], v22, off offset:64
	s_wait_xcnt 0x0
	s_or_b32 exec_lo, exec_lo, s28
	s_delay_alu instid0(SALU_CYCLE_1)
	s_and_b32 exec_lo, exec_lo, s5
	s_cbranch_execz .LBB332_23
.LBB332_19:                             ;   in Loop: Header=BB332_4 Depth=1
	v_lshl_add_u64 v[18:19], s[6:7], 2, v[18:19]
	s_delay_alu instid0(VALU_DEP_1)
	v_lshl_add_u64 v[18:19], v[4:5], 2, v[18:19]
	s_and_saveexec_b32 s28, s3
	s_cbranch_execz .LBB332_21
; %bb.20:                               ;   in Loop: Header=BB332_4 Depth=1
	v_mul_f32_e32 v20, s38, v14
	global_store_b32 v[18:19], v20, off
.LBB332_21:                             ;   in Loop: Header=BB332_4 Depth=1
	s_wait_xcnt 0x0
	s_or_b32 exec_lo, exec_lo, s28
	s_delay_alu instid0(SALU_CYCLE_1)
	s_and_b32 exec_lo, exec_lo, s4
	s_cbranch_execz .LBB332_23
; %bb.22:                               ;   in Loop: Header=BB332_4 Depth=1
	v_mul_f32_e32 v20, s38, v15
	global_store_b32 v[18:19], v20, off offset:64
.LBB332_23:                             ;   in Loop: Header=BB332_4 Depth=1
	s_wait_xcnt 0x0
	s_or_b32 exec_lo, exec_lo, s25
	s_cbranch_execnz .LBB332_3
.LBB332_24:                             ;   in Loop: Header=BB332_4 Depth=1
	s_and_saveexec_b32 s25, s2
	s_cbranch_execz .LBB332_2
; %bb.25:                               ;   in Loop: Header=BB332_4 Depth=1
	s_mul_u64 s[28:29], s[12:13], s[34:35]
	v_lshlrev_b64_e32 v[18:19], 2, v[4:5]
	v_lshl_add_u64 v[20:21], s[28:29], 2, v[8:9]
	v_lshl_add_u64 v[22:23], v[6:7], 2, s[22:23]
	s_delay_alu instid0(VALU_DEP_2) | instskip(NEXT) | instid1(VALU_DEP_2)
	v_add_nc_u64_e32 v[26:27], v[20:21], v[18:19]
	v_add_nc_u64_e32 v[24:25], v[22:23], v[18:19]
	s_and_saveexec_b32 s22, s3
	s_cbranch_execnz .LBB332_28
; %bb.26:                               ;   in Loop: Header=BB332_4 Depth=1
	s_or_b32 exec_lo, exec_lo, s22
	s_and_saveexec_b32 s22, s4
	s_cbranch_execnz .LBB332_29
.LBB332_27:                             ;   in Loop: Header=BB332_4 Depth=1
	s_or_b32 exec_lo, exec_lo, s22
	s_delay_alu instid0(SALU_CYCLE_1)
	s_and_b32 exec_lo, exec_lo, s5
	s_cbranch_execz .LBB332_2
	s_branch .LBB332_30
.LBB332_28:                             ;   in Loop: Header=BB332_4 Depth=1
	global_load_b32 v33, v[26:27], off
	v_mov_b64_e32 v[34:35], s[40:41]
	v_mov_b32_e32 v32, v16
	s_wait_loadcnt 0x0
	s_delay_alu instid0(VALU_DEP_1) | instskip(NEXT) | instid1(VALU_DEP_1)
	v_pk_mul_f32 v[32:33], v[34:35], v[32:33]
	v_add_f32_e32 v16, v32, v33
	global_store_b32 v[24:25], v16, off
	s_wait_xcnt 0x0
	s_or_b32 exec_lo, exec_lo, s22
	s_and_saveexec_b32 s22, s4
	s_cbranch_execz .LBB332_27
.LBB332_29:                             ;   in Loop: Header=BB332_4 Depth=1
	global_load_b32 v27, v[26:27], off offset:64
	s_wait_xcnt 0x0
	v_mov_b32_e32 v26, v17
	v_mov_b64_e32 v[16:17], s[40:41]
	s_wait_loadcnt 0x0
	s_delay_alu instid0(VALU_DEP_1) | instskip(NEXT) | instid1(VALU_DEP_1)
	v_pk_mul_f32 v[16:17], v[16:17], v[26:27]
	v_add_f32_e32 v16, v16, v17
	global_store_b32 v[24:25], v16, off offset:64
	s_wait_xcnt 0x0
	s_or_b32 exec_lo, exec_lo, s22
	s_delay_alu instid0(SALU_CYCLE_1)
	s_and_b32 exec_lo, exec_lo, s5
	s_cbranch_execz .LBB332_2
.LBB332_30:                             ;   in Loop: Header=BB332_4 Depth=1
	v_lshl_add_u64 v[16:17], s[10:11], 2, v[20:21]
	v_lshl_add_u64 v[22:23], s[6:7], 2, v[22:23]
	s_delay_alu instid0(VALU_DEP_2) | instskip(NEXT) | instid1(VALU_DEP_2)
	v_add_nc_u64_e32 v[20:21], v[16:17], v[18:19]
	v_add_nc_u64_e32 v[16:17], v[22:23], v[18:19]
	s_and_saveexec_b32 s22, s3
	s_cbranch_execz .LBB332_32
; %bb.31:                               ;   in Loop: Header=BB332_4 Depth=1
	global_load_b32 v19, v[20:21], off
	v_mov_b64_e32 v[22:23], s[40:41]
	v_mov_b32_e32 v18, v14
	s_wait_loadcnt 0x0
	s_delay_alu instid0(VALU_DEP_1) | instskip(NEXT) | instid1(VALU_DEP_1)
	v_pk_mul_f32 v[18:19], v[22:23], v[18:19]
	v_add_f32_e32 v14, v18, v19
	global_store_b32 v[16:17], v14, off
.LBB332_32:                             ;   in Loop: Header=BB332_4 Depth=1
	s_wait_xcnt 0x0
	s_or_b32 exec_lo, exec_lo, s22
	s_delay_alu instid0(SALU_CYCLE_1)
	s_and_b32 exec_lo, exec_lo, s4
	s_cbranch_execz .LBB332_2
; %bb.33:                               ;   in Loop: Header=BB332_4 Depth=1
	global_load_b32 v19, v[20:21], off offset:64
	v_mov_b32_e32 v18, v15
	v_mov_b64_e32 v[14:15], s[40:41]
	s_wait_loadcnt 0x0
	s_delay_alu instid0(VALU_DEP_1) | instskip(NEXT) | instid1(VALU_DEP_1)
	v_pk_mul_f32 v[14:15], v[14:15], v[18:19]
	v_add_f32_e32 v14, v14, v15
	global_store_b32 v[16:17], v14, off offset:64
	s_branch .LBB332_2
.LBB332_34:
	s_endpgm
	.section	.rodata,"a",@progbits
	.p2align	6, 0x0
	.amdhsa_kernel _ZN12_GLOBAL__N_135rocblas_gemm_batched_general_kernelIfLi16ELi16ELi32ELi32ELi8ELi32ELi8ELi8ELi32ELc78ELc67EKfS1_fEEvlllT_PT11_llS4_llS2_PT12_llPT13_lli
		.amdhsa_group_segment_fixed_size 2048
		.amdhsa_private_segment_fixed_size 0
		.amdhsa_kernarg_size 140
		.amdhsa_user_sgpr_count 2
		.amdhsa_user_sgpr_dispatch_ptr 0
		.amdhsa_user_sgpr_queue_ptr 0
		.amdhsa_user_sgpr_kernarg_segment_ptr 1
		.amdhsa_user_sgpr_dispatch_id 0
		.amdhsa_user_sgpr_kernarg_preload_length 0
		.amdhsa_user_sgpr_kernarg_preload_offset 0
		.amdhsa_user_sgpr_private_segment_size 0
		.amdhsa_wavefront_size32 1
		.amdhsa_uses_dynamic_stack 0
		.amdhsa_enable_private_segment 0
		.amdhsa_system_sgpr_workgroup_id_x 1
		.amdhsa_system_sgpr_workgroup_id_y 1
		.amdhsa_system_sgpr_workgroup_id_z 1
		.amdhsa_system_sgpr_workgroup_info 0
		.amdhsa_system_vgpr_workitem_id 1
		.amdhsa_next_free_vgpr 52
		.amdhsa_next_free_sgpr 46
		.amdhsa_named_barrier_count 0
		.amdhsa_reserve_vcc 1
		.amdhsa_float_round_mode_32 0
		.amdhsa_float_round_mode_16_64 0
		.amdhsa_float_denorm_mode_32 3
		.amdhsa_float_denorm_mode_16_64 3
		.amdhsa_fp16_overflow 0
		.amdhsa_memory_ordered 1
		.amdhsa_forward_progress 1
		.amdhsa_inst_pref_size 14
		.amdhsa_round_robin_scheduling 0
		.amdhsa_exception_fp_ieee_invalid_op 0
		.amdhsa_exception_fp_denorm_src 0
		.amdhsa_exception_fp_ieee_div_zero 0
		.amdhsa_exception_fp_ieee_overflow 0
		.amdhsa_exception_fp_ieee_underflow 0
		.amdhsa_exception_fp_ieee_inexact 0
		.amdhsa_exception_int_div_zero 0
	.end_amdhsa_kernel
	.section	.text._ZN12_GLOBAL__N_135rocblas_gemm_batched_general_kernelIfLi16ELi16ELi32ELi32ELi8ELi32ELi8ELi8ELi32ELc78ELc67EKfS1_fEEvlllT_PT11_llS4_llS2_PT12_llPT13_lli,"axG",@progbits,_ZN12_GLOBAL__N_135rocblas_gemm_batched_general_kernelIfLi16ELi16ELi32ELi32ELi8ELi32ELi8ELi8ELi32ELc78ELc67EKfS1_fEEvlllT_PT11_llS4_llS2_PT12_llPT13_lli,comdat
.Lfunc_end332:
	.size	_ZN12_GLOBAL__N_135rocblas_gemm_batched_general_kernelIfLi16ELi16ELi32ELi32ELi8ELi32ELi8ELi8ELi32ELc78ELc67EKfS1_fEEvlllT_PT11_llS4_llS2_PT12_llPT13_lli, .Lfunc_end332-_ZN12_GLOBAL__N_135rocblas_gemm_batched_general_kernelIfLi16ELi16ELi32ELi32ELi8ELi32ELi8ELi8ELi32ELc78ELc67EKfS1_fEEvlllT_PT11_llS4_llS2_PT12_llPT13_lli
                                        ; -- End function
	.set _ZN12_GLOBAL__N_135rocblas_gemm_batched_general_kernelIfLi16ELi16ELi32ELi32ELi8ELi32ELi8ELi8ELi32ELc78ELc67EKfS1_fEEvlllT_PT11_llS4_llS2_PT12_llPT13_lli.num_vgpr, 52
	.set _ZN12_GLOBAL__N_135rocblas_gemm_batched_general_kernelIfLi16ELi16ELi32ELi32ELi8ELi32ELi8ELi8ELi32ELc78ELc67EKfS1_fEEvlllT_PT11_llS4_llS2_PT12_llPT13_lli.num_agpr, 0
	.set _ZN12_GLOBAL__N_135rocblas_gemm_batched_general_kernelIfLi16ELi16ELi32ELi32ELi8ELi32ELi8ELi8ELi32ELc78ELc67EKfS1_fEEvlllT_PT11_llS4_llS2_PT12_llPT13_lli.numbered_sgpr, 46
	.set _ZN12_GLOBAL__N_135rocblas_gemm_batched_general_kernelIfLi16ELi16ELi32ELi32ELi8ELi32ELi8ELi8ELi32ELc78ELc67EKfS1_fEEvlllT_PT11_llS4_llS2_PT12_llPT13_lli.num_named_barrier, 0
	.set _ZN12_GLOBAL__N_135rocblas_gemm_batched_general_kernelIfLi16ELi16ELi32ELi32ELi8ELi32ELi8ELi8ELi32ELc78ELc67EKfS1_fEEvlllT_PT11_llS4_llS2_PT12_llPT13_lli.private_seg_size, 0
	.set _ZN12_GLOBAL__N_135rocblas_gemm_batched_general_kernelIfLi16ELi16ELi32ELi32ELi8ELi32ELi8ELi8ELi32ELc78ELc67EKfS1_fEEvlllT_PT11_llS4_llS2_PT12_llPT13_lli.uses_vcc, 1
	.set _ZN12_GLOBAL__N_135rocblas_gemm_batched_general_kernelIfLi16ELi16ELi32ELi32ELi8ELi32ELi8ELi8ELi32ELc78ELc67EKfS1_fEEvlllT_PT11_llS4_llS2_PT12_llPT13_lli.uses_flat_scratch, 0
	.set _ZN12_GLOBAL__N_135rocblas_gemm_batched_general_kernelIfLi16ELi16ELi32ELi32ELi8ELi32ELi8ELi8ELi32ELc78ELc67EKfS1_fEEvlllT_PT11_llS4_llS2_PT12_llPT13_lli.has_dyn_sized_stack, 0
	.set _ZN12_GLOBAL__N_135rocblas_gemm_batched_general_kernelIfLi16ELi16ELi32ELi32ELi8ELi32ELi8ELi8ELi32ELc78ELc67EKfS1_fEEvlllT_PT11_llS4_llS2_PT12_llPT13_lli.has_recursion, 0
	.set _ZN12_GLOBAL__N_135rocblas_gemm_batched_general_kernelIfLi16ELi16ELi32ELi32ELi8ELi32ELi8ELi8ELi32ELc78ELc67EKfS1_fEEvlllT_PT11_llS4_llS2_PT12_llPT13_lli.has_indirect_call, 0
	.section	.AMDGPU.csdata,"",@progbits
; Kernel info:
; codeLenInByte = 1784
; TotalNumSgprs: 48
; NumVgprs: 52
; ScratchSize: 0
; MemoryBound: 0
; FloatMode: 240
; IeeeMode: 1
; LDSByteSize: 2048 bytes/workgroup (compile time only)
; SGPRBlocks: 0
; VGPRBlocks: 3
; NumSGPRsForWavesPerEU: 48
; NumVGPRsForWavesPerEU: 52
; NamedBarCnt: 0
; Occupancy: 16
; WaveLimiterHint : 0
; COMPUTE_PGM_RSRC2:SCRATCH_EN: 0
; COMPUTE_PGM_RSRC2:USER_SGPR: 2
; COMPUTE_PGM_RSRC2:TRAP_HANDLER: 0
; COMPUTE_PGM_RSRC2:TGID_X_EN: 1
; COMPUTE_PGM_RSRC2:TGID_Y_EN: 1
; COMPUTE_PGM_RSRC2:TGID_Z_EN: 1
; COMPUTE_PGM_RSRC2:TIDIG_COMP_CNT: 1
	.section	.text._ZN12_GLOBAL__N_135rocblas_gemm_batched_general_kernelIfLi16ELi16ELi32ELi32ELi8ELi32ELi8ELi8ELi32ELc84ELc67EKfS1_fEEvlllT_PT11_llS4_llS2_PT12_llPT13_lli,"axG",@progbits,_ZN12_GLOBAL__N_135rocblas_gemm_batched_general_kernelIfLi16ELi16ELi32ELi32ELi8ELi32ELi8ELi8ELi32ELc84ELc67EKfS1_fEEvlllT_PT11_llS4_llS2_PT12_llPT13_lli,comdat
	.globl	_ZN12_GLOBAL__N_135rocblas_gemm_batched_general_kernelIfLi16ELi16ELi32ELi32ELi8ELi32ELi8ELi8ELi32ELc84ELc67EKfS1_fEEvlllT_PT11_llS4_llS2_PT12_llPT13_lli ; -- Begin function _ZN12_GLOBAL__N_135rocblas_gemm_batched_general_kernelIfLi16ELi16ELi32ELi32ELi8ELi32ELi8ELi8ELi32ELc84ELc67EKfS1_fEEvlllT_PT11_llS4_llS2_PT12_llPT13_lli
	.p2align	8
	.type	_ZN12_GLOBAL__N_135rocblas_gemm_batched_general_kernelIfLi16ELi16ELi32ELi32ELi8ELi32ELi8ELi8ELi32ELc84ELc67EKfS1_fEEvlllT_PT11_llS4_llS2_PT12_llPT13_lli,@function
_ZN12_GLOBAL__N_135rocblas_gemm_batched_general_kernelIfLi16ELi16ELi32ELi32ELi8ELi32ELi8ELi8ELi32ELc84ELc67EKfS1_fEEvlllT_PT11_llS4_llS2_PT12_llPT13_lli: ; @_ZN12_GLOBAL__N_135rocblas_gemm_batched_general_kernelIfLi16ELi16ELi32ELi32ELi8ELi32ELi8ELi8ELi32ELc84ELc67EKfS1_fEEvlllT_PT11_llS4_llS2_PT12_llPT13_lli
; %bb.0:
	s_load_b32 s33, s[0:1], 0x88
	s_bfe_u32 s2, ttmp6, 0x40014
	s_lshr_b32 s3, ttmp7, 16
	s_add_co_i32 s2, s2, 1
	s_bfe_u32 s5, ttmp6, 0x40008
	s_mul_i32 s4, s3, s2
	s_getreg_b32 s2, hwreg(HW_REG_IB_STS2, 6, 4)
	s_add_co_i32 s5, s5, s4
	s_cmp_eq_u32 s2, 0
	s_mov_b32 s35, 0
	s_cselect_b32 s34, s3, s5
	s_wait_kmcnt 0x0
	s_cmp_ge_i32 s34, s33
	s_cbranch_scc1 .LBB333_34
; %bb.1:
	s_clause 0x4
	s_load_b128 s[4:7], s[0:1], 0x0
	s_load_b256 s[16:23], s[0:1], 0x20
	s_load_b128 s[28:31], s[0:1], 0x40
	s_load_b32 s41, s[0:1], 0x50
	s_load_b256 s[8:15], s[0:1], 0x58
	v_bfe_u32 v8, v0, 10, 10
	v_and_b32_e32 v10, 0x3ff, v0
	v_dual_mov_b32 v9, 0 :: v_dual_bitop2_b32 v0, 7, v0 bitop3:0x40
	s_bfe_u32 s3, ttmp6, 0x4000c
	s_bfe_u32 s25, ttmp6, 0x40010
	s_add_co_i32 s3, s3, 1
	s_and_b32 s26, ttmp7, 0xffff
	s_add_co_i32 s25, s25, 1
	s_and_b32 s24, ttmp6, 15
	s_mul_i32 s3, ttmp9, s3
	s_mul_i32 s25, s26, s25
	s_bfe_u32 s27, ttmp6, 0x40004
	v_lshl_add_u32 v2, v8, 4, v10
	v_mov_b32_e32 v1, v9
	s_add_co_i32 s24, s24, s3
	s_add_co_i32 s27, s27, s25
	s_cmp_eq_u32 s2, 0
	v_and_b32_e32 v3, 31, v2
	s_cselect_b32 s2, ttmp9, s24
	s_wait_kmcnt 0x0
	v_mul_u64_e32 v[12:13], s[28:29], v[0:1]
	s_cselect_b32 s40, s26, s27
	s_ashr_i32 s3, s2, 31
	s_clause 0x1
	s_load_b128 s[24:27], s[0:1], 0x78
	s_load_b96 s[36:38], s[0:1], 0x10
	s_lshl_b64 s[2:3], s[2:3], 5
	s_lshl_b32 s42, s40, 5
	v_dual_mov_b32 v5, s3 :: v_dual_bitop2_b32 v4, s2, v3 bitop3:0x54
	s_mov_b32 s43, s35
	v_dual_mov_b32 v11, v9 :: v_dual_lshrrev_b32 v16, 3, v2
	v_add_nc_u64_e32 v[14:15], s[42:43], v[8:9]
	s_delay_alu instid0(VALU_DEP_3)
	v_mul_u64_e32 v[18:19], s[18:19], v[4:5]
	v_dual_mov_b32 v17, v9 :: v_dual_lshrrev_b32 v2, 5, v2
	s_wait_xcnt 0x0
	v_cmp_gt_i64_e64 s0, s[4:5], v[4:5]
	s_cmp_eq_f32 s41, 0
	v_dual_lshlrev_b32 v22, 2, v0 :: v_dual_lshlrev_b32 v23, 2, v3
	v_mul_u64_e32 v[20:21], s[10:11], v[14:15]
	v_add_nc_u64_e32 v[6:7], s[42:43], v[16:17]
	s_cselect_b32 s39, -1, 0
	s_wait_kmcnt 0x0
	v_mul_u64_e32 v[4:5], s[24:25], v[14:15]
	v_mov_b32_e32 v3, v9
	v_lshl_add_u32 v30, v8, 5, 0x400
	v_lshlrev_b32_e32 v8, 2, v16
	v_lshl_or_b32 v17, v16, 5, v22
	v_cmp_gt_i64_e64 s1, s[6:7], v[6:7]
	v_add_nc_u64_e32 v[6:7], s[2:3], v[10:11]
	s_lshl_b32 s2, s40, 7
	s_mov_b32 s3, s35
	v_lshlrev_b32_e32 v31, 2, v10
	v_lshl_add_u64 v[12:13], v[12:13], 2, s[2:3]
	v_lshl_or_b32 v28, v2, 7, v23
	v_add_nc_u32_e32 v29, 0x400, v17
	v_add_nc_u64_e32 v[16:17], 16, v[6:7]
	v_add_nc_u64_e32 v[22:23], 16, v[14:15]
	;; [unrolled: 1-line block ×3, first 2 shown]
	v_lshlrev_b32_e32 v8, 2, v2
	v_cmp_gt_i64_e64 s2, s[6:7], v[14:15]
	v_cmp_gt_i64_e64 s3, s[4:5], v[6:7]
	s_mov_b32 s40, s38
	v_cmp_gt_i64_e64 s4, s[4:5], v[16:17]
	v_cmp_gt_i64_e64 s5, s[6:7], v[22:23]
	v_lshl_add_u64 v[12:13], v[18:19], 2, v[8:9]
	v_add_nc_u64_e32 v[10:11], s[22:23], v[10:11]
	v_cmp_gt_i64_e64 s22, s[36:37], 0
	s_lshl_b64 s[6:7], s[24:25], 4
	s_lshl_b64 s[10:11], s[10:11], 4
	v_add_nc_u64_e32 v[12:13], s[16:17], v[12:13]
	s_lshl_b64 s[16:17], s[28:29], 5
	v_lshl_add_u64 v[8:9], v[20:21], 2, s[8:9]
	s_lshl_b64 s[8:9], s[30:31], 2
	s_lshl_b64 s[18:19], s[20:21], 2
	s_branch .LBB333_4
.LBB333_2:                              ;   in Loop: Header=BB333_4 Depth=1
	s_wait_xcnt 0x0
	s_or_b32 exec_lo, exec_lo, s23
.LBB333_3:                              ;   in Loop: Header=BB333_4 Depth=1
	s_add_co_i32 s34, s34, 0x10000
	s_delay_alu instid0(SALU_CYCLE_1)
	s_cmp_lt_i32 s34, s33
	s_cbranch_scc0 .LBB333_34
.LBB333_4:                              ; =>This Loop Header: Depth=1
                                        ;     Child Loop BB333_7 Depth 2
	v_dual_mov_b32 v17, 0 :: v_dual_mov_b32 v16, 0
	v_dual_mov_b32 v15, 0 :: v_dual_mov_b32 v14, 0
	s_and_not1_b32 vcc_lo, exec_lo, s22
	s_cbranch_vccnz .LBB333_11
; %bb.5:                                ;   in Loop: Header=BB333_4 Depth=1
	v_mad_nc_u64_u32 v[18:19], s8, s34, v[10:11]
	v_mad_nc_u64_u32 v[20:21], s18, s34, v[12:13]
	v_mov_b32_e32 v16, 0
	s_mov_b64 s[20:21], 0
	s_delay_alu instid0(VALU_DEP_1)
	v_dual_mov_b32 v17, v16 :: v_dual_mov_b32 v14, v16
	v_mov_b32_e32 v15, v16
	v_mad_u32 v19, s9, s34, v19
	v_mad_u32 v21, s19, s34, v21
	s_branch .LBB333_7
.LBB333_6:                              ;   in Loop: Header=BB333_7 Depth=2
	s_wait_xcnt 0x0
	s_or_b32 exec_lo, exec_lo, s23
	s_wait_loadcnt 0x0
	ds_store_b32 v29, v23
	s_wait_dscnt 0x0
	s_barrier_signal -1
	s_barrier_wait -1
	ds_load_b128 v[22:25], v30
	ds_load_2addr_b32 v[26:27], v31 offset1:16
	ds_load_b128 v[32:35], v30 offset:512
	ds_load_2addr_b32 v[44:45], v31 offset0:32 offset1:48
	ds_load_2addr_b32 v[46:47], v31 offset0:64 offset1:80
	ds_load_2addr_b32 v[48:49], v31 offset0:96 offset1:112
	ds_load_b128 v[36:39], v30 offset:16
	ds_load_2addr_b32 v[50:51], v31 offset0:128 offset1:144
	ds_load_b128 v[40:43], v30 offset:528
	s_add_nc_u64 s[20:21], s[20:21], 8
	v_add_nc_u64_e32 v[18:19], s[16:17], v[18:19]
	v_cmp_lt_i64_e64 s23, s[20:21], s[36:37]
	v_add_nc_u64_e32 v[20:21], 32, v[20:21]
	s_and_b32 vcc_lo, exec_lo, s23
	s_wait_dscnt 0x7
	v_pk_fma_f32 v[16:17], v[26:27], v[22:23], v[16:17] op_sel_hi:[1,0,1]
	s_wait_dscnt 0x6
	v_pk_fma_f32 v[14:15], v[26:27], v[32:33], v[14:15] op_sel_hi:[1,0,1]
	ds_load_2addr_b32 v[26:27], v31 offset0:160 offset1:176
	s_wait_dscnt 0x6
	v_pk_fma_f32 v[16:17], v[44:45], v[22:23], v[16:17] op_sel:[0,1,0]
	v_pk_fma_f32 v[14:15], v[44:45], v[32:33], v[14:15] op_sel:[0,1,0]
	ds_load_2addr_b32 v[22:23], v31 offset0:192 offset1:208
	v_dual_mov_b32 v32, v25 :: v_dual_mov_b32 v44, v35
	s_wait_dscnt 0x6
	v_pk_fma_f32 v[16:17], v[46:47], v[24:25], v[16:17] op_sel_hi:[1,0,1]
	v_pk_fma_f32 v[14:15], v[46:47], v[34:35], v[14:15] op_sel_hi:[1,0,1]
	ds_load_2addr_b32 v[24:25], v31 offset0:224 offset1:240
	s_wait_dscnt 0x0
	s_barrier_signal -1
	v_pk_fma_f32 v[16:17], v[48:49], v[32:33], v[16:17] op_sel_hi:[1,0,1]
	v_pk_fma_f32 v[14:15], v[48:49], v[44:45], v[14:15] op_sel_hi:[1,0,1]
	s_barrier_wait -1
	v_mov_b32_e32 v32, v43
	s_delay_alu instid0(VALU_DEP_3) | instskip(NEXT) | instid1(VALU_DEP_3)
	v_pk_fma_f32 v[16:17], v[50:51], v[36:37], v[16:17] op_sel_hi:[1,0,1]
	v_pk_fma_f32 v[14:15], v[50:51], v[40:41], v[14:15] op_sel_hi:[1,0,1]
	s_delay_alu instid0(VALU_DEP_2) | instskip(NEXT) | instid1(VALU_DEP_2)
	v_pk_fma_f32 v[16:17], v[26:27], v[36:37], v[16:17] op_sel:[0,1,0]
	v_pk_fma_f32 v[14:15], v[26:27], v[40:41], v[14:15] op_sel:[0,1,0]
	v_mov_b32_e32 v26, v39
	s_delay_alu instid0(VALU_DEP_3) | instskip(NEXT) | instid1(VALU_DEP_3)
	v_pk_fma_f32 v[16:17], v[22:23], v[38:39], v[16:17] op_sel_hi:[1,0,1]
	v_pk_fma_f32 v[14:15], v[22:23], v[42:43], v[14:15] op_sel_hi:[1,0,1]
	s_delay_alu instid0(VALU_DEP_2) | instskip(NEXT) | instid1(VALU_DEP_2)
	v_pk_fma_f32 v[16:17], v[24:25], v[26:27], v[16:17] op_sel_hi:[1,0,1]
	v_pk_fma_f32 v[14:15], v[24:25], v[32:33], v[14:15] op_sel_hi:[1,0,1]
	s_cbranch_vccz .LBB333_11
.LBB333_7:                              ;   Parent Loop BB333_4 Depth=1
                                        ; =>  This Inner Loop Header: Depth=2
	v_add_nc_u64_e32 v[22:23], s[20:21], v[2:3]
	s_delay_alu instid0(VALU_DEP_1) | instskip(SKIP_2) | instid1(SALU_CYCLE_1)
	v_cmp_gt_i64_e32 vcc_lo, s[36:37], v[22:23]
	v_mov_b32_e32 v22, 0
	s_and_b32 s24, s0, vcc_lo
	s_and_saveexec_b32 s23, s24
	s_cbranch_execz .LBB333_9
; %bb.8:                                ;   in Loop: Header=BB333_7 Depth=2
	global_load_b32 v22, v[20:21], off
.LBB333_9:                              ;   in Loop: Header=BB333_7 Depth=2
	s_wait_xcnt 0x0
	s_or_b32 exec_lo, exec_lo, s23
	v_add_nc_u64_e32 v[24:25], s[20:21], v[0:1]
	v_mov_b32_e32 v23, 0
	s_wait_loadcnt 0x0
	ds_store_b32 v28, v22
	v_cmp_gt_i64_e32 vcc_lo, s[36:37], v[24:25]
	s_and_b32 s24, vcc_lo, s1
	s_delay_alu instid0(SALU_CYCLE_1)
	s_and_saveexec_b32 s23, s24
	s_cbranch_execz .LBB333_6
; %bb.10:                               ;   in Loop: Header=BB333_7 Depth=2
	global_load_b32 v23, v[18:19], off
	s_branch .LBB333_6
.LBB333_11:                             ;   in Loop: Header=BB333_4 Depth=1
	s_mul_u64 s[20:21], s[26:27], s[34:35]
	s_and_not1_b32 vcc_lo, exec_lo, s39
	s_lshl_b64 s[20:21], s[20:21], 2
	s_delay_alu instid0(SALU_CYCLE_1)
	s_add_nc_u64 s[20:21], s[14:15], s[20:21]
	s_cbranch_vccnz .LBB333_16
; %bb.12:                               ;   in Loop: Header=BB333_4 Depth=1
	s_and_saveexec_b32 s23, s2
	s_cbranch_execz .LBB333_23
; %bb.13:                               ;   in Loop: Header=BB333_4 Depth=1
	v_lshl_add_u64 v[18:19], v[4:5], 2, s[20:21]
	s_delay_alu instid0(VALU_DEP_1)
	v_lshl_add_u64 v[20:21], v[6:7], 2, v[18:19]
	s_and_saveexec_b32 s24, s3
	s_cbranch_execnz .LBB333_17
; %bb.14:                               ;   in Loop: Header=BB333_4 Depth=1
	s_or_b32 exec_lo, exec_lo, s24
	s_and_saveexec_b32 s24, s4
	s_cbranch_execnz .LBB333_18
.LBB333_15:                             ;   in Loop: Header=BB333_4 Depth=1
	s_or_b32 exec_lo, exec_lo, s24
	s_delay_alu instid0(SALU_CYCLE_1)
	s_and_b32 exec_lo, exec_lo, s5
	s_cbranch_execnz .LBB333_19
	s_branch .LBB333_23
.LBB333_16:                             ;   in Loop: Header=BB333_4 Depth=1
	s_branch .LBB333_24
.LBB333_17:                             ;   in Loop: Header=BB333_4 Depth=1
	v_mul_f32_e32 v22, s38, v16
	global_store_b32 v[20:21], v22, off
	s_wait_xcnt 0x0
	s_or_b32 exec_lo, exec_lo, s24
	s_and_saveexec_b32 s24, s4
	s_cbranch_execz .LBB333_15
.LBB333_18:                             ;   in Loop: Header=BB333_4 Depth=1
	v_mul_f32_e32 v22, s38, v17
	global_store_b32 v[20:21], v22, off offset:64
	s_wait_xcnt 0x0
	s_or_b32 exec_lo, exec_lo, s24
	s_delay_alu instid0(SALU_CYCLE_1)
	s_and_b32 exec_lo, exec_lo, s5
	s_cbranch_execz .LBB333_23
.LBB333_19:                             ;   in Loop: Header=BB333_4 Depth=1
	v_lshl_add_u64 v[18:19], s[6:7], 2, v[18:19]
	s_delay_alu instid0(VALU_DEP_1)
	v_lshl_add_u64 v[18:19], v[6:7], 2, v[18:19]
	s_and_saveexec_b32 s24, s3
	s_cbranch_execz .LBB333_21
; %bb.20:                               ;   in Loop: Header=BB333_4 Depth=1
	v_mul_f32_e32 v20, s38, v14
	global_store_b32 v[18:19], v20, off
.LBB333_21:                             ;   in Loop: Header=BB333_4 Depth=1
	s_wait_xcnt 0x0
	s_or_b32 exec_lo, exec_lo, s24
	s_delay_alu instid0(SALU_CYCLE_1)
	s_and_b32 exec_lo, exec_lo, s4
	s_cbranch_execz .LBB333_23
; %bb.22:                               ;   in Loop: Header=BB333_4 Depth=1
	v_mul_f32_e32 v20, s38, v15
	global_store_b32 v[18:19], v20, off offset:64
.LBB333_23:                             ;   in Loop: Header=BB333_4 Depth=1
	s_wait_xcnt 0x0
	s_or_b32 exec_lo, exec_lo, s23
	s_cbranch_execnz .LBB333_3
.LBB333_24:                             ;   in Loop: Header=BB333_4 Depth=1
	s_and_saveexec_b32 s23, s2
	s_cbranch_execz .LBB333_2
; %bb.25:                               ;   in Loop: Header=BB333_4 Depth=1
	s_mul_u64 s[24:25], s[12:13], s[34:35]
	v_lshlrev_b64_e32 v[18:19], 2, v[6:7]
	v_lshl_add_u64 v[20:21], s[24:25], 2, v[8:9]
	v_lshl_add_u64 v[22:23], v[4:5], 2, s[20:21]
	s_delay_alu instid0(VALU_DEP_2) | instskip(NEXT) | instid1(VALU_DEP_2)
	v_add_nc_u64_e32 v[26:27], v[20:21], v[18:19]
	v_add_nc_u64_e32 v[24:25], v[22:23], v[18:19]
	s_and_saveexec_b32 s20, s3
	s_cbranch_execnz .LBB333_28
; %bb.26:                               ;   in Loop: Header=BB333_4 Depth=1
	s_or_b32 exec_lo, exec_lo, s20
	s_and_saveexec_b32 s20, s4
	s_cbranch_execnz .LBB333_29
.LBB333_27:                             ;   in Loop: Header=BB333_4 Depth=1
	s_or_b32 exec_lo, exec_lo, s20
	s_delay_alu instid0(SALU_CYCLE_1)
	s_and_b32 exec_lo, exec_lo, s5
	s_cbranch_execz .LBB333_2
	s_branch .LBB333_30
.LBB333_28:                             ;   in Loop: Header=BB333_4 Depth=1
	global_load_b32 v33, v[26:27], off
	v_mov_b64_e32 v[34:35], s[40:41]
	v_mov_b32_e32 v32, v16
	s_wait_loadcnt 0x0
	s_delay_alu instid0(VALU_DEP_1) | instskip(NEXT) | instid1(VALU_DEP_1)
	v_pk_mul_f32 v[32:33], v[34:35], v[32:33]
	v_add_f32_e32 v16, v32, v33
	global_store_b32 v[24:25], v16, off
	s_wait_xcnt 0x0
	s_or_b32 exec_lo, exec_lo, s20
	s_and_saveexec_b32 s20, s4
	s_cbranch_execz .LBB333_27
.LBB333_29:                             ;   in Loop: Header=BB333_4 Depth=1
	global_load_b32 v27, v[26:27], off offset:64
	s_wait_xcnt 0x0
	v_mov_b32_e32 v26, v17
	v_mov_b64_e32 v[16:17], s[40:41]
	s_wait_loadcnt 0x0
	s_delay_alu instid0(VALU_DEP_1) | instskip(NEXT) | instid1(VALU_DEP_1)
	v_pk_mul_f32 v[16:17], v[16:17], v[26:27]
	v_add_f32_e32 v16, v16, v17
	global_store_b32 v[24:25], v16, off offset:64
	s_wait_xcnt 0x0
	s_or_b32 exec_lo, exec_lo, s20
	s_delay_alu instid0(SALU_CYCLE_1)
	s_and_b32 exec_lo, exec_lo, s5
	s_cbranch_execz .LBB333_2
.LBB333_30:                             ;   in Loop: Header=BB333_4 Depth=1
	v_lshl_add_u64 v[16:17], s[10:11], 2, v[20:21]
	v_lshl_add_u64 v[22:23], s[6:7], 2, v[22:23]
	s_delay_alu instid0(VALU_DEP_2) | instskip(NEXT) | instid1(VALU_DEP_2)
	v_add_nc_u64_e32 v[20:21], v[16:17], v[18:19]
	v_add_nc_u64_e32 v[16:17], v[22:23], v[18:19]
	s_and_saveexec_b32 s20, s3
	s_cbranch_execz .LBB333_32
; %bb.31:                               ;   in Loop: Header=BB333_4 Depth=1
	global_load_b32 v19, v[20:21], off
	v_mov_b64_e32 v[22:23], s[40:41]
	v_mov_b32_e32 v18, v14
	s_wait_loadcnt 0x0
	s_delay_alu instid0(VALU_DEP_1) | instskip(NEXT) | instid1(VALU_DEP_1)
	v_pk_mul_f32 v[18:19], v[22:23], v[18:19]
	v_add_f32_e32 v14, v18, v19
	global_store_b32 v[16:17], v14, off
.LBB333_32:                             ;   in Loop: Header=BB333_4 Depth=1
	s_wait_xcnt 0x0
	s_or_b32 exec_lo, exec_lo, s20
	s_delay_alu instid0(SALU_CYCLE_1)
	s_and_b32 exec_lo, exec_lo, s4
	s_cbranch_execz .LBB333_2
; %bb.33:                               ;   in Loop: Header=BB333_4 Depth=1
	global_load_b32 v19, v[20:21], off offset:64
	v_mov_b32_e32 v18, v15
	v_mov_b64_e32 v[14:15], s[40:41]
	s_wait_loadcnt 0x0
	s_delay_alu instid0(VALU_DEP_1) | instskip(NEXT) | instid1(VALU_DEP_1)
	v_pk_mul_f32 v[14:15], v[14:15], v[18:19]
	v_add_f32_e32 v14, v14, v15
	global_store_b32 v[16:17], v14, off offset:64
	s_branch .LBB333_2
.LBB333_34:
	s_endpgm
	.section	.rodata,"a",@progbits
	.p2align	6, 0x0
	.amdhsa_kernel _ZN12_GLOBAL__N_135rocblas_gemm_batched_general_kernelIfLi16ELi16ELi32ELi32ELi8ELi32ELi8ELi8ELi32ELc84ELc67EKfS1_fEEvlllT_PT11_llS4_llS2_PT12_llPT13_lli
		.amdhsa_group_segment_fixed_size 2048
		.amdhsa_private_segment_fixed_size 0
		.amdhsa_kernarg_size 140
		.amdhsa_user_sgpr_count 2
		.amdhsa_user_sgpr_dispatch_ptr 0
		.amdhsa_user_sgpr_queue_ptr 0
		.amdhsa_user_sgpr_kernarg_segment_ptr 1
		.amdhsa_user_sgpr_dispatch_id 0
		.amdhsa_user_sgpr_kernarg_preload_length 0
		.amdhsa_user_sgpr_kernarg_preload_offset 0
		.amdhsa_user_sgpr_private_segment_size 0
		.amdhsa_wavefront_size32 1
		.amdhsa_uses_dynamic_stack 0
		.amdhsa_enable_private_segment 0
		.amdhsa_system_sgpr_workgroup_id_x 1
		.amdhsa_system_sgpr_workgroup_id_y 1
		.amdhsa_system_sgpr_workgroup_id_z 1
		.amdhsa_system_sgpr_workgroup_info 0
		.amdhsa_system_vgpr_workitem_id 1
		.amdhsa_next_free_vgpr 52
		.amdhsa_next_free_sgpr 44
		.amdhsa_named_barrier_count 0
		.amdhsa_reserve_vcc 1
		.amdhsa_float_round_mode_32 0
		.amdhsa_float_round_mode_16_64 0
		.amdhsa_float_denorm_mode_32 3
		.amdhsa_float_denorm_mode_16_64 3
		.amdhsa_fp16_overflow 0
		.amdhsa_memory_ordered 1
		.amdhsa_forward_progress 1
		.amdhsa_inst_pref_size 14
		.amdhsa_round_robin_scheduling 0
		.amdhsa_exception_fp_ieee_invalid_op 0
		.amdhsa_exception_fp_denorm_src 0
		.amdhsa_exception_fp_ieee_div_zero 0
		.amdhsa_exception_fp_ieee_overflow 0
		.amdhsa_exception_fp_ieee_underflow 0
		.amdhsa_exception_fp_ieee_inexact 0
		.amdhsa_exception_int_div_zero 0
	.end_amdhsa_kernel
	.section	.text._ZN12_GLOBAL__N_135rocblas_gemm_batched_general_kernelIfLi16ELi16ELi32ELi32ELi8ELi32ELi8ELi8ELi32ELc84ELc67EKfS1_fEEvlllT_PT11_llS4_llS2_PT12_llPT13_lli,"axG",@progbits,_ZN12_GLOBAL__N_135rocblas_gemm_batched_general_kernelIfLi16ELi16ELi32ELi32ELi8ELi32ELi8ELi8ELi32ELc84ELc67EKfS1_fEEvlllT_PT11_llS4_llS2_PT12_llPT13_lli,comdat
.Lfunc_end333:
	.size	_ZN12_GLOBAL__N_135rocblas_gemm_batched_general_kernelIfLi16ELi16ELi32ELi32ELi8ELi32ELi8ELi8ELi32ELc84ELc67EKfS1_fEEvlllT_PT11_llS4_llS2_PT12_llPT13_lli, .Lfunc_end333-_ZN12_GLOBAL__N_135rocblas_gemm_batched_general_kernelIfLi16ELi16ELi32ELi32ELi8ELi32ELi8ELi8ELi32ELc84ELc67EKfS1_fEEvlllT_PT11_llS4_llS2_PT12_llPT13_lli
                                        ; -- End function
	.set _ZN12_GLOBAL__N_135rocblas_gemm_batched_general_kernelIfLi16ELi16ELi32ELi32ELi8ELi32ELi8ELi8ELi32ELc84ELc67EKfS1_fEEvlllT_PT11_llS4_llS2_PT12_llPT13_lli.num_vgpr, 52
	.set _ZN12_GLOBAL__N_135rocblas_gemm_batched_general_kernelIfLi16ELi16ELi32ELi32ELi8ELi32ELi8ELi8ELi32ELc84ELc67EKfS1_fEEvlllT_PT11_llS4_llS2_PT12_llPT13_lli.num_agpr, 0
	.set _ZN12_GLOBAL__N_135rocblas_gemm_batched_general_kernelIfLi16ELi16ELi32ELi32ELi8ELi32ELi8ELi8ELi32ELc84ELc67EKfS1_fEEvlllT_PT11_llS4_llS2_PT12_llPT13_lli.numbered_sgpr, 44
	.set _ZN12_GLOBAL__N_135rocblas_gemm_batched_general_kernelIfLi16ELi16ELi32ELi32ELi8ELi32ELi8ELi8ELi32ELc84ELc67EKfS1_fEEvlllT_PT11_llS4_llS2_PT12_llPT13_lli.num_named_barrier, 0
	.set _ZN12_GLOBAL__N_135rocblas_gemm_batched_general_kernelIfLi16ELi16ELi32ELi32ELi8ELi32ELi8ELi8ELi32ELc84ELc67EKfS1_fEEvlllT_PT11_llS4_llS2_PT12_llPT13_lli.private_seg_size, 0
	.set _ZN12_GLOBAL__N_135rocblas_gemm_batched_general_kernelIfLi16ELi16ELi32ELi32ELi8ELi32ELi8ELi8ELi32ELc84ELc67EKfS1_fEEvlllT_PT11_llS4_llS2_PT12_llPT13_lli.uses_vcc, 1
	.set _ZN12_GLOBAL__N_135rocblas_gemm_batched_general_kernelIfLi16ELi16ELi32ELi32ELi8ELi32ELi8ELi8ELi32ELc84ELc67EKfS1_fEEvlllT_PT11_llS4_llS2_PT12_llPT13_lli.uses_flat_scratch, 0
	.set _ZN12_GLOBAL__N_135rocblas_gemm_batched_general_kernelIfLi16ELi16ELi32ELi32ELi8ELi32ELi8ELi8ELi32ELc84ELc67EKfS1_fEEvlllT_PT11_llS4_llS2_PT12_llPT13_lli.has_dyn_sized_stack, 0
	.set _ZN12_GLOBAL__N_135rocblas_gemm_batched_general_kernelIfLi16ELi16ELi32ELi32ELi8ELi32ELi8ELi8ELi32ELc84ELc67EKfS1_fEEvlllT_PT11_llS4_llS2_PT12_llPT13_lli.has_recursion, 0
	.set _ZN12_GLOBAL__N_135rocblas_gemm_batched_general_kernelIfLi16ELi16ELi32ELi32ELi8ELi32ELi8ELi8ELi32ELc84ELc67EKfS1_fEEvlllT_PT11_llS4_llS2_PT12_llPT13_lli.has_indirect_call, 0
	.section	.AMDGPU.csdata,"",@progbits
; Kernel info:
; codeLenInByte = 1760
; TotalNumSgprs: 46
; NumVgprs: 52
; ScratchSize: 0
; MemoryBound: 0
; FloatMode: 240
; IeeeMode: 1
; LDSByteSize: 2048 bytes/workgroup (compile time only)
; SGPRBlocks: 0
; VGPRBlocks: 3
; NumSGPRsForWavesPerEU: 46
; NumVGPRsForWavesPerEU: 52
; NamedBarCnt: 0
; Occupancy: 16
; WaveLimiterHint : 0
; COMPUTE_PGM_RSRC2:SCRATCH_EN: 0
; COMPUTE_PGM_RSRC2:USER_SGPR: 2
; COMPUTE_PGM_RSRC2:TRAP_HANDLER: 0
; COMPUTE_PGM_RSRC2:TGID_X_EN: 1
; COMPUTE_PGM_RSRC2:TGID_Y_EN: 1
; COMPUTE_PGM_RSRC2:TGID_Z_EN: 1
; COMPUTE_PGM_RSRC2:TIDIG_COMP_CNT: 1
	.section	.text._ZN12_GLOBAL__N_120gemm_ex_scale_kernelILi32ELi32EDF16_PKDF16_PDF16_EEviiT1_T2_lllT3_llli,"axG",@progbits,_ZN12_GLOBAL__N_120gemm_ex_scale_kernelILi32ELi32EDF16_PKDF16_PDF16_EEviiT1_T2_lllT3_llli,comdat
	.globl	_ZN12_GLOBAL__N_120gemm_ex_scale_kernelILi32ELi32EDF16_PKDF16_PDF16_EEviiT1_T2_lllT3_llli ; -- Begin function _ZN12_GLOBAL__N_120gemm_ex_scale_kernelILi32ELi32EDF16_PKDF16_PDF16_EEviiT1_T2_lllT3_llli
	.p2align	8
	.type	_ZN12_GLOBAL__N_120gemm_ex_scale_kernelILi32ELi32EDF16_PKDF16_PDF16_EEviiT1_T2_lllT3_llli,@function
_ZN12_GLOBAL__N_120gemm_ex_scale_kernelILi32ELi32EDF16_PKDF16_PDF16_EEviiT1_T2_lllT3_llli: ; @_ZN12_GLOBAL__N_120gemm_ex_scale_kernelILi32ELi32EDF16_PKDF16_PDF16_EEviiT1_T2_lllT3_llli
; %bb.0:
	s_load_b32 s3, s[0:1], 0x50
	s_bfe_u32 s2, ttmp6, 0x40014
	s_lshr_b32 s4, ttmp7, 16
	s_add_co_i32 s2, s2, 1
	s_bfe_u32 s6, ttmp6, 0x40008
	s_mul_i32 s5, s4, s2
	s_getreg_b32 s2, hwreg(HW_REG_IB_STS2, 6, 4)
	s_add_co_i32 s6, s6, s5
	s_cmp_eq_u32 s2, 0
	s_mov_b32 s21, 0
	s_cselect_b32 s20, s4, s6
	s_wait_kmcnt 0x0
	s_cmp_ge_u32 s20, s3
	s_cbranch_scc1 .LBB334_8
; %bb.1:
	s_load_b512 s[4:19], s[0:1], 0x10
	s_bfe_u32 s23, ttmp6, 0x40010
	s_bfe_u32 s26, ttmp6, 0x4000c
	s_and_b32 s22, ttmp7, 0xffff
	s_add_co_i32 s23, s23, 1
	s_add_co_i32 s26, s26, 1
	s_bfe_u32 s24, ttmp6, 0x40004
	s_and_b32 s25, ttmp6, 15
	s_mul_i32 s23, s22, s23
	s_mul_i32 s26, ttmp9, s26
	v_bfe_u32 v1, v0, 10, 10
	s_add_co_i32 s24, s24, s23
	s_add_co_i32 s25, s25, s26
	v_mov_b32_e32 v3, 0
	v_and_b32_e32 v0, 0x3ff, v0
	s_wait_kmcnt 0x0
	s_lshl_b64 s[14:15], s[14:15], 1
	s_lshl_b64 s[6:7], s[6:7], 1
	s_cmp_eq_u32 s2, 0
	s_add_nc_u64 s[4:5], s[4:5], s[6:7]
	s_cselect_b32 s2, s22, s24
	s_add_nc_u64 s[6:7], s[12:13], s[14:15]
	v_lshl_add_u32 v2, s2, 5, v1
	s_load_b96 s[0:2], s[0:1], 0x0
	v_mov_b32_e32 v1, v3
	s_delay_alu instid0(VALU_DEP_2) | instskip(SKIP_2) | instid1(SALU_CYCLE_1)
	v_mul_u64_e32 v[4:5], s[8:9], v[2:3]
	v_mul_u64_e32 v[6:7], s[16:17], v[2:3]
	s_cselect_b32 s8, ttmp9, s25
	v_lshl_add_u32 v0, s8, 5, v0
	s_wait_kmcnt 0x0
	s_delay_alu instid0(VALU_DEP_1)
	v_cmp_gt_u32_e32 vcc_lo, s0, v0
	v_cmp_gt_u32_e64 s0, s1, v2
	v_lshlrev_b64_e32 v[2:3], 1, v[0:1]
	s_and_b32 s0, vcc_lo, s0
	s_cmp_neq_f16 s2, 0
	s_cselect_b32 s1, -1, 0
	v_lshl_add_u64 v[0:1], v[4:5], 1, s[4:5]
	v_lshl_add_u64 v[4:5], v[6:7], 1, s[6:7]
	s_delay_alu instid0(VALU_DEP_2) | instskip(NEXT) | instid1(VALU_DEP_2)
	v_add_nc_u64_e32 v[0:1], v[0:1], v[2:3]
	v_add_nc_u64_e32 v[2:3], v[4:5], v[2:3]
	s_branch .LBB334_5
.LBB334_2:                              ;   in Loop: Header=BB334_5 Depth=1
	s_mul_u64 s[6:7], s[10:11], s[20:21]
	s_delay_alu instid0(SALU_CYCLE_1)
	v_lshl_add_u64 v[4:5], s[6:7], 1, v[0:1]
	global_load_u16 v4, v[4:5], off
	s_wait_loadcnt 0x0
	s_wait_xcnt 0x0
	v_mul_f16_e32 v4, s2, v4
.LBB334_3:                              ;   in Loop: Header=BB334_5 Depth=1
	s_mul_u64 s[6:7], s[18:19], s[20:21]
	s_delay_alu instid0(SALU_CYCLE_1)
	v_lshl_add_u64 v[6:7], s[6:7], 1, v[2:3]
	global_store_b16 v[6:7], v4, off
.LBB334_4:                              ;   in Loop: Header=BB334_5 Depth=1
	s_wait_xcnt 0x0
	s_or_b32 exec_lo, exec_lo, s4
	s_add_co_i32 s20, s20, 0x10000
	s_delay_alu instid0(SALU_CYCLE_1)
	s_cmp_lt_u32 s20, s3
	s_cbranch_scc0 .LBB334_8
.LBB334_5:                              ; =>This Inner Loop Header: Depth=1
	s_and_saveexec_b32 s4, s0
	s_cbranch_execz .LBB334_4
; %bb.6:                                ;   in Loop: Header=BB334_5 Depth=1
	s_and_not1_b32 vcc_lo, exec_lo, s1
	s_cbranch_vccz .LBB334_2
; %bb.7:                                ;   in Loop: Header=BB334_5 Depth=1
	v_mov_b32_e32 v4, 0
	s_branch .LBB334_3
.LBB334_8:
	s_endpgm
	.section	.rodata,"a",@progbits
	.p2align	6, 0x0
	.amdhsa_kernel _ZN12_GLOBAL__N_120gemm_ex_scale_kernelILi32ELi32EDF16_PKDF16_PDF16_EEviiT1_T2_lllT3_llli
		.amdhsa_group_segment_fixed_size 0
		.amdhsa_private_segment_fixed_size 0
		.amdhsa_kernarg_size 84
		.amdhsa_user_sgpr_count 2
		.amdhsa_user_sgpr_dispatch_ptr 0
		.amdhsa_user_sgpr_queue_ptr 0
		.amdhsa_user_sgpr_kernarg_segment_ptr 1
		.amdhsa_user_sgpr_dispatch_id 0
		.amdhsa_user_sgpr_kernarg_preload_length 0
		.amdhsa_user_sgpr_kernarg_preload_offset 0
		.amdhsa_user_sgpr_private_segment_size 0
		.amdhsa_wavefront_size32 1
		.amdhsa_uses_dynamic_stack 0
		.amdhsa_enable_private_segment 0
		.amdhsa_system_sgpr_workgroup_id_x 1
		.amdhsa_system_sgpr_workgroup_id_y 1
		.amdhsa_system_sgpr_workgroup_id_z 1
		.amdhsa_system_sgpr_workgroup_info 0
		.amdhsa_system_vgpr_workitem_id 1
		.amdhsa_next_free_vgpr 8
		.amdhsa_next_free_sgpr 27
		.amdhsa_named_barrier_count 0
		.amdhsa_reserve_vcc 1
		.amdhsa_float_round_mode_32 0
		.amdhsa_float_round_mode_16_64 0
		.amdhsa_float_denorm_mode_32 3
		.amdhsa_float_denorm_mode_16_64 3
		.amdhsa_fp16_overflow 0
		.amdhsa_memory_ordered 1
		.amdhsa_forward_progress 1
		.amdhsa_inst_pref_size 4
		.amdhsa_round_robin_scheduling 0
		.amdhsa_exception_fp_ieee_invalid_op 0
		.amdhsa_exception_fp_denorm_src 0
		.amdhsa_exception_fp_ieee_div_zero 0
		.amdhsa_exception_fp_ieee_overflow 0
		.amdhsa_exception_fp_ieee_underflow 0
		.amdhsa_exception_fp_ieee_inexact 0
		.amdhsa_exception_int_div_zero 0
	.end_amdhsa_kernel
	.section	.text._ZN12_GLOBAL__N_120gemm_ex_scale_kernelILi32ELi32EDF16_PKDF16_PDF16_EEviiT1_T2_lllT3_llli,"axG",@progbits,_ZN12_GLOBAL__N_120gemm_ex_scale_kernelILi32ELi32EDF16_PKDF16_PDF16_EEviiT1_T2_lllT3_llli,comdat
.Lfunc_end334:
	.size	_ZN12_GLOBAL__N_120gemm_ex_scale_kernelILi32ELi32EDF16_PKDF16_PDF16_EEviiT1_T2_lllT3_llli, .Lfunc_end334-_ZN12_GLOBAL__N_120gemm_ex_scale_kernelILi32ELi32EDF16_PKDF16_PDF16_EEviiT1_T2_lllT3_llli
                                        ; -- End function
	.set _ZN12_GLOBAL__N_120gemm_ex_scale_kernelILi32ELi32EDF16_PKDF16_PDF16_EEviiT1_T2_lllT3_llli.num_vgpr, 8
	.set _ZN12_GLOBAL__N_120gemm_ex_scale_kernelILi32ELi32EDF16_PKDF16_PDF16_EEviiT1_T2_lllT3_llli.num_agpr, 0
	.set _ZN12_GLOBAL__N_120gemm_ex_scale_kernelILi32ELi32EDF16_PKDF16_PDF16_EEviiT1_T2_lllT3_llli.numbered_sgpr, 27
	.set _ZN12_GLOBAL__N_120gemm_ex_scale_kernelILi32ELi32EDF16_PKDF16_PDF16_EEviiT1_T2_lllT3_llli.num_named_barrier, 0
	.set _ZN12_GLOBAL__N_120gemm_ex_scale_kernelILi32ELi32EDF16_PKDF16_PDF16_EEviiT1_T2_lllT3_llli.private_seg_size, 0
	.set _ZN12_GLOBAL__N_120gemm_ex_scale_kernelILi32ELi32EDF16_PKDF16_PDF16_EEviiT1_T2_lllT3_llli.uses_vcc, 1
	.set _ZN12_GLOBAL__N_120gemm_ex_scale_kernelILi32ELi32EDF16_PKDF16_PDF16_EEviiT1_T2_lllT3_llli.uses_flat_scratch, 0
	.set _ZN12_GLOBAL__N_120gemm_ex_scale_kernelILi32ELi32EDF16_PKDF16_PDF16_EEviiT1_T2_lllT3_llli.has_dyn_sized_stack, 0
	.set _ZN12_GLOBAL__N_120gemm_ex_scale_kernelILi32ELi32EDF16_PKDF16_PDF16_EEviiT1_T2_lllT3_llli.has_recursion, 0
	.set _ZN12_GLOBAL__N_120gemm_ex_scale_kernelILi32ELi32EDF16_PKDF16_PDF16_EEviiT1_T2_lllT3_llli.has_indirect_call, 0
	.section	.AMDGPU.csdata,"",@progbits
; Kernel info:
; codeLenInByte = 420
; TotalNumSgprs: 29
; NumVgprs: 8
; ScratchSize: 0
; MemoryBound: 0
; FloatMode: 240
; IeeeMode: 1
; LDSByteSize: 0 bytes/workgroup (compile time only)
; SGPRBlocks: 0
; VGPRBlocks: 0
; NumSGPRsForWavesPerEU: 29
; NumVGPRsForWavesPerEU: 8
; NamedBarCnt: 0
; Occupancy: 16
; WaveLimiterHint : 0
; COMPUTE_PGM_RSRC2:SCRATCH_EN: 0
; COMPUTE_PGM_RSRC2:USER_SGPR: 2
; COMPUTE_PGM_RSRC2:TRAP_HANDLER: 0
; COMPUTE_PGM_RSRC2:TGID_X_EN: 1
; COMPUTE_PGM_RSRC2:TGID_Y_EN: 1
; COMPUTE_PGM_RSRC2:TGID_Z_EN: 1
; COMPUTE_PGM_RSRC2:TIDIG_COMP_CNT: 1
	.section	.text._ZN12_GLOBAL__N_127rocblas_gemm_batched_kernelIDF16_Li16ELi16ELi64ELi64ELi4ELi64ELi4ELi4ELi64ELc78ELc78EKDF16_S1_DF16_EEvlllT_PT11_llS4_llS2_PT12_llPT13_lli,"axG",@progbits,_ZN12_GLOBAL__N_127rocblas_gemm_batched_kernelIDF16_Li16ELi16ELi64ELi64ELi4ELi64ELi4ELi4ELi64ELc78ELc78EKDF16_S1_DF16_EEvlllT_PT11_llS4_llS2_PT12_llPT13_lli,comdat
	.globl	_ZN12_GLOBAL__N_127rocblas_gemm_batched_kernelIDF16_Li16ELi16ELi64ELi64ELi4ELi64ELi4ELi4ELi64ELc78ELc78EKDF16_S1_DF16_EEvlllT_PT11_llS4_llS2_PT12_llPT13_lli ; -- Begin function _ZN12_GLOBAL__N_127rocblas_gemm_batched_kernelIDF16_Li16ELi16ELi64ELi64ELi4ELi64ELi4ELi4ELi64ELc78ELc78EKDF16_S1_DF16_EEvlllT_PT11_llS4_llS2_PT12_llPT13_lli
	.p2align	8
	.type	_ZN12_GLOBAL__N_127rocblas_gemm_batched_kernelIDF16_Li16ELi16ELi64ELi64ELi4ELi64ELi4ELi4ELi64ELc78ELc78EKDF16_S1_DF16_EEvlllT_PT11_llS4_llS2_PT12_llPT13_lli,@function
_ZN12_GLOBAL__N_127rocblas_gemm_batched_kernelIDF16_Li16ELi16ELi64ELi64ELi4ELi64ELi4ELi4ELi64ELc78ELc78EKDF16_S1_DF16_EEvlllT_PT11_llS4_llS2_PT12_llPT13_lli: ; @_ZN12_GLOBAL__N_127rocblas_gemm_batched_kernelIDF16_Li16ELi16ELi64ELi64ELi4ELi64ELi4ELi4ELi64ELc78ELc78EKDF16_S1_DF16_EEvlllT_PT11_llS4_llS2_PT12_llPT13_lli
; %bb.0:
	s_load_b32 s31, s[0:1], 0x88
	s_bfe_u32 s2, ttmp6, 0x40014
	s_lshr_b32 s3, ttmp7, 16
	s_add_co_i32 s2, s2, 1
	s_bfe_u32 s4, ttmp6, 0x40008
	s_mul_i32 s2, s3, s2
	s_getreg_b32 s12, hwreg(HW_REG_IB_STS2, 6, 4)
	s_add_co_i32 s4, s4, s2
	s_cmp_eq_u32 s12, 0
	s_cselect_b32 s2, s3, s4
	s_mov_b32 s3, 0
	s_wait_kmcnt 0x0
	s_cmp_ge_i32 s2, s31
	s_cbranch_scc1 .LBB335_11
; %bb.1:
	v_bfe_u32 v2, v0, 10, 10
	v_and_b32_e32 v4, 0x3ff, v0
	s_bfe_u32 s14, ttmp6, 0x4000c
	s_bfe_u32 s15, ttmp6, 0x40010
	s_clause 0x1
	s_load_b128 s[24:27], s[0:1], 0x40
	s_load_b256 s[4:11], s[0:1], 0x58
	s_add_co_i32 s14, s14, 1
	s_and_b32 s16, ttmp7, 0xffff
	s_add_co_i32 s15, s15, 1
	v_lshl_add_u32 v14, v2, 4, v4
	v_mov_b32_e32 v3, 0
	s_and_b32 s13, ttmp6, 15
	s_mul_i32 s14, ttmp9, s14
	s_mul_i32 s15, s16, s15
	s_bfe_u32 s17, ttmp6, 0x40004
	s_add_co_i32 s13, s13, s14
	s_add_co_i32 s17, s17, s15
	s_cmp_eq_u32 s12, 0
	v_dual_mov_b32 v7, v3 :: v_dual_lshrrev_b32 v6, 2, v14
	v_lshlrev_b32_e32 v15, 1, v0
	s_cselect_b32 s12, s16, s17
	s_cselect_b32 s28, ttmp9, s13
	s_lshl_b32 s34, s12, 6
	s_load_b256 s[12:19], s[0:1], 0x20
	s_mov_b32 s35, s3
	s_clause 0x1
	s_load_b128 s[20:23], s[0:1], 0x78
	s_load_b32 s33, s[0:1], 0x50
	v_add_nc_u64_e32 v[8:9], s[34:35], v[6:7]
	v_add_nc_u64_e32 v[10:11], s[34:35], v[2:3]
	v_dual_lshrrev_b32 v7, 6, v14 :: v_dual_mov_b32 v5, v3
	s_ashr_i32 s29, s28, 31
	v_and_b32_e32 v20, 6, v15
	v_lshl_add_u32 v15, v2, 3, 0x200
	s_wait_kmcnt 0x0
	v_mul_u64_e32 v[8:9], s[24:25], v[8:9]
	v_mul_u64_e32 v[12:13], s[6:7], v[10:11]
	s_lshl_b64 s[24:25], s[28:29], 6
	s_load_b96 s[28:30], s[0:1], 0x10
	v_mov_b32_e32 v21, v3
	v_add_nc_u64_e32 v[22:23], s[24:25], v[4:5]
	v_mad_nc_u64_u32 v[18:19], s14, v7, s[24:25]
	v_mul_u64_e32 v[0:1], s[20:21], v[10:11]
	v_dual_mov_b32 v11, v3 :: v_dual_bitop2_b32 v10, 63, v14 bitop3:0x40
	v_lshlrev_b32_e32 v14, 1, v4
	v_lshl_or_b32 v6, v6, 3, v20
	s_cmp_eq_f16 s33, 0
	s_delay_alu instid0(VALU_DEP_3) | instskip(SKIP_1) | instid1(VALU_DEP_3)
	v_lshlrev_b32_e32 v2, 1, v10
	v_mad_u32 v19, s15, v7, v19
	v_add_nc_u32_e32 v17, 0x200, v6
	s_wait_xcnt 0x0
	s_cselect_b32 s1, -1, 0
	s_wait_kmcnt 0x0
	v_cmp_gt_i64_e64 s0, s[28:29], 0
	v_lshl_or_b32 v16, v7, 7, v2
	s_lshl_b64 s[20:21], s[20:21], 4
	s_lshl_b64 s[24:25], s[6:7], 4
	;; [unrolled: 1-line block ×4, first 2 shown]
	v_add_nc_u64_e32 v[6:7], v[18:19], v[10:11]
	v_lshl_add_u64 v[4:5], v[8:9], 1, v[20:21]
	v_cndmask_b32_e64 v10, 0, 1, s0
	v_lshlrev_b64_e32 v[8:9], 1, v[22:23]
	v_lshl_add_u64 v[2:3], v[12:13], 1, s[4:5]
	s_lshl_b64 s[4:5], s[26:27], 1
	v_add_nc_u64_e32 v[4:5], s[18:19], v[4:5]
	v_lshl_add_u64 v[6:7], v[6:7], 1, s[12:13]
	v_cmp_ne_u32_e64 s0, 1, v10
	s_lshl_b64 s[12:13], s[14:15], 3
	s_lshl_b64 s[14:15], s[20:21], 1
	s_branch .LBB335_3
.LBB335_2:                              ;   in Loop: Header=BB335_3 Depth=1
	s_add_co_i32 s2, s2, 0x10000
	s_delay_alu instid0(SALU_CYCLE_1)
	s_cmp_lt_i32 s2, s31
	s_cbranch_scc0 .LBB335_11
.LBB335_3:                              ; =>This Loop Header: Depth=1
                                        ;     Child Loop BB335_5 Depth 2
	s_and_b32 vcc_lo, exec_lo, s0
	s_cbranch_vccnz .LBB335_6
; %bb.4:                                ;   in Loop: Header=BB335_3 Depth=1
	s_wait_xcnt 0x0
	v_mad_nc_u64_u32 v[10:11], s4, s2, v[4:5]
	v_mad_nc_u64_u32 v[12:13], s6, s2, v[6:7]
	v_dual_mov_b32 v18, 0 :: v_dual_mov_b32 v19, 0
	v_dual_mov_b32 v20, 0 :: v_dual_mov_b32 v21, 0
	;; [unrolled: 1-line block ×4, first 2 shown]
	s_mov_b64 s[18:19], 0
	v_mad_u32 v11, s5, s2, v11
	v_mad_u32 v13, s7, s2, v13
.LBB335_5:                              ;   Parent Loop BB335_3 Depth=1
                                        ; =>  This Inner Loop Header: Depth=2
	global_load_u16 v26, v[12:13], off
	global_load_u16 v27, v[10:11], off
	s_add_nc_u64 s[18:19], s[18:19], 4
	s_wait_xcnt 0x0
	v_add_nc_u64_e32 v[10:11], 8, v[10:11]
	v_cmp_lt_i64_e64 s20, s[18:19], s[28:29]
	v_add_nc_u64_e32 v[12:13], s[12:13], v[12:13]
	s_wait_loadcnt 0x1
	ds_store_b16 v16, v26
	s_wait_loadcnt 0x0
	ds_store_b16 v17, v27
	s_wait_dscnt 0x0
	s_barrier_signal -1
	s_barrier_wait -1
	ds_load_u16 v34, v14
	ds_load_u16 v35, v14 offset:32
	ds_load_u16 v36, v14 offset:64
	;; [unrolled: 1-line block ×15, first 2 shown]
	ds_load_2addr_b64 v[26:29], v15 offset1:16
	ds_load_2addr_b64 v[30:33], v15 offset0:32 offset1:48
	s_and_b32 vcc_lo, exec_lo, s20
	s_wait_dscnt 0x0
	s_barrier_signal -1
	v_perm_b32 v34, v34, v35, 0x5040100
	s_barrier_wait -1
	v_perm_b32 v36, v36, v37, 0x5040100
	v_perm_b32 v35, v38, v39, 0x5040100
	v_perm_b32 v37, v40, v41, 0x5040100
	v_perm_b32 v38, v42, v43, 0x5040100
	v_perm_b32 v39, v44, v45, 0x5040100
	v_perm_b32 v40, v46, v47, 0x5040100
	v_perm_b32 v41, v48, v49, 0x5040100
	v_pk_fma_f16 v25, v34, v26, v25 op_sel_hi:[1,0,1]
	v_pk_fma_f16 v24, v36, v26, v24 op_sel_hi:[1,0,1]
	;; [unrolled: 1-line block ×8, first 2 shown]
	v_pk_fma_f16 v25, v35, v26, v25 op_sel:[0,1,0]
	v_pk_fma_f16 v24, v37, v26, v24 op_sel:[0,1,0]
	v_pk_fma_f16 v23, v35, v28, v23 op_sel:[0,1,0]
	v_pk_fma_f16 v22, v37, v28, v22 op_sel:[0,1,0]
	v_pk_fma_f16 v21, v35, v30, v21 op_sel:[0,1,0]
	v_pk_fma_f16 v20, v37, v30, v20 op_sel:[0,1,0]
	v_pk_fma_f16 v19, v35, v32, v19 op_sel:[0,1,0]
	v_pk_fma_f16 v18, v37, v32, v18 op_sel:[0,1,0]
	v_pk_fma_f16 v25, v38, v27, v25 op_sel_hi:[1,0,1]
	v_pk_fma_f16 v24, v40, v27, v24 op_sel_hi:[1,0,1]
	;; [unrolled: 1-line block ×8, first 2 shown]
	v_pk_fma_f16 v25, v39, v27, v25 op_sel:[0,1,0]
	v_pk_fma_f16 v24, v41, v27, v24 op_sel:[0,1,0]
	;; [unrolled: 1-line block ×8, first 2 shown]
	s_cbranch_vccnz .LBB335_5
	s_branch .LBB335_7
.LBB335_6:                              ;   in Loop: Header=BB335_3 Depth=1
	v_dual_mov_b32 v25, 0 :: v_dual_mov_b32 v24, 0
	s_wait_xcnt 0x1
	v_dual_mov_b32 v23, 0 :: v_dual_mov_b32 v22, 0
	v_dual_mov_b32 v21, 0 :: v_dual_mov_b32 v20, 0
	;; [unrolled: 1-line block ×3, first 2 shown]
.LBB335_7:                              ;   in Loop: Header=BB335_3 Depth=1
	s_mul_u64 s[18:19], s[22:23], s[2:3]
	v_dual_lshrrev_b32 v33, 16, v25 :: v_dual_lshrrev_b32 v32, 16, v24
	s_lshl_b64 s[18:19], s[18:19], 1
	v_dual_lshrrev_b32 v31, 16, v23 :: v_dual_lshrrev_b32 v30, 16, v22
	s_add_nc_u64 s[18:19], s[10:11], s[18:19]
	v_dual_lshrrev_b32 v29, 16, v21 :: v_dual_lshrrev_b32 v28, 16, v20
	s_wait_xcnt 0x0
	v_lshl_add_u64 v[10:11], v[0:1], 1, s[18:19]
	v_dual_lshrrev_b32 v27, 16, v19 :: v_dual_lshrrev_b32 v26, 16, v18
	s_and_not1_b32 vcc_lo, exec_lo, s1
	s_delay_alu instid0(VALU_DEP_2)
	v_add_nc_u64_e32 v[12:13], v[10:11], v[8:9]
	v_add_nc_u64_e32 v[10:11], s[14:15], v[10:11]
	s_cbranch_vccnz .LBB335_9
; %bb.8:                                ;   in Loop: Header=BB335_3 Depth=1
	v_mul_f16_e32 v36, s30, v33
	v_mul_f16_e32 v37, s30, v25
	s_delay_alu instid0(VALU_DEP_3)
	v_add_nc_u64_e32 v[34:35], s[14:15], v[10:11]
	v_mul_f16_e32 v38, s30, v32
	v_mul_f16_e32 v39, s30, v24
	s_clause 0x3
	global_store_b16 v[12:13], v36, off
	global_store_b16 v[12:13], v37, off offset:32
	global_store_b16 v[12:13], v38, off offset:64
	;; [unrolled: 1-line block ×3, first 2 shown]
	s_wait_xcnt 0x2
	v_add_nc_u64_e32 v[36:37], v[10:11], v[8:9]
	v_mul_f16_e32 v40, s30, v31
	v_mul_f16_e32 v41, s30, v23
	s_wait_xcnt 0x0
	v_add_nc_u64_e32 v[38:39], v[34:35], v[8:9]
	v_add_nc_u64_e32 v[34:35], s[14:15], v[34:35]
	v_mul_f16_e32 v42, s30, v30
	v_mul_f16_e32 v43, s30, v22
	s_clause 0x3
	global_store_b16 v[36:37], v40, off
	global_store_b16 v[36:37], v41, off offset:32
	global_store_b16 v[36:37], v42, off offset:64
	;; [unrolled: 1-line block ×3, first 2 shown]
	s_wait_xcnt 0x0
	v_mul_f16_e32 v36, s30, v29
	v_mul_f16_e32 v37, s30, v21
	;; [unrolled: 1-line block ×4, first 2 shown]
	v_add_nc_u64_e32 v[34:35], v[34:35], v[8:9]
	s_clause 0x3
	global_store_b16 v[38:39], v36, off
	global_store_b16 v[38:39], v37, off offset:32
	global_store_b16 v[38:39], v40, off offset:64
	;; [unrolled: 1-line block ×3, first 2 shown]
	s_wait_xcnt 0x3
	v_mul_f16_e32 v36, s30, v27
	s_wait_xcnt 0x2
	v_mul_f16_e32 v37, s30, v19
	;; [unrolled: 2-line block ×3, first 2 shown]
	v_mul_f16_e32 v39, s30, v18
	s_clause 0x3
	global_store_b16 v[34:35], v36, off
	global_store_b16 v[34:35], v37, off offset:32
	global_store_b16 v[34:35], v38, off offset:64
	;; [unrolled: 1-line block ×3, first 2 shown]
	s_cbranch_execnz .LBB335_2
	s_branch .LBB335_10
.LBB335_9:                              ;   in Loop: Header=BB335_3 Depth=1
.LBB335_10:                             ;   in Loop: Header=BB335_3 Depth=1
	s_mul_u64 s[18:19], s[8:9], s[2:3]
	s_wait_xcnt 0x0
	v_lshl_add_u64 v[34:35], s[18:19], 1, v[2:3]
	s_delay_alu instid0(VALU_DEP_1) | instskip(SKIP_3) | instid1(VALU_DEP_1)
	v_add_nc_u64_e32 v[36:37], v[34:35], v[8:9]
	global_load_u16 v38, v[36:37], off
	s_wait_loadcnt 0x0
	v_mul_f16_e32 v38, s33, v38
	v_fmac_f16_e32 v38, s30, v33
	global_store_b16 v[12:13], v38, off
	global_load_u16 v33, v[36:37], off offset:32
	s_wait_loadcnt 0x0
	v_mul_f16_e32 v33, s33, v33
	s_delay_alu instid0(VALU_DEP_1) | instskip(SKIP_4) | instid1(VALU_DEP_1)
	v_fmac_f16_e32 v33, s30, v25
	global_store_b16 v[12:13], v33, off offset:32
	global_load_u16 v25, v[36:37], off offset:64
	s_wait_loadcnt 0x0
	v_mul_f16_e32 v25, s33, v25
	v_fmac_f16_e32 v25, s30, v32
	s_wait_xcnt 0x1
	v_add_nc_u64_e32 v[32:33], s[16:17], v[34:35]
	global_store_b16 v[12:13], v25, off offset:64
	global_load_u16 v25, v[36:37], off offset:96
	v_add_nc_u64_e32 v[34:35], v[32:33], v[8:9]
	s_wait_loadcnt 0x0
	v_mul_f16_e32 v25, s33, v25
	s_delay_alu instid0(VALU_DEP_1)
	v_fmac_f16_e32 v25, s30, v24
	global_store_b16 v[12:13], v25, off offset:96
	global_load_u16 v12, v[34:35], off
	s_wait_loadcnt 0x0
	v_mul_f16_e32 v24, s33, v12
	v_add_nc_u64_e32 v[12:13], v[10:11], v[8:9]
	v_add_nc_u64_e32 v[10:11], s[14:15], v[10:11]
	s_delay_alu instid0(VALU_DEP_3) | instskip(SKIP_4) | instid1(VALU_DEP_1)
	v_fmac_f16_e32 v24, s30, v31
	global_store_b16 v[12:13], v24, off
	global_load_u16 v24, v[34:35], off offset:32
	s_wait_loadcnt 0x0
	v_mul_f16_e32 v24, s33, v24
	v_fmac_f16_e32 v24, s30, v23
	global_store_b16 v[12:13], v24, off offset:32
	global_load_u16 v23, v[34:35], off offset:64
	s_wait_xcnt 0x1
	v_add_nc_u64_e32 v[24:25], s[16:17], v[32:33]
	s_wait_loadcnt 0x0
	v_mul_f16_e32 v23, s33, v23
	s_delay_alu instid0(VALU_DEP_1) | instskip(NEXT) | instid1(VALU_DEP_3)
	v_fmac_f16_e32 v23, s30, v30
	v_add_nc_u64_e32 v[30:31], v[24:25], v[8:9]
	global_store_b16 v[12:13], v23, off offset:64
	global_load_u16 v23, v[34:35], off offset:96
	s_wait_loadcnt 0x0
	v_mul_f16_e32 v23, s33, v23
	s_delay_alu instid0(VALU_DEP_1)
	v_fmac_f16_e32 v23, s30, v22
	global_store_b16 v[12:13], v23, off offset:96
	global_load_u16 v12, v[30:31], off
	s_wait_loadcnt 0x0
	v_mul_f16_e32 v22, s33, v12
	v_add_nc_u64_e32 v[12:13], v[10:11], v[8:9]
	v_add_nc_u64_e32 v[10:11], s[14:15], v[10:11]
	s_delay_alu instid0(VALU_DEP_3) | instskip(NEXT) | instid1(VALU_DEP_2)
	v_fmac_f16_e32 v22, s30, v29
	v_add_nc_u64_e32 v[10:11], v[10:11], v[8:9]
	global_store_b16 v[12:13], v22, off
	global_load_u16 v22, v[30:31], off offset:32
	s_wait_loadcnt 0x0
	v_mul_f16_e32 v22, s33, v22
	s_delay_alu instid0(VALU_DEP_1) | instskip(SKIP_4) | instid1(VALU_DEP_1)
	v_fmac_f16_e32 v22, s30, v21
	global_store_b16 v[12:13], v22, off offset:32
	global_load_u16 v21, v[30:31], off offset:64
	s_wait_xcnt 0x1
	v_add_nc_u64_e32 v[22:23], s[16:17], v[24:25]
	v_add_nc_u64_e32 v[22:23], v[22:23], v[8:9]
	s_wait_loadcnt 0x0
	v_mul_f16_e32 v21, s33, v21
	s_delay_alu instid0(VALU_DEP_1) | instskip(SKIP_4) | instid1(VALU_DEP_1)
	v_fmac_f16_e32 v21, s30, v28
	global_store_b16 v[12:13], v21, off offset:64
	global_load_u16 v21, v[30:31], off offset:96
	s_wait_loadcnt 0x0
	v_mul_f16_e32 v21, s33, v21
	v_fmac_f16_e32 v21, s30, v20
	global_store_b16 v[12:13], v21, off offset:96
	global_load_u16 v12, v[22:23], off
	s_wait_loadcnt 0x0
	v_mul_f16_e32 v12, s33, v12
	s_delay_alu instid0(VALU_DEP_1) | instskip(SKIP_4) | instid1(VALU_DEP_1)
	v_fmac_f16_e32 v12, s30, v27
	global_store_b16 v[10:11], v12, off
	global_load_u16 v12, v[22:23], off offset:32
	s_wait_loadcnt 0x0
	v_mul_f16_e32 v12, s33, v12
	v_fmac_f16_e32 v12, s30, v19
	global_store_b16 v[10:11], v12, off offset:32
	global_load_u16 v12, v[22:23], off offset:64
	s_wait_loadcnt 0x0
	v_mul_f16_e32 v12, s33, v12
	s_delay_alu instid0(VALU_DEP_1) | instskip(SKIP_4) | instid1(VALU_DEP_1)
	v_fmac_f16_e32 v12, s30, v26
	global_store_b16 v[10:11], v12, off offset:64
	global_load_u16 v12, v[22:23], off offset:96
	s_wait_loadcnt 0x0
	v_mul_f16_e32 v12, s33, v12
	v_fmac_f16_e32 v12, s30, v18
	global_store_b16 v[10:11], v12, off offset:96
	s_branch .LBB335_2
.LBB335_11:
	s_endpgm
	.section	.rodata,"a",@progbits
	.p2align	6, 0x0
	.amdhsa_kernel _ZN12_GLOBAL__N_127rocblas_gemm_batched_kernelIDF16_Li16ELi16ELi64ELi64ELi4ELi64ELi4ELi4ELi64ELc78ELc78EKDF16_S1_DF16_EEvlllT_PT11_llS4_llS2_PT12_llPT13_lli
		.amdhsa_group_segment_fixed_size 1024
		.amdhsa_private_segment_fixed_size 0
		.amdhsa_kernarg_size 140
		.amdhsa_user_sgpr_count 2
		.amdhsa_user_sgpr_dispatch_ptr 0
		.amdhsa_user_sgpr_queue_ptr 0
		.amdhsa_user_sgpr_kernarg_segment_ptr 1
		.amdhsa_user_sgpr_dispatch_id 0
		.amdhsa_user_sgpr_kernarg_preload_length 0
		.amdhsa_user_sgpr_kernarg_preload_offset 0
		.amdhsa_user_sgpr_private_segment_size 0
		.amdhsa_wavefront_size32 1
		.amdhsa_uses_dynamic_stack 0
		.amdhsa_enable_private_segment 0
		.amdhsa_system_sgpr_workgroup_id_x 1
		.amdhsa_system_sgpr_workgroup_id_y 1
		.amdhsa_system_sgpr_workgroup_id_z 1
		.amdhsa_system_sgpr_workgroup_info 0
		.amdhsa_system_vgpr_workitem_id 1
		.amdhsa_next_free_vgpr 50
		.amdhsa_next_free_sgpr 36
		.amdhsa_named_barrier_count 0
		.amdhsa_reserve_vcc 1
		.amdhsa_float_round_mode_32 0
		.amdhsa_float_round_mode_16_64 0
		.amdhsa_float_denorm_mode_32 3
		.amdhsa_float_denorm_mode_16_64 3
		.amdhsa_fp16_overflow 0
		.amdhsa_memory_ordered 1
		.amdhsa_forward_progress 1
		.amdhsa_inst_pref_size 19
		.amdhsa_round_robin_scheduling 0
		.amdhsa_exception_fp_ieee_invalid_op 0
		.amdhsa_exception_fp_denorm_src 0
		.amdhsa_exception_fp_ieee_div_zero 0
		.amdhsa_exception_fp_ieee_overflow 0
		.amdhsa_exception_fp_ieee_underflow 0
		.amdhsa_exception_fp_ieee_inexact 0
		.amdhsa_exception_int_div_zero 0
	.end_amdhsa_kernel
	.section	.text._ZN12_GLOBAL__N_127rocblas_gemm_batched_kernelIDF16_Li16ELi16ELi64ELi64ELi4ELi64ELi4ELi4ELi64ELc78ELc78EKDF16_S1_DF16_EEvlllT_PT11_llS4_llS2_PT12_llPT13_lli,"axG",@progbits,_ZN12_GLOBAL__N_127rocblas_gemm_batched_kernelIDF16_Li16ELi16ELi64ELi64ELi4ELi64ELi4ELi4ELi64ELc78ELc78EKDF16_S1_DF16_EEvlllT_PT11_llS4_llS2_PT12_llPT13_lli,comdat
.Lfunc_end335:
	.size	_ZN12_GLOBAL__N_127rocblas_gemm_batched_kernelIDF16_Li16ELi16ELi64ELi64ELi4ELi64ELi4ELi4ELi64ELc78ELc78EKDF16_S1_DF16_EEvlllT_PT11_llS4_llS2_PT12_llPT13_lli, .Lfunc_end335-_ZN12_GLOBAL__N_127rocblas_gemm_batched_kernelIDF16_Li16ELi16ELi64ELi64ELi4ELi64ELi4ELi4ELi64ELc78ELc78EKDF16_S1_DF16_EEvlllT_PT11_llS4_llS2_PT12_llPT13_lli
                                        ; -- End function
	.set _ZN12_GLOBAL__N_127rocblas_gemm_batched_kernelIDF16_Li16ELi16ELi64ELi64ELi4ELi64ELi4ELi4ELi64ELc78ELc78EKDF16_S1_DF16_EEvlllT_PT11_llS4_llS2_PT12_llPT13_lli.num_vgpr, 50
	.set _ZN12_GLOBAL__N_127rocblas_gemm_batched_kernelIDF16_Li16ELi16ELi64ELi64ELi4ELi64ELi4ELi4ELi64ELc78ELc78EKDF16_S1_DF16_EEvlllT_PT11_llS4_llS2_PT12_llPT13_lli.num_agpr, 0
	.set _ZN12_GLOBAL__N_127rocblas_gemm_batched_kernelIDF16_Li16ELi16ELi64ELi64ELi4ELi64ELi4ELi4ELi64ELc78ELc78EKDF16_S1_DF16_EEvlllT_PT11_llS4_llS2_PT12_llPT13_lli.numbered_sgpr, 36
	.set _ZN12_GLOBAL__N_127rocblas_gemm_batched_kernelIDF16_Li16ELi16ELi64ELi64ELi4ELi64ELi4ELi4ELi64ELc78ELc78EKDF16_S1_DF16_EEvlllT_PT11_llS4_llS2_PT12_llPT13_lli.num_named_barrier, 0
	.set _ZN12_GLOBAL__N_127rocblas_gemm_batched_kernelIDF16_Li16ELi16ELi64ELi64ELi4ELi64ELi4ELi4ELi64ELc78ELc78EKDF16_S1_DF16_EEvlllT_PT11_llS4_llS2_PT12_llPT13_lli.private_seg_size, 0
	.set _ZN12_GLOBAL__N_127rocblas_gemm_batched_kernelIDF16_Li16ELi16ELi64ELi64ELi4ELi64ELi4ELi4ELi64ELc78ELc78EKDF16_S1_DF16_EEvlllT_PT11_llS4_llS2_PT12_llPT13_lli.uses_vcc, 1
	.set _ZN12_GLOBAL__N_127rocblas_gemm_batched_kernelIDF16_Li16ELi16ELi64ELi64ELi4ELi64ELi4ELi4ELi64ELc78ELc78EKDF16_S1_DF16_EEvlllT_PT11_llS4_llS2_PT12_llPT13_lli.uses_flat_scratch, 0
	.set _ZN12_GLOBAL__N_127rocblas_gemm_batched_kernelIDF16_Li16ELi16ELi64ELi64ELi4ELi64ELi4ELi4ELi64ELc78ELc78EKDF16_S1_DF16_EEvlllT_PT11_llS4_llS2_PT12_llPT13_lli.has_dyn_sized_stack, 0
	.set _ZN12_GLOBAL__N_127rocblas_gemm_batched_kernelIDF16_Li16ELi16ELi64ELi64ELi4ELi64ELi4ELi4ELi64ELc78ELc78EKDF16_S1_DF16_EEvlllT_PT11_llS4_llS2_PT12_llPT13_lli.has_recursion, 0
	.set _ZN12_GLOBAL__N_127rocblas_gemm_batched_kernelIDF16_Li16ELi16ELi64ELi64ELi4ELi64ELi4ELi4ELi64ELc78ELc78EKDF16_S1_DF16_EEvlllT_PT11_llS4_llS2_PT12_llPT13_lli.has_indirect_call, 0
	.section	.AMDGPU.csdata,"",@progbits
; Kernel info:
; codeLenInByte = 2348
; TotalNumSgprs: 38
; NumVgprs: 50
; ScratchSize: 0
; MemoryBound: 0
; FloatMode: 240
; IeeeMode: 1
; LDSByteSize: 1024 bytes/workgroup (compile time only)
; SGPRBlocks: 0
; VGPRBlocks: 3
; NumSGPRsForWavesPerEU: 38
; NumVGPRsForWavesPerEU: 50
; NamedBarCnt: 0
; Occupancy: 16
; WaveLimiterHint : 0
; COMPUTE_PGM_RSRC2:SCRATCH_EN: 0
; COMPUTE_PGM_RSRC2:USER_SGPR: 2
; COMPUTE_PGM_RSRC2:TRAP_HANDLER: 0
; COMPUTE_PGM_RSRC2:TGID_X_EN: 1
; COMPUTE_PGM_RSRC2:TGID_Y_EN: 1
; COMPUTE_PGM_RSRC2:TGID_Z_EN: 1
; COMPUTE_PGM_RSRC2:TIDIG_COMP_CNT: 1
	.section	.text._ZN12_GLOBAL__N_127rocblas_gemm_batched_kernelIDF16_Li16ELi16ELi64ELi64ELi4ELi64ELi4ELi4ELi64ELc84ELc78EKDF16_S1_DF16_EEvlllT_PT11_llS4_llS2_PT12_llPT13_lli,"axG",@progbits,_ZN12_GLOBAL__N_127rocblas_gemm_batched_kernelIDF16_Li16ELi16ELi64ELi64ELi4ELi64ELi4ELi4ELi64ELc84ELc78EKDF16_S1_DF16_EEvlllT_PT11_llS4_llS2_PT12_llPT13_lli,comdat
	.globl	_ZN12_GLOBAL__N_127rocblas_gemm_batched_kernelIDF16_Li16ELi16ELi64ELi64ELi4ELi64ELi4ELi4ELi64ELc84ELc78EKDF16_S1_DF16_EEvlllT_PT11_llS4_llS2_PT12_llPT13_lli ; -- Begin function _ZN12_GLOBAL__N_127rocblas_gemm_batched_kernelIDF16_Li16ELi16ELi64ELi64ELi4ELi64ELi4ELi4ELi64ELc84ELc78EKDF16_S1_DF16_EEvlllT_PT11_llS4_llS2_PT12_llPT13_lli
	.p2align	8
	.type	_ZN12_GLOBAL__N_127rocblas_gemm_batched_kernelIDF16_Li16ELi16ELi64ELi64ELi4ELi64ELi4ELi4ELi64ELc84ELc78EKDF16_S1_DF16_EEvlllT_PT11_llS4_llS2_PT12_llPT13_lli,@function
_ZN12_GLOBAL__N_127rocblas_gemm_batched_kernelIDF16_Li16ELi16ELi64ELi64ELi4ELi64ELi4ELi4ELi64ELc84ELc78EKDF16_S1_DF16_EEvlllT_PT11_llS4_llS2_PT12_llPT13_lli: ; @_ZN12_GLOBAL__N_127rocblas_gemm_batched_kernelIDF16_Li16ELi16ELi64ELi64ELi4ELi64ELi4ELi4ELi64ELc84ELc78EKDF16_S1_DF16_EEvlllT_PT11_llS4_llS2_PT12_llPT13_lli
; %bb.0:
	s_load_b32 s31, s[0:1], 0x88
	s_bfe_u32 s2, ttmp6, 0x40014
	s_lshr_b32 s3, ttmp7, 16
	s_add_co_i32 s2, s2, 1
	s_bfe_u32 s4, ttmp6, 0x40008
	s_mul_i32 s2, s3, s2
	s_getreg_b32 s28, hwreg(HW_REG_IB_STS2, 6, 4)
	s_add_co_i32 s4, s4, s2
	s_cmp_eq_u32 s28, 0
	s_cselect_b32 s2, s3, s4
	s_mov_b32 s3, 0
	s_wait_kmcnt 0x0
	s_cmp_ge_i32 s2, s31
	s_cbranch_scc1 .LBB336_11
; %bb.1:
	v_bfe_u32 v2, v0, 10, 10
	v_and_b32_e32 v4, 0x3ff, v0
	s_clause 0x1
	s_load_b256 s[12:19], s[0:1], 0x20
	s_load_b128 s[24:27], s[0:1], 0x40
	s_bfe_u32 s29, ttmp6, 0x4000c
	s_bfe_u32 s33, ttmp6, 0x40010
	s_add_co_i32 s29, s29, 1
	s_and_b32 s34, ttmp7, 0xffff
	s_add_co_i32 s33, s33, 1
	v_lshl_add_u32 v5, v2, 4, v4
	v_mov_b32_e32 v3, 0
	s_and_b32 s30, ttmp6, 15
	s_mul_i32 s29, ttmp9, s29
	s_mul_i32 s33, s34, s33
	s_bfe_u32 s35, ttmp6, 0x40004
	s_add_co_i32 s30, s30, s29
	s_add_co_i32 s35, s35, s33
	s_clause 0x1
	s_load_b128 s[20:23], s[0:1], 0x78
	s_load_b256 s[4:11], s[0:1], 0x58
	s_cmp_eq_u32 s28, 0
	v_dual_lshrrev_b32 v6, 2, v5 :: v_dual_bitop2_b32 v14, 63, v5 bitop3:0x40
	v_mov_b32_e32 v7, v3
	s_cselect_b32 s28, ttmp9, s30
	s_cselect_b32 s30, s34, s35
	s_ashr_i32 s29, s28, 31
	s_lshl_b32 s34, s30, 6
	s_mov_b32 s35, s3
	s_lshl_b64 s[36:37], s[28:29], 6
	v_add_nc_u64_e32 v[8:9], s[34:35], v[6:7]
	v_dual_mov_b32 v13, s37 :: v_dual_bitop2_b32 v12, s36, v14 bitop3:0x54
	v_add_nc_u64_e32 v[10:11], s[34:35], v[2:3]
	s_clause 0x1
	s_load_b32 s33, s[0:1], 0x50
	s_load_b96 s[28:30], s[0:1], 0x10
	v_dual_lshlrev_b32 v0, 1, v0 :: v_dual_lshrrev_b32 v7, 6, v5
	s_wait_kmcnt 0x0
	v_mul_u64_e32 v[8:9], s[24:25], v[8:9]
	v_mul_u64_e32 v[12:13], s[14:15], v[12:13]
	;; [unrolled: 1-line block ×3, first 2 shown]
	v_and_b32_e32 v20, 6, v0
	v_mul_u64_e32 v[0:1], s[20:21], v[10:11]
	v_dual_mov_b32 v5, v3 :: v_dual_lshlrev_b32 v10, 1, v14
	v_lshlrev_b32_e32 v16, 1, v4
	s_delay_alu instid0(VALU_DEP_4)
	v_lshl_or_b32 v6, v6, 3, v20
	v_lshl_add_u32 v17, v2, 3, 0x200
	v_dual_mov_b32 v21, v3 :: v_dual_lshlrev_b32 v2, 1, v7
	v_lshl_or_b32 v14, v7, 7, v10
	v_add_nc_u64_e32 v[10:11], s[36:37], v[4:5]
	v_add_nc_u32_e32 v15, 0x200, v6
	s_cmp_eq_f16 s33, 0
	v_cmp_gt_i64_e64 s0, s[28:29], 0
	s_cselect_b32 s1, -1, 0
	s_lshl_b64 s[14:15], s[20:21], 4
	s_lshl_b64 s[20:21], s[6:7], 4
	;; [unrolled: 1-line block ×3, first 2 shown]
	v_lshl_add_u64 v[4:5], v[8:9], 1, v[20:21]
	v_lshl_add_u64 v[6:7], v[12:13], 1, v[2:3]
	v_cndmask_b32_e64 v12, 0, 1, s0
	v_lshlrev_b64_e32 v[8:9], 1, v[10:11]
	v_lshl_add_u64 v[2:3], v[18:19], 1, s[4:5]
	v_add_nc_u64_e32 v[4:5], s[18:19], v[4:5]
	v_add_nc_u64_e32 v[6:7], s[12:13], v[6:7]
	v_cmp_ne_u32_e64 s0, 1, v12
	s_lshl_b64 s[4:5], s[26:27], 1
	s_lshl_b64 s[12:13], s[14:15], 1
	s_lshl_b64 s[14:15], s[20:21], 1
	s_branch .LBB336_3
.LBB336_2:                              ;   in Loop: Header=BB336_3 Depth=1
	s_add_co_i32 s2, s2, 0x10000
	s_delay_alu instid0(SALU_CYCLE_1)
	s_cmp_lt_i32 s2, s31
	s_cbranch_scc0 .LBB336_11
.LBB336_3:                              ; =>This Loop Header: Depth=1
                                        ;     Child Loop BB336_5 Depth 2
	s_and_b32 vcc_lo, exec_lo, s0
	s_cbranch_vccnz .LBB336_6
; %bb.4:                                ;   in Loop: Header=BB336_3 Depth=1
	s_wait_xcnt 0x0
	v_mad_nc_u64_u32 v[10:11], s4, s2, v[4:5]
	v_mad_nc_u64_u32 v[12:13], s6, s2, v[6:7]
	v_dual_mov_b32 v18, 0 :: v_dual_mov_b32 v19, 0
	v_dual_mov_b32 v20, 0 :: v_dual_mov_b32 v21, 0
	;; [unrolled: 1-line block ×4, first 2 shown]
	s_mov_b64 s[16:17], 0
	v_mad_u32 v11, s5, s2, v11
	v_mad_u32 v13, s7, s2, v13
.LBB336_5:                              ;   Parent Loop BB336_3 Depth=1
                                        ; =>  This Inner Loop Header: Depth=2
	global_load_u16 v26, v[12:13], off
	global_load_u16 v27, v[10:11], off
	s_add_nc_u64 s[16:17], s[16:17], 4
	s_wait_xcnt 0x0
	v_add_nc_u64_e32 v[10:11], 8, v[10:11]
	v_cmp_lt_i64_e64 s18, s[16:17], s[28:29]
	v_add_nc_u64_e32 v[12:13], 8, v[12:13]
	s_wait_loadcnt 0x1
	ds_store_b16 v14, v26
	s_wait_loadcnt 0x0
	ds_store_b16 v15, v27
	s_wait_dscnt 0x0
	s_barrier_signal -1
	s_barrier_wait -1
	ds_load_u16 v34, v16
	ds_load_u16 v35, v16 offset:32
	ds_load_u16 v36, v16 offset:64
	;; [unrolled: 1-line block ×15, first 2 shown]
	ds_load_2addr_b64 v[26:29], v17 offset1:16
	ds_load_2addr_b64 v[30:33], v17 offset0:32 offset1:48
	s_and_b32 vcc_lo, exec_lo, s18
	s_wait_dscnt 0x0
	s_barrier_signal -1
	v_perm_b32 v34, v34, v35, 0x5040100
	s_barrier_wait -1
	v_perm_b32 v36, v36, v37, 0x5040100
	v_perm_b32 v35, v38, v39, 0x5040100
	;; [unrolled: 1-line block ×7, first 2 shown]
	v_pk_fma_f16 v25, v34, v26, v25 op_sel_hi:[1,0,1]
	v_pk_fma_f16 v24, v36, v26, v24 op_sel_hi:[1,0,1]
	;; [unrolled: 1-line block ×8, first 2 shown]
	v_pk_fma_f16 v25, v35, v26, v25 op_sel:[0,1,0]
	v_pk_fma_f16 v24, v37, v26, v24 op_sel:[0,1,0]
	;; [unrolled: 1-line block ×8, first 2 shown]
	v_pk_fma_f16 v25, v38, v27, v25 op_sel_hi:[1,0,1]
	v_pk_fma_f16 v24, v40, v27, v24 op_sel_hi:[1,0,1]
	;; [unrolled: 1-line block ×8, first 2 shown]
	v_pk_fma_f16 v25, v39, v27, v25 op_sel:[0,1,0]
	v_pk_fma_f16 v24, v41, v27, v24 op_sel:[0,1,0]
	;; [unrolled: 1-line block ×8, first 2 shown]
	s_cbranch_vccnz .LBB336_5
	s_branch .LBB336_7
.LBB336_6:                              ;   in Loop: Header=BB336_3 Depth=1
	v_dual_mov_b32 v25, 0 :: v_dual_mov_b32 v24, 0
	s_wait_xcnt 0x1
	v_dual_mov_b32 v23, 0 :: v_dual_mov_b32 v22, 0
	v_dual_mov_b32 v21, 0 :: v_dual_mov_b32 v20, 0
	;; [unrolled: 1-line block ×3, first 2 shown]
.LBB336_7:                              ;   in Loop: Header=BB336_3 Depth=1
	s_mul_u64 s[16:17], s[22:23], s[2:3]
	v_dual_lshrrev_b32 v33, 16, v25 :: v_dual_lshrrev_b32 v32, 16, v24
	s_lshl_b64 s[16:17], s[16:17], 1
	v_dual_lshrrev_b32 v31, 16, v23 :: v_dual_lshrrev_b32 v30, 16, v22
	s_add_nc_u64 s[16:17], s[10:11], s[16:17]
	v_dual_lshrrev_b32 v29, 16, v21 :: v_dual_lshrrev_b32 v28, 16, v20
	s_wait_xcnt 0x0
	v_lshl_add_u64 v[10:11], v[0:1], 1, s[16:17]
	v_dual_lshrrev_b32 v27, 16, v19 :: v_dual_lshrrev_b32 v26, 16, v18
	s_and_not1_b32 vcc_lo, exec_lo, s1
	s_delay_alu instid0(VALU_DEP_2)
	v_add_nc_u64_e32 v[12:13], v[10:11], v[8:9]
	v_add_nc_u64_e32 v[10:11], s[12:13], v[10:11]
	s_cbranch_vccnz .LBB336_9
; %bb.8:                                ;   in Loop: Header=BB336_3 Depth=1
	v_mul_f16_e32 v36, s30, v33
	v_mul_f16_e32 v37, s30, v25
	s_delay_alu instid0(VALU_DEP_3)
	v_add_nc_u64_e32 v[34:35], s[12:13], v[10:11]
	v_mul_f16_e32 v38, s30, v32
	v_mul_f16_e32 v39, s30, v24
	s_clause 0x3
	global_store_b16 v[12:13], v36, off
	global_store_b16 v[12:13], v37, off offset:32
	global_store_b16 v[12:13], v38, off offset:64
	;; [unrolled: 1-line block ×3, first 2 shown]
	s_wait_xcnt 0x2
	v_add_nc_u64_e32 v[36:37], v[10:11], v[8:9]
	v_mul_f16_e32 v40, s30, v31
	v_mul_f16_e32 v41, s30, v23
	s_wait_xcnt 0x0
	v_add_nc_u64_e32 v[38:39], v[34:35], v[8:9]
	v_add_nc_u64_e32 v[34:35], s[12:13], v[34:35]
	v_mul_f16_e32 v42, s30, v30
	v_mul_f16_e32 v43, s30, v22
	s_clause 0x3
	global_store_b16 v[36:37], v40, off
	global_store_b16 v[36:37], v41, off offset:32
	global_store_b16 v[36:37], v42, off offset:64
	;; [unrolled: 1-line block ×3, first 2 shown]
	s_wait_xcnt 0x0
	v_mul_f16_e32 v36, s30, v29
	v_mul_f16_e32 v37, s30, v21
	;; [unrolled: 1-line block ×4, first 2 shown]
	v_add_nc_u64_e32 v[34:35], v[34:35], v[8:9]
	s_clause 0x3
	global_store_b16 v[38:39], v36, off
	global_store_b16 v[38:39], v37, off offset:32
	global_store_b16 v[38:39], v40, off offset:64
	;; [unrolled: 1-line block ×3, first 2 shown]
	s_wait_xcnt 0x3
	v_mul_f16_e32 v36, s30, v27
	s_wait_xcnt 0x2
	v_mul_f16_e32 v37, s30, v19
	;; [unrolled: 2-line block ×3, first 2 shown]
	v_mul_f16_e32 v39, s30, v18
	s_clause 0x3
	global_store_b16 v[34:35], v36, off
	global_store_b16 v[34:35], v37, off offset:32
	global_store_b16 v[34:35], v38, off offset:64
	;; [unrolled: 1-line block ×3, first 2 shown]
	s_cbranch_execnz .LBB336_2
	s_branch .LBB336_10
.LBB336_9:                              ;   in Loop: Header=BB336_3 Depth=1
.LBB336_10:                             ;   in Loop: Header=BB336_3 Depth=1
	s_mul_u64 s[16:17], s[8:9], s[2:3]
	s_wait_xcnt 0x0
	v_lshl_add_u64 v[34:35], s[16:17], 1, v[2:3]
	s_delay_alu instid0(VALU_DEP_1) | instskip(SKIP_3) | instid1(VALU_DEP_1)
	v_add_nc_u64_e32 v[36:37], v[34:35], v[8:9]
	global_load_u16 v38, v[36:37], off
	s_wait_loadcnt 0x0
	v_mul_f16_e32 v38, s33, v38
	v_fmac_f16_e32 v38, s30, v33
	global_store_b16 v[12:13], v38, off
	global_load_u16 v33, v[36:37], off offset:32
	s_wait_loadcnt 0x0
	v_mul_f16_e32 v33, s33, v33
	s_delay_alu instid0(VALU_DEP_1) | instskip(SKIP_4) | instid1(VALU_DEP_1)
	v_fmac_f16_e32 v33, s30, v25
	global_store_b16 v[12:13], v33, off offset:32
	global_load_u16 v25, v[36:37], off offset:64
	s_wait_loadcnt 0x0
	v_mul_f16_e32 v25, s33, v25
	v_fmac_f16_e32 v25, s30, v32
	s_wait_xcnt 0x1
	v_add_nc_u64_e32 v[32:33], s[14:15], v[34:35]
	global_store_b16 v[12:13], v25, off offset:64
	global_load_u16 v25, v[36:37], off offset:96
	v_add_nc_u64_e32 v[34:35], v[32:33], v[8:9]
	s_wait_loadcnt 0x0
	v_mul_f16_e32 v25, s33, v25
	s_delay_alu instid0(VALU_DEP_1)
	v_fmac_f16_e32 v25, s30, v24
	global_store_b16 v[12:13], v25, off offset:96
	global_load_u16 v12, v[34:35], off
	s_wait_loadcnt 0x0
	v_mul_f16_e32 v24, s33, v12
	v_add_nc_u64_e32 v[12:13], v[10:11], v[8:9]
	v_add_nc_u64_e32 v[10:11], s[12:13], v[10:11]
	s_delay_alu instid0(VALU_DEP_3) | instskip(SKIP_4) | instid1(VALU_DEP_1)
	v_fmac_f16_e32 v24, s30, v31
	global_store_b16 v[12:13], v24, off
	global_load_u16 v24, v[34:35], off offset:32
	s_wait_loadcnt 0x0
	v_mul_f16_e32 v24, s33, v24
	v_fmac_f16_e32 v24, s30, v23
	global_store_b16 v[12:13], v24, off offset:32
	global_load_u16 v23, v[34:35], off offset:64
	s_wait_xcnt 0x1
	v_add_nc_u64_e32 v[24:25], s[14:15], v[32:33]
	s_wait_loadcnt 0x0
	v_mul_f16_e32 v23, s33, v23
	s_delay_alu instid0(VALU_DEP_1) | instskip(NEXT) | instid1(VALU_DEP_3)
	v_fmac_f16_e32 v23, s30, v30
	v_add_nc_u64_e32 v[30:31], v[24:25], v[8:9]
	global_store_b16 v[12:13], v23, off offset:64
	global_load_u16 v23, v[34:35], off offset:96
	s_wait_loadcnt 0x0
	v_mul_f16_e32 v23, s33, v23
	s_delay_alu instid0(VALU_DEP_1)
	v_fmac_f16_e32 v23, s30, v22
	global_store_b16 v[12:13], v23, off offset:96
	global_load_u16 v12, v[30:31], off
	s_wait_loadcnt 0x0
	v_mul_f16_e32 v22, s33, v12
	v_add_nc_u64_e32 v[12:13], v[10:11], v[8:9]
	v_add_nc_u64_e32 v[10:11], s[12:13], v[10:11]
	s_delay_alu instid0(VALU_DEP_3) | instskip(NEXT) | instid1(VALU_DEP_2)
	v_fmac_f16_e32 v22, s30, v29
	v_add_nc_u64_e32 v[10:11], v[10:11], v[8:9]
	global_store_b16 v[12:13], v22, off
	global_load_u16 v22, v[30:31], off offset:32
	s_wait_loadcnt 0x0
	v_mul_f16_e32 v22, s33, v22
	s_delay_alu instid0(VALU_DEP_1) | instskip(SKIP_4) | instid1(VALU_DEP_1)
	v_fmac_f16_e32 v22, s30, v21
	global_store_b16 v[12:13], v22, off offset:32
	global_load_u16 v21, v[30:31], off offset:64
	s_wait_xcnt 0x1
	v_add_nc_u64_e32 v[22:23], s[14:15], v[24:25]
	v_add_nc_u64_e32 v[22:23], v[22:23], v[8:9]
	s_wait_loadcnt 0x0
	v_mul_f16_e32 v21, s33, v21
	s_delay_alu instid0(VALU_DEP_1) | instskip(SKIP_4) | instid1(VALU_DEP_1)
	v_fmac_f16_e32 v21, s30, v28
	global_store_b16 v[12:13], v21, off offset:64
	global_load_u16 v21, v[30:31], off offset:96
	s_wait_loadcnt 0x0
	v_mul_f16_e32 v21, s33, v21
	v_fmac_f16_e32 v21, s30, v20
	global_store_b16 v[12:13], v21, off offset:96
	global_load_u16 v12, v[22:23], off
	s_wait_loadcnt 0x0
	v_mul_f16_e32 v12, s33, v12
	s_delay_alu instid0(VALU_DEP_1) | instskip(SKIP_4) | instid1(VALU_DEP_1)
	v_fmac_f16_e32 v12, s30, v27
	global_store_b16 v[10:11], v12, off
	global_load_u16 v12, v[22:23], off offset:32
	s_wait_loadcnt 0x0
	v_mul_f16_e32 v12, s33, v12
	v_fmac_f16_e32 v12, s30, v19
	global_store_b16 v[10:11], v12, off offset:32
	global_load_u16 v12, v[22:23], off offset:64
	s_wait_loadcnt 0x0
	v_mul_f16_e32 v12, s33, v12
	s_delay_alu instid0(VALU_DEP_1) | instskip(SKIP_4) | instid1(VALU_DEP_1)
	v_fmac_f16_e32 v12, s30, v26
	global_store_b16 v[10:11], v12, off offset:64
	global_load_u16 v12, v[22:23], off offset:96
	s_wait_loadcnt 0x0
	v_mul_f16_e32 v12, s33, v12
	v_fmac_f16_e32 v12, s30, v18
	global_store_b16 v[10:11], v12, off offset:96
	s_branch .LBB336_2
.LBB336_11:
	s_endpgm
	.section	.rodata,"a",@progbits
	.p2align	6, 0x0
	.amdhsa_kernel _ZN12_GLOBAL__N_127rocblas_gemm_batched_kernelIDF16_Li16ELi16ELi64ELi64ELi4ELi64ELi4ELi4ELi64ELc84ELc78EKDF16_S1_DF16_EEvlllT_PT11_llS4_llS2_PT12_llPT13_lli
		.amdhsa_group_segment_fixed_size 1024
		.amdhsa_private_segment_fixed_size 0
		.amdhsa_kernarg_size 140
		.amdhsa_user_sgpr_count 2
		.amdhsa_user_sgpr_dispatch_ptr 0
		.amdhsa_user_sgpr_queue_ptr 0
		.amdhsa_user_sgpr_kernarg_segment_ptr 1
		.amdhsa_user_sgpr_dispatch_id 0
		.amdhsa_user_sgpr_kernarg_preload_length 0
		.amdhsa_user_sgpr_kernarg_preload_offset 0
		.amdhsa_user_sgpr_private_segment_size 0
		.amdhsa_wavefront_size32 1
		.amdhsa_uses_dynamic_stack 0
		.amdhsa_enable_private_segment 0
		.amdhsa_system_sgpr_workgroup_id_x 1
		.amdhsa_system_sgpr_workgroup_id_y 1
		.amdhsa_system_sgpr_workgroup_id_z 1
		.amdhsa_system_sgpr_workgroup_info 0
		.amdhsa_system_vgpr_workitem_id 1
		.amdhsa_next_free_vgpr 50
		.amdhsa_next_free_sgpr 38
		.amdhsa_named_barrier_count 0
		.amdhsa_reserve_vcc 1
		.amdhsa_float_round_mode_32 0
		.amdhsa_float_round_mode_16_64 0
		.amdhsa_float_denorm_mode_32 3
		.amdhsa_float_denorm_mode_16_64 3
		.amdhsa_fp16_overflow 0
		.amdhsa_memory_ordered 1
		.amdhsa_forward_progress 1
		.amdhsa_inst_pref_size 19
		.amdhsa_round_robin_scheduling 0
		.amdhsa_exception_fp_ieee_invalid_op 0
		.amdhsa_exception_fp_denorm_src 0
		.amdhsa_exception_fp_ieee_div_zero 0
		.amdhsa_exception_fp_ieee_overflow 0
		.amdhsa_exception_fp_ieee_underflow 0
		.amdhsa_exception_fp_ieee_inexact 0
		.amdhsa_exception_int_div_zero 0
	.end_amdhsa_kernel
	.section	.text._ZN12_GLOBAL__N_127rocblas_gemm_batched_kernelIDF16_Li16ELi16ELi64ELi64ELi4ELi64ELi4ELi4ELi64ELc84ELc78EKDF16_S1_DF16_EEvlllT_PT11_llS4_llS2_PT12_llPT13_lli,"axG",@progbits,_ZN12_GLOBAL__N_127rocblas_gemm_batched_kernelIDF16_Li16ELi16ELi64ELi64ELi4ELi64ELi4ELi4ELi64ELc84ELc78EKDF16_S1_DF16_EEvlllT_PT11_llS4_llS2_PT12_llPT13_lli,comdat
.Lfunc_end336:
	.size	_ZN12_GLOBAL__N_127rocblas_gemm_batched_kernelIDF16_Li16ELi16ELi64ELi64ELi4ELi64ELi4ELi4ELi64ELc84ELc78EKDF16_S1_DF16_EEvlllT_PT11_llS4_llS2_PT12_llPT13_lli, .Lfunc_end336-_ZN12_GLOBAL__N_127rocblas_gemm_batched_kernelIDF16_Li16ELi16ELi64ELi64ELi4ELi64ELi4ELi4ELi64ELc84ELc78EKDF16_S1_DF16_EEvlllT_PT11_llS4_llS2_PT12_llPT13_lli
                                        ; -- End function
	.set _ZN12_GLOBAL__N_127rocblas_gemm_batched_kernelIDF16_Li16ELi16ELi64ELi64ELi4ELi64ELi4ELi4ELi64ELc84ELc78EKDF16_S1_DF16_EEvlllT_PT11_llS4_llS2_PT12_llPT13_lli.num_vgpr, 50
	.set _ZN12_GLOBAL__N_127rocblas_gemm_batched_kernelIDF16_Li16ELi16ELi64ELi64ELi4ELi64ELi4ELi4ELi64ELc84ELc78EKDF16_S1_DF16_EEvlllT_PT11_llS4_llS2_PT12_llPT13_lli.num_agpr, 0
	.set _ZN12_GLOBAL__N_127rocblas_gemm_batched_kernelIDF16_Li16ELi16ELi64ELi64ELi4ELi64ELi4ELi4ELi64ELc84ELc78EKDF16_S1_DF16_EEvlllT_PT11_llS4_llS2_PT12_llPT13_lli.numbered_sgpr, 38
	.set _ZN12_GLOBAL__N_127rocblas_gemm_batched_kernelIDF16_Li16ELi16ELi64ELi64ELi4ELi64ELi4ELi4ELi64ELc84ELc78EKDF16_S1_DF16_EEvlllT_PT11_llS4_llS2_PT12_llPT13_lli.num_named_barrier, 0
	.set _ZN12_GLOBAL__N_127rocblas_gemm_batched_kernelIDF16_Li16ELi16ELi64ELi64ELi4ELi64ELi4ELi4ELi64ELc84ELc78EKDF16_S1_DF16_EEvlllT_PT11_llS4_llS2_PT12_llPT13_lli.private_seg_size, 0
	.set _ZN12_GLOBAL__N_127rocblas_gemm_batched_kernelIDF16_Li16ELi16ELi64ELi64ELi4ELi64ELi4ELi4ELi64ELc84ELc78EKDF16_S1_DF16_EEvlllT_PT11_llS4_llS2_PT12_llPT13_lli.uses_vcc, 1
	.set _ZN12_GLOBAL__N_127rocblas_gemm_batched_kernelIDF16_Li16ELi16ELi64ELi64ELi4ELi64ELi4ELi4ELi64ELc84ELc78EKDF16_S1_DF16_EEvlllT_PT11_llS4_llS2_PT12_llPT13_lli.uses_flat_scratch, 0
	.set _ZN12_GLOBAL__N_127rocblas_gemm_batched_kernelIDF16_Li16ELi16ELi64ELi64ELi4ELi64ELi4ELi4ELi64ELc84ELc78EKDF16_S1_DF16_EEvlllT_PT11_llS4_llS2_PT12_llPT13_lli.has_dyn_sized_stack, 0
	.set _ZN12_GLOBAL__N_127rocblas_gemm_batched_kernelIDF16_Li16ELi16ELi64ELi64ELi4ELi64ELi4ELi4ELi64ELc84ELc78EKDF16_S1_DF16_EEvlllT_PT11_llS4_llS2_PT12_llPT13_lli.has_recursion, 0
	.set _ZN12_GLOBAL__N_127rocblas_gemm_batched_kernelIDF16_Li16ELi16ELi64ELi64ELi4ELi64ELi4ELi4ELi64ELc84ELc78EKDF16_S1_DF16_EEvlllT_PT11_llS4_llS2_PT12_llPT13_lli.has_indirect_call, 0
	.section	.AMDGPU.csdata,"",@progbits
; Kernel info:
; codeLenInByte = 2340
; TotalNumSgprs: 40
; NumVgprs: 50
; ScratchSize: 0
; MemoryBound: 0
; FloatMode: 240
; IeeeMode: 1
; LDSByteSize: 1024 bytes/workgroup (compile time only)
; SGPRBlocks: 0
; VGPRBlocks: 3
; NumSGPRsForWavesPerEU: 40
; NumVGPRsForWavesPerEU: 50
; NamedBarCnt: 0
; Occupancy: 16
; WaveLimiterHint : 0
; COMPUTE_PGM_RSRC2:SCRATCH_EN: 0
; COMPUTE_PGM_RSRC2:USER_SGPR: 2
; COMPUTE_PGM_RSRC2:TRAP_HANDLER: 0
; COMPUTE_PGM_RSRC2:TGID_X_EN: 1
; COMPUTE_PGM_RSRC2:TGID_Y_EN: 1
; COMPUTE_PGM_RSRC2:TGID_Z_EN: 1
; COMPUTE_PGM_RSRC2:TIDIG_COMP_CNT: 1
	.section	.text._ZN12_GLOBAL__N_127rocblas_gemm_batched_kernelIDF16_Li16ELi16ELi64ELi64ELi4ELi64ELi4ELi4ELi64ELc78ELc84EKDF16_S1_DF16_EEvlllT_PT11_llS4_llS2_PT12_llPT13_lli,"axG",@progbits,_ZN12_GLOBAL__N_127rocblas_gemm_batched_kernelIDF16_Li16ELi16ELi64ELi64ELi4ELi64ELi4ELi4ELi64ELc78ELc84EKDF16_S1_DF16_EEvlllT_PT11_llS4_llS2_PT12_llPT13_lli,comdat
	.globl	_ZN12_GLOBAL__N_127rocblas_gemm_batched_kernelIDF16_Li16ELi16ELi64ELi64ELi4ELi64ELi4ELi4ELi64ELc78ELc84EKDF16_S1_DF16_EEvlllT_PT11_llS4_llS2_PT12_llPT13_lli ; -- Begin function _ZN12_GLOBAL__N_127rocblas_gemm_batched_kernelIDF16_Li16ELi16ELi64ELi64ELi4ELi64ELi4ELi4ELi64ELc78ELc84EKDF16_S1_DF16_EEvlllT_PT11_llS4_llS2_PT12_llPT13_lli
	.p2align	8
	.type	_ZN12_GLOBAL__N_127rocblas_gemm_batched_kernelIDF16_Li16ELi16ELi64ELi64ELi4ELi64ELi4ELi4ELi64ELc78ELc84EKDF16_S1_DF16_EEvlllT_PT11_llS4_llS2_PT12_llPT13_lli,@function
_ZN12_GLOBAL__N_127rocblas_gemm_batched_kernelIDF16_Li16ELi16ELi64ELi64ELi4ELi64ELi4ELi4ELi64ELc78ELc84EKDF16_S1_DF16_EEvlllT_PT11_llS4_llS2_PT12_llPT13_lli: ; @_ZN12_GLOBAL__N_127rocblas_gemm_batched_kernelIDF16_Li16ELi16ELi64ELi64ELi4ELi64ELi4ELi4ELi64ELc78ELc84EKDF16_S1_DF16_EEvlllT_PT11_llS4_llS2_PT12_llPT13_lli
; %bb.0:
	s_load_b32 s31, s[0:1], 0x88
	s_bfe_u32 s2, ttmp6, 0x40014
	s_lshr_b32 s3, ttmp7, 16
	s_add_co_i32 s2, s2, 1
	s_bfe_u32 s4, ttmp6, 0x40008
	s_mul_i32 s2, s3, s2
	s_getreg_b32 s20, hwreg(HW_REG_IB_STS2, 6, 4)
	s_add_co_i32 s4, s4, s2
	s_cmp_eq_u32 s20, 0
	s_cselect_b32 s2, s3, s4
	s_mov_b32 s3, 0
	s_wait_kmcnt 0x0
	s_cmp_ge_i32 s2, s31
	s_cbranch_scc1 .LBB337_11
; %bb.1:
	s_bfe_u32 s21, ttmp6, 0x4000c
	s_bfe_u32 s23, ttmp6, 0x40010
	s_clause 0x2
	s_load_b256 s[12:19], s[0:1], 0x20
	s_load_b128 s[24:27], s[0:1], 0x40
	s_load_b256 s[4:11], s[0:1], 0x58
	s_add_co_i32 s21, s21, 1
	s_and_b32 s28, ttmp7, 0xffff
	s_add_co_i32 s23, s23, 1
	s_and_b32 s22, ttmp6, 15
	s_mul_i32 s21, ttmp9, s21
	s_mul_i32 s23, s28, s23
	s_bfe_u32 s29, ttmp6, 0x40004
	s_add_co_i32 s22, s22, s21
	s_add_co_i32 s29, s29, s23
	s_cmp_eq_u32 s20, 0
	v_bfe_u32 v2, v0, 10, 10
	v_dual_mov_b32 v3, 0 :: v_dual_bitop2_b32 v5, 3, v0 bitop3:0x40
	s_cselect_b32 s20, s28, s29
	s_cselect_b32 s28, ttmp9, s22
	s_lshl_b32 s34, s20, 6
	s_load_b128 s[20:23], s[0:1], 0x78
	s_mov_b32 s35, s3
	v_and_b32_e32 v4, 0x3ff, v0
	v_add_nc_u64_e32 v[6:7], s[34:35], v[2:3]
	v_mov_b32_e32 v9, v3
	s_ashr_i32 s29, s28, 31
	s_load_b32 s33, s[0:1], 0x50
	v_lshl_add_u32 v1, v2, 4, v4
	s_lshl_b64 s[36:37], s[28:29], 6
	s_load_b96 s[28:30], s[0:1], 0x10
	s_wait_kmcnt 0x0
	v_mul_u64_e32 v[10:11], s[6:7], v[6:7]
	v_dual_mov_b32 v21, v3 :: v_dual_lshrrev_b32 v8, 2, v1
	v_dual_lshrrev_b32 v14, 6, v1 :: v_dual_bitop2_b32 v20, 63, v1 bitop3:0x40
	v_lshl_add_u32 v17, v2, 3, 0x200
	v_lshlrev_b32_e32 v16, 1, v4
	s_delay_alu instid0(VALU_DEP_4) | instskip(NEXT) | instid1(VALU_DEP_4)
	v_mad_nc_u64_u32 v[12:13], s24, v5, v[8:9]
	v_mad_nc_u64_u32 v[18:19], s14, v14, s[36:37]
	v_lshlrev_b32_e32 v9, 1, v5
	v_mul_u64_e32 v[0:1], s[20:21], v[6:7]
	v_lshlrev_b32_e32 v6, 1, v20
	s_delay_alu instid0(VALU_DEP_3)
	v_lshl_or_b32 v7, v8, 3, v9
	s_cmp_eq_f16 s33, 0
	v_mad_u32 v13, s25, v5, v13
	v_mad_u32 v19, s15, v14, v19
	v_mov_b32_e32 v5, v3
	v_cmp_gt_i64_e64 s0, s[28:29], 0
	v_lshl_or_b32 v14, v14, 7, v6
	v_add_nc_u32_e32 v15, 0x200, v7
	s_cselect_b32 s1, -1, 0
	v_add_nc_u64_e32 v[8:9], s[36:37], v[4:5]
	s_lshl_b64 s[20:21], s[20:21], 4
	s_lshl_b64 s[14:15], s[14:15], 3
	v_add_nc_u64_e32 v[6:7], s[34:35], v[12:13]
	v_add_nc_u64_e32 v[12:13], v[18:19], v[20:21]
	s_lshl_b64 s[34:35], s[6:7], 4
	v_lshl_add_u64 v[2:3], v[10:11], 1, s[4:5]
	v_cndmask_b32_e64 v10, 0, 1, s0
	v_lshlrev_b64_e32 v[8:9], 1, v[8:9]
	s_lshl_b64 s[4:5], s[26:27], 1
	v_lshl_add_u64 v[4:5], v[6:7], 1, s[18:19]
	v_lshl_add_u64 v[6:7], v[12:13], 1, s[12:13]
	v_cmp_ne_u32_e64 s0, 1, v10
	s_lshl_b64 s[6:7], s[24:25], 3
	s_lshl_b64 s[12:13], s[16:17], 1
	;; [unrolled: 1-line block ×4, first 2 shown]
	s_branch .LBB337_3
.LBB337_2:                              ;   in Loop: Header=BB337_3 Depth=1
	s_add_co_i32 s2, s2, 0x10000
	s_delay_alu instid0(SALU_CYCLE_1)
	s_cmp_lt_i32 s2, s31
	s_cbranch_scc0 .LBB337_11
.LBB337_3:                              ; =>This Loop Header: Depth=1
                                        ;     Child Loop BB337_5 Depth 2
	s_and_b32 vcc_lo, exec_lo, s0
	s_cbranch_vccnz .LBB337_6
; %bb.4:                                ;   in Loop: Header=BB337_3 Depth=1
	s_wait_xcnt 0x0
	v_mad_nc_u64_u32 v[10:11], s4, s2, v[4:5]
	v_mad_nc_u64_u32 v[12:13], s12, s2, v[6:7]
	v_dual_mov_b32 v18, 0 :: v_dual_mov_b32 v19, 0
	v_dual_mov_b32 v20, 0 :: v_dual_mov_b32 v21, 0
	;; [unrolled: 1-line block ×4, first 2 shown]
	s_mov_b64 s[20:21], 0
	v_mad_u32 v11, s5, s2, v11
	v_mad_u32 v13, s13, s2, v13
.LBB337_5:                              ;   Parent Loop BB337_3 Depth=1
                                        ; =>  This Inner Loop Header: Depth=2
	global_load_u16 v26, v[12:13], off
	global_load_u16 v27, v[10:11], off
	s_add_nc_u64 s[20:21], s[20:21], 4
	s_wait_xcnt 0x0
	v_add_nc_u64_e32 v[10:11], s[6:7], v[10:11]
	v_cmp_lt_i64_e64 s24, s[20:21], s[28:29]
	v_add_nc_u64_e32 v[12:13], s[14:15], v[12:13]
	s_wait_loadcnt 0x1
	ds_store_b16 v14, v26
	s_wait_loadcnt 0x0
	ds_store_b16 v15, v27
	s_wait_dscnt 0x0
	s_barrier_signal -1
	s_barrier_wait -1
	ds_load_u16 v34, v16
	ds_load_u16 v35, v16 offset:32
	ds_load_u16 v36, v16 offset:64
	;; [unrolled: 1-line block ×15, first 2 shown]
	ds_load_2addr_b64 v[26:29], v17 offset1:16
	ds_load_2addr_b64 v[30:33], v17 offset0:32 offset1:48
	s_and_b32 vcc_lo, exec_lo, s24
	s_wait_dscnt 0x0
	s_barrier_signal -1
	v_perm_b32 v34, v34, v35, 0x5040100
	s_barrier_wait -1
	v_perm_b32 v36, v36, v37, 0x5040100
	v_perm_b32 v35, v38, v39, 0x5040100
	;; [unrolled: 1-line block ×7, first 2 shown]
	v_pk_fma_f16 v25, v34, v26, v25 op_sel_hi:[1,0,1]
	v_pk_fma_f16 v24, v36, v26, v24 op_sel_hi:[1,0,1]
	;; [unrolled: 1-line block ×8, first 2 shown]
	v_pk_fma_f16 v25, v35, v26, v25 op_sel:[0,1,0]
	v_pk_fma_f16 v24, v37, v26, v24 op_sel:[0,1,0]
	;; [unrolled: 1-line block ×8, first 2 shown]
	v_pk_fma_f16 v25, v38, v27, v25 op_sel_hi:[1,0,1]
	v_pk_fma_f16 v24, v40, v27, v24 op_sel_hi:[1,0,1]
	;; [unrolled: 1-line block ×8, first 2 shown]
	v_pk_fma_f16 v25, v39, v27, v25 op_sel:[0,1,0]
	v_pk_fma_f16 v24, v41, v27, v24 op_sel:[0,1,0]
	;; [unrolled: 1-line block ×8, first 2 shown]
	s_cbranch_vccnz .LBB337_5
	s_branch .LBB337_7
.LBB337_6:                              ;   in Loop: Header=BB337_3 Depth=1
	v_dual_mov_b32 v25, 0 :: v_dual_mov_b32 v24, 0
	s_wait_xcnt 0x1
	v_dual_mov_b32 v23, 0 :: v_dual_mov_b32 v22, 0
	v_dual_mov_b32 v21, 0 :: v_dual_mov_b32 v20, 0
	v_dual_mov_b32 v19, 0 :: v_dual_mov_b32 v18, 0
.LBB337_7:                              ;   in Loop: Header=BB337_3 Depth=1
	s_mul_u64 s[20:21], s[22:23], s[2:3]
	v_dual_lshrrev_b32 v33, 16, v25 :: v_dual_lshrrev_b32 v32, 16, v24
	s_lshl_b64 s[20:21], s[20:21], 1
	v_dual_lshrrev_b32 v31, 16, v23 :: v_dual_lshrrev_b32 v30, 16, v22
	s_add_nc_u64 s[20:21], s[10:11], s[20:21]
	v_dual_lshrrev_b32 v29, 16, v21 :: v_dual_lshrrev_b32 v28, 16, v20
	s_wait_xcnt 0x0
	v_lshl_add_u64 v[10:11], v[0:1], 1, s[20:21]
	v_dual_lshrrev_b32 v27, 16, v19 :: v_dual_lshrrev_b32 v26, 16, v18
	s_and_not1_b32 vcc_lo, exec_lo, s1
	s_delay_alu instid0(VALU_DEP_2)
	v_add_nc_u64_e32 v[12:13], v[10:11], v[8:9]
	v_add_nc_u64_e32 v[10:11], s[16:17], v[10:11]
	s_cbranch_vccnz .LBB337_9
; %bb.8:                                ;   in Loop: Header=BB337_3 Depth=1
	v_mul_f16_e32 v36, s30, v33
	v_mul_f16_e32 v37, s30, v25
	s_delay_alu instid0(VALU_DEP_3)
	v_add_nc_u64_e32 v[34:35], s[16:17], v[10:11]
	v_mul_f16_e32 v38, s30, v32
	v_mul_f16_e32 v39, s30, v24
	s_clause 0x3
	global_store_b16 v[12:13], v36, off
	global_store_b16 v[12:13], v37, off offset:32
	global_store_b16 v[12:13], v38, off offset:64
	;; [unrolled: 1-line block ×3, first 2 shown]
	s_wait_xcnt 0x2
	v_add_nc_u64_e32 v[36:37], v[10:11], v[8:9]
	v_mul_f16_e32 v40, s30, v31
	v_mul_f16_e32 v41, s30, v23
	s_wait_xcnt 0x0
	v_add_nc_u64_e32 v[38:39], v[34:35], v[8:9]
	v_add_nc_u64_e32 v[34:35], s[16:17], v[34:35]
	v_mul_f16_e32 v42, s30, v30
	v_mul_f16_e32 v43, s30, v22
	s_clause 0x3
	global_store_b16 v[36:37], v40, off
	global_store_b16 v[36:37], v41, off offset:32
	global_store_b16 v[36:37], v42, off offset:64
	;; [unrolled: 1-line block ×3, first 2 shown]
	s_wait_xcnt 0x0
	v_mul_f16_e32 v36, s30, v29
	v_mul_f16_e32 v37, s30, v21
	;; [unrolled: 1-line block ×4, first 2 shown]
	v_add_nc_u64_e32 v[34:35], v[34:35], v[8:9]
	s_clause 0x3
	global_store_b16 v[38:39], v36, off
	global_store_b16 v[38:39], v37, off offset:32
	global_store_b16 v[38:39], v40, off offset:64
	;; [unrolled: 1-line block ×3, first 2 shown]
	s_wait_xcnt 0x3
	v_mul_f16_e32 v36, s30, v27
	s_wait_xcnt 0x2
	v_mul_f16_e32 v37, s30, v19
	;; [unrolled: 2-line block ×3, first 2 shown]
	v_mul_f16_e32 v39, s30, v18
	s_clause 0x3
	global_store_b16 v[34:35], v36, off
	global_store_b16 v[34:35], v37, off offset:32
	global_store_b16 v[34:35], v38, off offset:64
	;; [unrolled: 1-line block ×3, first 2 shown]
	s_cbranch_execnz .LBB337_2
	s_branch .LBB337_10
.LBB337_9:                              ;   in Loop: Header=BB337_3 Depth=1
.LBB337_10:                             ;   in Loop: Header=BB337_3 Depth=1
	s_mul_u64 s[20:21], s[8:9], s[2:3]
	s_wait_xcnt 0x0
	v_lshl_add_u64 v[34:35], s[20:21], 1, v[2:3]
	s_delay_alu instid0(VALU_DEP_1) | instskip(SKIP_3) | instid1(VALU_DEP_1)
	v_add_nc_u64_e32 v[36:37], v[34:35], v[8:9]
	global_load_u16 v38, v[36:37], off
	s_wait_loadcnt 0x0
	v_mul_f16_e32 v38, s33, v38
	v_fmac_f16_e32 v38, s30, v33
	global_store_b16 v[12:13], v38, off
	global_load_u16 v33, v[36:37], off offset:32
	s_wait_loadcnt 0x0
	v_mul_f16_e32 v33, s33, v33
	s_delay_alu instid0(VALU_DEP_1) | instskip(SKIP_4) | instid1(VALU_DEP_1)
	v_fmac_f16_e32 v33, s30, v25
	global_store_b16 v[12:13], v33, off offset:32
	global_load_u16 v25, v[36:37], off offset:64
	s_wait_loadcnt 0x0
	v_mul_f16_e32 v25, s33, v25
	v_fmac_f16_e32 v25, s30, v32
	s_wait_xcnt 0x1
	v_add_nc_u64_e32 v[32:33], s[18:19], v[34:35]
	global_store_b16 v[12:13], v25, off offset:64
	global_load_u16 v25, v[36:37], off offset:96
	v_add_nc_u64_e32 v[34:35], v[32:33], v[8:9]
	s_wait_loadcnt 0x0
	v_mul_f16_e32 v25, s33, v25
	s_delay_alu instid0(VALU_DEP_1)
	v_fmac_f16_e32 v25, s30, v24
	global_store_b16 v[12:13], v25, off offset:96
	global_load_u16 v12, v[34:35], off
	s_wait_loadcnt 0x0
	v_mul_f16_e32 v24, s33, v12
	v_add_nc_u64_e32 v[12:13], v[10:11], v[8:9]
	v_add_nc_u64_e32 v[10:11], s[16:17], v[10:11]
	s_delay_alu instid0(VALU_DEP_3) | instskip(SKIP_4) | instid1(VALU_DEP_1)
	v_fmac_f16_e32 v24, s30, v31
	global_store_b16 v[12:13], v24, off
	global_load_u16 v24, v[34:35], off offset:32
	s_wait_loadcnt 0x0
	v_mul_f16_e32 v24, s33, v24
	v_fmac_f16_e32 v24, s30, v23
	global_store_b16 v[12:13], v24, off offset:32
	global_load_u16 v23, v[34:35], off offset:64
	s_wait_xcnt 0x1
	v_add_nc_u64_e32 v[24:25], s[18:19], v[32:33]
	s_wait_loadcnt 0x0
	v_mul_f16_e32 v23, s33, v23
	s_delay_alu instid0(VALU_DEP_1) | instskip(NEXT) | instid1(VALU_DEP_3)
	v_fmac_f16_e32 v23, s30, v30
	v_add_nc_u64_e32 v[30:31], v[24:25], v[8:9]
	global_store_b16 v[12:13], v23, off offset:64
	global_load_u16 v23, v[34:35], off offset:96
	s_wait_loadcnt 0x0
	v_mul_f16_e32 v23, s33, v23
	s_delay_alu instid0(VALU_DEP_1)
	v_fmac_f16_e32 v23, s30, v22
	global_store_b16 v[12:13], v23, off offset:96
	global_load_u16 v12, v[30:31], off
	s_wait_loadcnt 0x0
	v_mul_f16_e32 v22, s33, v12
	v_add_nc_u64_e32 v[12:13], v[10:11], v[8:9]
	v_add_nc_u64_e32 v[10:11], s[16:17], v[10:11]
	s_delay_alu instid0(VALU_DEP_3) | instskip(NEXT) | instid1(VALU_DEP_2)
	v_fmac_f16_e32 v22, s30, v29
	v_add_nc_u64_e32 v[10:11], v[10:11], v[8:9]
	global_store_b16 v[12:13], v22, off
	global_load_u16 v22, v[30:31], off offset:32
	s_wait_loadcnt 0x0
	v_mul_f16_e32 v22, s33, v22
	s_delay_alu instid0(VALU_DEP_1) | instskip(SKIP_4) | instid1(VALU_DEP_1)
	v_fmac_f16_e32 v22, s30, v21
	global_store_b16 v[12:13], v22, off offset:32
	global_load_u16 v21, v[30:31], off offset:64
	s_wait_xcnt 0x1
	v_add_nc_u64_e32 v[22:23], s[18:19], v[24:25]
	v_add_nc_u64_e32 v[22:23], v[22:23], v[8:9]
	s_wait_loadcnt 0x0
	v_mul_f16_e32 v21, s33, v21
	s_delay_alu instid0(VALU_DEP_1) | instskip(SKIP_4) | instid1(VALU_DEP_1)
	v_fmac_f16_e32 v21, s30, v28
	global_store_b16 v[12:13], v21, off offset:64
	global_load_u16 v21, v[30:31], off offset:96
	s_wait_loadcnt 0x0
	v_mul_f16_e32 v21, s33, v21
	v_fmac_f16_e32 v21, s30, v20
	global_store_b16 v[12:13], v21, off offset:96
	global_load_u16 v12, v[22:23], off
	s_wait_loadcnt 0x0
	v_mul_f16_e32 v12, s33, v12
	s_delay_alu instid0(VALU_DEP_1) | instskip(SKIP_4) | instid1(VALU_DEP_1)
	v_fmac_f16_e32 v12, s30, v27
	global_store_b16 v[10:11], v12, off
	global_load_u16 v12, v[22:23], off offset:32
	s_wait_loadcnt 0x0
	v_mul_f16_e32 v12, s33, v12
	v_fmac_f16_e32 v12, s30, v19
	global_store_b16 v[10:11], v12, off offset:32
	global_load_u16 v12, v[22:23], off offset:64
	s_wait_loadcnt 0x0
	v_mul_f16_e32 v12, s33, v12
	s_delay_alu instid0(VALU_DEP_1) | instskip(SKIP_4) | instid1(VALU_DEP_1)
	v_fmac_f16_e32 v12, s30, v26
	global_store_b16 v[10:11], v12, off offset:64
	global_load_u16 v12, v[22:23], off offset:96
	s_wait_loadcnt 0x0
	v_mul_f16_e32 v12, s33, v12
	v_fmac_f16_e32 v12, s30, v18
	global_store_b16 v[10:11], v12, off offset:96
	s_branch .LBB337_2
.LBB337_11:
	s_endpgm
	.section	.rodata,"a",@progbits
	.p2align	6, 0x0
	.amdhsa_kernel _ZN12_GLOBAL__N_127rocblas_gemm_batched_kernelIDF16_Li16ELi16ELi64ELi64ELi4ELi64ELi4ELi4ELi64ELc78ELc84EKDF16_S1_DF16_EEvlllT_PT11_llS4_llS2_PT12_llPT13_lli
		.amdhsa_group_segment_fixed_size 1024
		.amdhsa_private_segment_fixed_size 0
		.amdhsa_kernarg_size 140
		.amdhsa_user_sgpr_count 2
		.amdhsa_user_sgpr_dispatch_ptr 0
		.amdhsa_user_sgpr_queue_ptr 0
		.amdhsa_user_sgpr_kernarg_segment_ptr 1
		.amdhsa_user_sgpr_dispatch_id 0
		.amdhsa_user_sgpr_kernarg_preload_length 0
		.amdhsa_user_sgpr_kernarg_preload_offset 0
		.amdhsa_user_sgpr_private_segment_size 0
		.amdhsa_wavefront_size32 1
		.amdhsa_uses_dynamic_stack 0
		.amdhsa_enable_private_segment 0
		.amdhsa_system_sgpr_workgroup_id_x 1
		.amdhsa_system_sgpr_workgroup_id_y 1
		.amdhsa_system_sgpr_workgroup_id_z 1
		.amdhsa_system_sgpr_workgroup_info 0
		.amdhsa_system_vgpr_workitem_id 1
		.amdhsa_next_free_vgpr 50
		.amdhsa_next_free_sgpr 38
		.amdhsa_named_barrier_count 0
		.amdhsa_reserve_vcc 1
		.amdhsa_float_round_mode_32 0
		.amdhsa_float_round_mode_16_64 0
		.amdhsa_float_denorm_mode_32 3
		.amdhsa_float_denorm_mode_16_64 3
		.amdhsa_fp16_overflow 0
		.amdhsa_memory_ordered 1
		.amdhsa_forward_progress 1
		.amdhsa_inst_pref_size 19
		.amdhsa_round_robin_scheduling 0
		.amdhsa_exception_fp_ieee_invalid_op 0
		.amdhsa_exception_fp_denorm_src 0
		.amdhsa_exception_fp_ieee_div_zero 0
		.amdhsa_exception_fp_ieee_overflow 0
		.amdhsa_exception_fp_ieee_underflow 0
		.amdhsa_exception_fp_ieee_inexact 0
		.amdhsa_exception_int_div_zero 0
	.end_amdhsa_kernel
	.section	.text._ZN12_GLOBAL__N_127rocblas_gemm_batched_kernelIDF16_Li16ELi16ELi64ELi64ELi4ELi64ELi4ELi4ELi64ELc78ELc84EKDF16_S1_DF16_EEvlllT_PT11_llS4_llS2_PT12_llPT13_lli,"axG",@progbits,_ZN12_GLOBAL__N_127rocblas_gemm_batched_kernelIDF16_Li16ELi16ELi64ELi64ELi4ELi64ELi4ELi4ELi64ELc78ELc84EKDF16_S1_DF16_EEvlllT_PT11_llS4_llS2_PT12_llPT13_lli,comdat
.Lfunc_end337:
	.size	_ZN12_GLOBAL__N_127rocblas_gemm_batched_kernelIDF16_Li16ELi16ELi64ELi64ELi4ELi64ELi4ELi4ELi64ELc78ELc84EKDF16_S1_DF16_EEvlllT_PT11_llS4_llS2_PT12_llPT13_lli, .Lfunc_end337-_ZN12_GLOBAL__N_127rocblas_gemm_batched_kernelIDF16_Li16ELi16ELi64ELi64ELi4ELi64ELi4ELi4ELi64ELc78ELc84EKDF16_S1_DF16_EEvlllT_PT11_llS4_llS2_PT12_llPT13_lli
                                        ; -- End function
	.set _ZN12_GLOBAL__N_127rocblas_gemm_batched_kernelIDF16_Li16ELi16ELi64ELi64ELi4ELi64ELi4ELi4ELi64ELc78ELc84EKDF16_S1_DF16_EEvlllT_PT11_llS4_llS2_PT12_llPT13_lli.num_vgpr, 50
	.set _ZN12_GLOBAL__N_127rocblas_gemm_batched_kernelIDF16_Li16ELi16ELi64ELi64ELi4ELi64ELi4ELi4ELi64ELc78ELc84EKDF16_S1_DF16_EEvlllT_PT11_llS4_llS2_PT12_llPT13_lli.num_agpr, 0
	.set _ZN12_GLOBAL__N_127rocblas_gemm_batched_kernelIDF16_Li16ELi16ELi64ELi64ELi4ELi64ELi4ELi4ELi64ELc78ELc84EKDF16_S1_DF16_EEvlllT_PT11_llS4_llS2_PT12_llPT13_lli.numbered_sgpr, 38
	.set _ZN12_GLOBAL__N_127rocblas_gemm_batched_kernelIDF16_Li16ELi16ELi64ELi64ELi4ELi64ELi4ELi4ELi64ELc78ELc84EKDF16_S1_DF16_EEvlllT_PT11_llS4_llS2_PT12_llPT13_lli.num_named_barrier, 0
	.set _ZN12_GLOBAL__N_127rocblas_gemm_batched_kernelIDF16_Li16ELi16ELi64ELi64ELi4ELi64ELi4ELi4ELi64ELc78ELc84EKDF16_S1_DF16_EEvlllT_PT11_llS4_llS2_PT12_llPT13_lli.private_seg_size, 0
	.set _ZN12_GLOBAL__N_127rocblas_gemm_batched_kernelIDF16_Li16ELi16ELi64ELi64ELi4ELi64ELi4ELi4ELi64ELc78ELc84EKDF16_S1_DF16_EEvlllT_PT11_llS4_llS2_PT12_llPT13_lli.uses_vcc, 1
	.set _ZN12_GLOBAL__N_127rocblas_gemm_batched_kernelIDF16_Li16ELi16ELi64ELi64ELi4ELi64ELi4ELi4ELi64ELc78ELc84EKDF16_S1_DF16_EEvlllT_PT11_llS4_llS2_PT12_llPT13_lli.uses_flat_scratch, 0
	.set _ZN12_GLOBAL__N_127rocblas_gemm_batched_kernelIDF16_Li16ELi16ELi64ELi64ELi4ELi64ELi4ELi4ELi64ELc78ELc84EKDF16_S1_DF16_EEvlllT_PT11_llS4_llS2_PT12_llPT13_lli.has_dyn_sized_stack, 0
	.set _ZN12_GLOBAL__N_127rocblas_gemm_batched_kernelIDF16_Li16ELi16ELi64ELi64ELi4ELi64ELi4ELi4ELi64ELc78ELc84EKDF16_S1_DF16_EEvlllT_PT11_llS4_llS2_PT12_llPT13_lli.has_recursion, 0
	.set _ZN12_GLOBAL__N_127rocblas_gemm_batched_kernelIDF16_Li16ELi16ELi64ELi64ELi4ELi64ELi4ELi4ELi64ELc78ELc84EKDF16_S1_DF16_EEvlllT_PT11_llS4_llS2_PT12_llPT13_lli.has_indirect_call, 0
	.section	.AMDGPU.csdata,"",@progbits
; Kernel info:
; codeLenInByte = 2348
; TotalNumSgprs: 40
; NumVgprs: 50
; ScratchSize: 0
; MemoryBound: 0
; FloatMode: 240
; IeeeMode: 1
; LDSByteSize: 1024 bytes/workgroup (compile time only)
; SGPRBlocks: 0
; VGPRBlocks: 3
; NumSGPRsForWavesPerEU: 40
; NumVGPRsForWavesPerEU: 50
; NamedBarCnt: 0
; Occupancy: 16
; WaveLimiterHint : 0
; COMPUTE_PGM_RSRC2:SCRATCH_EN: 0
; COMPUTE_PGM_RSRC2:USER_SGPR: 2
; COMPUTE_PGM_RSRC2:TRAP_HANDLER: 0
; COMPUTE_PGM_RSRC2:TGID_X_EN: 1
; COMPUTE_PGM_RSRC2:TGID_Y_EN: 1
; COMPUTE_PGM_RSRC2:TGID_Z_EN: 1
; COMPUTE_PGM_RSRC2:TIDIG_COMP_CNT: 1
	.section	.text._ZN12_GLOBAL__N_127rocblas_gemm_batched_kernelIDF16_Li16ELi16ELi64ELi64ELi4ELi64ELi4ELi4ELi64ELc84ELc84EKDF16_S1_DF16_EEvlllT_PT11_llS4_llS2_PT12_llPT13_lli,"axG",@progbits,_ZN12_GLOBAL__N_127rocblas_gemm_batched_kernelIDF16_Li16ELi16ELi64ELi64ELi4ELi64ELi4ELi4ELi64ELc84ELc84EKDF16_S1_DF16_EEvlllT_PT11_llS4_llS2_PT12_llPT13_lli,comdat
	.globl	_ZN12_GLOBAL__N_127rocblas_gemm_batched_kernelIDF16_Li16ELi16ELi64ELi64ELi4ELi64ELi4ELi4ELi64ELc84ELc84EKDF16_S1_DF16_EEvlllT_PT11_llS4_llS2_PT12_llPT13_lli ; -- Begin function _ZN12_GLOBAL__N_127rocblas_gemm_batched_kernelIDF16_Li16ELi16ELi64ELi64ELi4ELi64ELi4ELi4ELi64ELc84ELc84EKDF16_S1_DF16_EEvlllT_PT11_llS4_llS2_PT12_llPT13_lli
	.p2align	8
	.type	_ZN12_GLOBAL__N_127rocblas_gemm_batched_kernelIDF16_Li16ELi16ELi64ELi64ELi4ELi64ELi4ELi4ELi64ELc84ELc84EKDF16_S1_DF16_EEvlllT_PT11_llS4_llS2_PT12_llPT13_lli,@function
_ZN12_GLOBAL__N_127rocblas_gemm_batched_kernelIDF16_Li16ELi16ELi64ELi64ELi4ELi64ELi4ELi4ELi64ELc84ELc84EKDF16_S1_DF16_EEvlllT_PT11_llS4_llS2_PT12_llPT13_lli: ; @_ZN12_GLOBAL__N_127rocblas_gemm_batched_kernelIDF16_Li16ELi16ELi64ELi64ELi4ELi64ELi4ELi4ELi64ELc84ELc84EKDF16_S1_DF16_EEvlllT_PT11_llS4_llS2_PT12_llPT13_lli
; %bb.0:
	s_load_b32 s31, s[0:1], 0x88
	s_bfe_u32 s2, ttmp6, 0x40014
	s_lshr_b32 s3, ttmp7, 16
	s_add_co_i32 s2, s2, 1
	s_bfe_u32 s4, ttmp6, 0x40008
	s_mul_i32 s2, s3, s2
	s_getreg_b32 s20, hwreg(HW_REG_IB_STS2, 6, 4)
	s_add_co_i32 s4, s4, s2
	s_cmp_eq_u32 s20, 0
	s_cselect_b32 s2, s3, s4
	s_mov_b32 s3, 0
	s_wait_kmcnt 0x0
	s_cmp_ge_i32 s2, s31
	s_cbranch_scc1 .LBB338_11
; %bb.1:
	s_bfe_u32 s21, ttmp6, 0x4000c
	s_bfe_u32 s23, ttmp6, 0x40010
	v_bfe_u32 v4, v0, 10, 10
	v_and_b32_e32 v2, 0x3ff, v0
	s_add_co_i32 s21, s21, 1
	s_and_b32 s28, ttmp7, 0xffff
	s_add_co_i32 s23, s23, 1
	s_clause 0x2
	s_load_b256 s[12:19], s[0:1], 0x20
	s_load_b128 s[24:27], s[0:1], 0x40
	s_load_b256 s[4:11], s[0:1], 0x58
	s_and_b32 s22, ttmp6, 15
	s_mul_i32 s21, ttmp9, s21
	s_mul_i32 s23, s28, s23
	s_bfe_u32 s29, ttmp6, 0x40004
	v_lshl_add_u32 v1, v4, 4, v2
	s_add_co_i32 s22, s22, s21
	s_add_co_i32 s29, s29, s23
	s_cmp_eq_u32 s20, 0
	s_delay_alu instid0(VALU_DEP_1)
	v_dual_mov_b32 v5, 0 :: v_dual_bitop2_b32 v3, 63, v1 bitop3:0x40
	s_cselect_b32 s20, ttmp9, s22
	s_cselect_b32 s22, s28, s29
	s_ashr_i32 s21, s20, 31
	s_lshl_b32 s34, s22, 6
	s_lshl_b64 s[36:37], s[20:21], 6
	s_load_b128 s[20:23], s[0:1], 0x78
	s_mov_b32 s35, s3
	v_dual_mov_b32 v9, s37 :: v_dual_bitop2_b32 v8, s36, v3 bitop3:0x54
	v_add_nc_u64_e32 v[6:7], s[34:35], v[4:5]
	v_dual_lshrrev_b32 v10, 2, v1 :: v_dual_bitop2_b32 v14, 3, v0 bitop3:0x40
	v_mov_b32_e32 v11, v5
	s_wait_kmcnt 0x0
	v_mul_u64_e32 v[8:9], s[14:15], v[8:9]
	s_clause 0x1
	s_load_b32 s33, s[0:1], 0x50
	s_load_b96 s[28:30], s[0:1], 0x10
	v_mul_u64_e32 v[12:13], s[6:7], v[6:7]
	v_lshlrev_b32_e32 v15, 1, v14
	v_mad_nc_u64_u32 v[18:19], s24, v14, v[10:11]
	v_lshrrev_b32_e32 v11, 6, v1
	v_lshl_add_u32 v17, v4, 3, 0x200
	v_lshlrev_b32_e32 v16, 1, v2
	v_mul_u64_e32 v[0:1], s[20:21], v[6:7]
	v_lshlrev_b32_e32 v6, 1, v3
	v_lshl_or_b32 v7, v10, 3, v15
	v_mov_b32_e32 v3, v5
	v_mad_u32 v19, s25, v14, v19
	v_lshlrev_b32_e32 v4, 1, v11
	v_lshl_or_b32 v14, v11, 7, v6
	v_add_nc_u32_e32 v15, 0x200, v7
	v_add_nc_u64_e32 v[10:11], s[36:37], v[2:3]
	s_wait_kmcnt 0x0
	s_cmp_eq_f16 s33, 0
	v_cmp_gt_i64_e64 s0, s[28:29], 0
	s_cselect_b32 s1, -1, 0
	s_lshl_b64 s[14:15], s[20:21], 4
	v_add_nc_u64_e32 v[6:7], s[34:35], v[18:19]
	s_lshl_b64 s[20:21], s[6:7], 4
	s_lshl_b64 s[6:7], s[24:25], 3
	;; [unrolled: 1-line block ×3, first 2 shown]
	v_lshl_add_u64 v[8:9], v[8:9], 1, v[4:5]
	s_delay_alu instid0(VALU_DEP_2) | instskip(SKIP_2) | instid1(VALU_DEP_4)
	v_lshl_add_u64 v[4:5], v[6:7], 1, s[18:19]
	v_lshl_add_u64 v[2:3], v[12:13], 1, s[4:5]
	v_cndmask_b32_e64 v12, 0, 1, s0
	v_add_nc_u64_e32 v[6:7], s[12:13], v[8:9]
	v_lshlrev_b64_e32 v[8:9], 1, v[10:11]
	s_lshl_b64 s[4:5], s[26:27], 1
	s_lshl_b64 s[12:13], s[16:17], 1
	v_cmp_ne_u32_e64 s0, 1, v12
	s_lshl_b64 s[16:17], s[20:21], 1
	s_branch .LBB338_3
.LBB338_2:                              ;   in Loop: Header=BB338_3 Depth=1
	s_add_co_i32 s2, s2, 0x10000
	s_delay_alu instid0(SALU_CYCLE_1)
	s_cmp_lt_i32 s2, s31
	s_cbranch_scc0 .LBB338_11
.LBB338_3:                              ; =>This Loop Header: Depth=1
                                        ;     Child Loop BB338_5 Depth 2
	s_and_b32 vcc_lo, exec_lo, s0
	s_cbranch_vccnz .LBB338_6
; %bb.4:                                ;   in Loop: Header=BB338_3 Depth=1
	s_wait_xcnt 0x0
	v_mad_nc_u64_u32 v[10:11], s4, s2, v[4:5]
	v_mad_nc_u64_u32 v[12:13], s12, s2, v[6:7]
	v_dual_mov_b32 v18, 0 :: v_dual_mov_b32 v19, 0
	v_dual_mov_b32 v20, 0 :: v_dual_mov_b32 v21, 0
	;; [unrolled: 1-line block ×4, first 2 shown]
	s_mov_b64 s[18:19], 0
	v_mad_u32 v11, s5, s2, v11
	v_mad_u32 v13, s13, s2, v13
.LBB338_5:                              ;   Parent Loop BB338_3 Depth=1
                                        ; =>  This Inner Loop Header: Depth=2
	global_load_u16 v26, v[12:13], off
	global_load_u16 v27, v[10:11], off
	s_add_nc_u64 s[18:19], s[18:19], 4
	s_wait_xcnt 0x0
	v_add_nc_u64_e32 v[10:11], s[6:7], v[10:11]
	v_cmp_lt_i64_e64 s20, s[18:19], s[28:29]
	v_add_nc_u64_e32 v[12:13], 8, v[12:13]
	s_wait_loadcnt 0x1
	ds_store_b16 v14, v26
	s_wait_loadcnt 0x0
	ds_store_b16 v15, v27
	s_wait_dscnt 0x0
	s_barrier_signal -1
	s_barrier_wait -1
	ds_load_u16 v34, v16
	ds_load_u16 v35, v16 offset:32
	ds_load_u16 v36, v16 offset:64
	;; [unrolled: 1-line block ×15, first 2 shown]
	ds_load_2addr_b64 v[26:29], v17 offset1:16
	ds_load_2addr_b64 v[30:33], v17 offset0:32 offset1:48
	s_and_b32 vcc_lo, exec_lo, s20
	s_wait_dscnt 0x0
	s_barrier_signal -1
	v_perm_b32 v34, v34, v35, 0x5040100
	s_barrier_wait -1
	v_perm_b32 v36, v36, v37, 0x5040100
	v_perm_b32 v35, v38, v39, 0x5040100
	;; [unrolled: 1-line block ×7, first 2 shown]
	v_pk_fma_f16 v25, v34, v26, v25 op_sel_hi:[1,0,1]
	v_pk_fma_f16 v24, v36, v26, v24 op_sel_hi:[1,0,1]
	;; [unrolled: 1-line block ×8, first 2 shown]
	v_pk_fma_f16 v25, v35, v26, v25 op_sel:[0,1,0]
	v_pk_fma_f16 v24, v37, v26, v24 op_sel:[0,1,0]
	;; [unrolled: 1-line block ×8, first 2 shown]
	v_pk_fma_f16 v25, v38, v27, v25 op_sel_hi:[1,0,1]
	v_pk_fma_f16 v24, v40, v27, v24 op_sel_hi:[1,0,1]
	;; [unrolled: 1-line block ×8, first 2 shown]
	v_pk_fma_f16 v25, v39, v27, v25 op_sel:[0,1,0]
	v_pk_fma_f16 v24, v41, v27, v24 op_sel:[0,1,0]
	;; [unrolled: 1-line block ×8, first 2 shown]
	s_cbranch_vccnz .LBB338_5
	s_branch .LBB338_7
.LBB338_6:                              ;   in Loop: Header=BB338_3 Depth=1
	v_dual_mov_b32 v25, 0 :: v_dual_mov_b32 v24, 0
	s_wait_xcnt 0x1
	v_dual_mov_b32 v23, 0 :: v_dual_mov_b32 v22, 0
	v_dual_mov_b32 v21, 0 :: v_dual_mov_b32 v20, 0
	;; [unrolled: 1-line block ×3, first 2 shown]
.LBB338_7:                              ;   in Loop: Header=BB338_3 Depth=1
	s_mul_u64 s[18:19], s[22:23], s[2:3]
	v_dual_lshrrev_b32 v33, 16, v25 :: v_dual_lshrrev_b32 v32, 16, v24
	s_lshl_b64 s[18:19], s[18:19], 1
	v_dual_lshrrev_b32 v31, 16, v23 :: v_dual_lshrrev_b32 v30, 16, v22
	s_add_nc_u64 s[18:19], s[10:11], s[18:19]
	v_dual_lshrrev_b32 v29, 16, v21 :: v_dual_lshrrev_b32 v28, 16, v20
	s_wait_xcnt 0x0
	v_lshl_add_u64 v[10:11], v[0:1], 1, s[18:19]
	v_dual_lshrrev_b32 v27, 16, v19 :: v_dual_lshrrev_b32 v26, 16, v18
	s_and_not1_b32 vcc_lo, exec_lo, s1
	s_delay_alu instid0(VALU_DEP_2)
	v_add_nc_u64_e32 v[12:13], v[10:11], v[8:9]
	v_add_nc_u64_e32 v[10:11], s[14:15], v[10:11]
	s_cbranch_vccnz .LBB338_9
; %bb.8:                                ;   in Loop: Header=BB338_3 Depth=1
	v_mul_f16_e32 v36, s30, v33
	v_mul_f16_e32 v37, s30, v25
	s_delay_alu instid0(VALU_DEP_3)
	v_add_nc_u64_e32 v[34:35], s[14:15], v[10:11]
	v_mul_f16_e32 v38, s30, v32
	v_mul_f16_e32 v39, s30, v24
	s_clause 0x3
	global_store_b16 v[12:13], v36, off
	global_store_b16 v[12:13], v37, off offset:32
	global_store_b16 v[12:13], v38, off offset:64
	;; [unrolled: 1-line block ×3, first 2 shown]
	s_wait_xcnt 0x2
	v_add_nc_u64_e32 v[36:37], v[10:11], v[8:9]
	v_mul_f16_e32 v40, s30, v31
	v_mul_f16_e32 v41, s30, v23
	s_wait_xcnt 0x0
	v_add_nc_u64_e32 v[38:39], v[34:35], v[8:9]
	v_add_nc_u64_e32 v[34:35], s[14:15], v[34:35]
	v_mul_f16_e32 v42, s30, v30
	v_mul_f16_e32 v43, s30, v22
	s_clause 0x3
	global_store_b16 v[36:37], v40, off
	global_store_b16 v[36:37], v41, off offset:32
	global_store_b16 v[36:37], v42, off offset:64
	;; [unrolled: 1-line block ×3, first 2 shown]
	s_wait_xcnt 0x0
	v_mul_f16_e32 v36, s30, v29
	v_mul_f16_e32 v37, s30, v21
	;; [unrolled: 1-line block ×4, first 2 shown]
	v_add_nc_u64_e32 v[34:35], v[34:35], v[8:9]
	s_clause 0x3
	global_store_b16 v[38:39], v36, off
	global_store_b16 v[38:39], v37, off offset:32
	global_store_b16 v[38:39], v40, off offset:64
	;; [unrolled: 1-line block ×3, first 2 shown]
	s_wait_xcnt 0x3
	v_mul_f16_e32 v36, s30, v27
	s_wait_xcnt 0x2
	v_mul_f16_e32 v37, s30, v19
	;; [unrolled: 2-line block ×3, first 2 shown]
	v_mul_f16_e32 v39, s30, v18
	s_clause 0x3
	global_store_b16 v[34:35], v36, off
	global_store_b16 v[34:35], v37, off offset:32
	global_store_b16 v[34:35], v38, off offset:64
	;; [unrolled: 1-line block ×3, first 2 shown]
	s_cbranch_execnz .LBB338_2
	s_branch .LBB338_10
.LBB338_9:                              ;   in Loop: Header=BB338_3 Depth=1
.LBB338_10:                             ;   in Loop: Header=BB338_3 Depth=1
	s_mul_u64 s[18:19], s[8:9], s[2:3]
	s_wait_xcnt 0x0
	v_lshl_add_u64 v[34:35], s[18:19], 1, v[2:3]
	s_delay_alu instid0(VALU_DEP_1) | instskip(SKIP_3) | instid1(VALU_DEP_1)
	v_add_nc_u64_e32 v[36:37], v[34:35], v[8:9]
	global_load_u16 v38, v[36:37], off
	s_wait_loadcnt 0x0
	v_mul_f16_e32 v38, s33, v38
	v_fmac_f16_e32 v38, s30, v33
	global_store_b16 v[12:13], v38, off
	global_load_u16 v33, v[36:37], off offset:32
	s_wait_loadcnt 0x0
	v_mul_f16_e32 v33, s33, v33
	s_delay_alu instid0(VALU_DEP_1) | instskip(SKIP_4) | instid1(VALU_DEP_1)
	v_fmac_f16_e32 v33, s30, v25
	global_store_b16 v[12:13], v33, off offset:32
	global_load_u16 v25, v[36:37], off offset:64
	s_wait_loadcnt 0x0
	v_mul_f16_e32 v25, s33, v25
	v_fmac_f16_e32 v25, s30, v32
	s_wait_xcnt 0x1
	v_add_nc_u64_e32 v[32:33], s[16:17], v[34:35]
	global_store_b16 v[12:13], v25, off offset:64
	global_load_u16 v25, v[36:37], off offset:96
	v_add_nc_u64_e32 v[34:35], v[32:33], v[8:9]
	s_wait_loadcnt 0x0
	v_mul_f16_e32 v25, s33, v25
	s_delay_alu instid0(VALU_DEP_1)
	v_fmac_f16_e32 v25, s30, v24
	global_store_b16 v[12:13], v25, off offset:96
	global_load_u16 v12, v[34:35], off
	s_wait_loadcnt 0x0
	v_mul_f16_e32 v24, s33, v12
	v_add_nc_u64_e32 v[12:13], v[10:11], v[8:9]
	v_add_nc_u64_e32 v[10:11], s[14:15], v[10:11]
	s_delay_alu instid0(VALU_DEP_3) | instskip(SKIP_4) | instid1(VALU_DEP_1)
	v_fmac_f16_e32 v24, s30, v31
	global_store_b16 v[12:13], v24, off
	global_load_u16 v24, v[34:35], off offset:32
	s_wait_loadcnt 0x0
	v_mul_f16_e32 v24, s33, v24
	v_fmac_f16_e32 v24, s30, v23
	global_store_b16 v[12:13], v24, off offset:32
	global_load_u16 v23, v[34:35], off offset:64
	s_wait_xcnt 0x1
	v_add_nc_u64_e32 v[24:25], s[16:17], v[32:33]
	s_wait_loadcnt 0x0
	v_mul_f16_e32 v23, s33, v23
	s_delay_alu instid0(VALU_DEP_1) | instskip(NEXT) | instid1(VALU_DEP_3)
	v_fmac_f16_e32 v23, s30, v30
	v_add_nc_u64_e32 v[30:31], v[24:25], v[8:9]
	global_store_b16 v[12:13], v23, off offset:64
	global_load_u16 v23, v[34:35], off offset:96
	s_wait_loadcnt 0x0
	v_mul_f16_e32 v23, s33, v23
	s_delay_alu instid0(VALU_DEP_1)
	v_fmac_f16_e32 v23, s30, v22
	global_store_b16 v[12:13], v23, off offset:96
	global_load_u16 v12, v[30:31], off
	s_wait_loadcnt 0x0
	v_mul_f16_e32 v22, s33, v12
	v_add_nc_u64_e32 v[12:13], v[10:11], v[8:9]
	v_add_nc_u64_e32 v[10:11], s[14:15], v[10:11]
	s_delay_alu instid0(VALU_DEP_3) | instskip(NEXT) | instid1(VALU_DEP_2)
	v_fmac_f16_e32 v22, s30, v29
	v_add_nc_u64_e32 v[10:11], v[10:11], v[8:9]
	global_store_b16 v[12:13], v22, off
	global_load_u16 v22, v[30:31], off offset:32
	s_wait_loadcnt 0x0
	v_mul_f16_e32 v22, s33, v22
	s_delay_alu instid0(VALU_DEP_1) | instskip(SKIP_4) | instid1(VALU_DEP_1)
	v_fmac_f16_e32 v22, s30, v21
	global_store_b16 v[12:13], v22, off offset:32
	global_load_u16 v21, v[30:31], off offset:64
	s_wait_xcnt 0x1
	v_add_nc_u64_e32 v[22:23], s[16:17], v[24:25]
	v_add_nc_u64_e32 v[22:23], v[22:23], v[8:9]
	s_wait_loadcnt 0x0
	v_mul_f16_e32 v21, s33, v21
	s_delay_alu instid0(VALU_DEP_1) | instskip(SKIP_4) | instid1(VALU_DEP_1)
	v_fmac_f16_e32 v21, s30, v28
	global_store_b16 v[12:13], v21, off offset:64
	global_load_u16 v21, v[30:31], off offset:96
	s_wait_loadcnt 0x0
	v_mul_f16_e32 v21, s33, v21
	v_fmac_f16_e32 v21, s30, v20
	global_store_b16 v[12:13], v21, off offset:96
	global_load_u16 v12, v[22:23], off
	s_wait_loadcnt 0x0
	v_mul_f16_e32 v12, s33, v12
	s_delay_alu instid0(VALU_DEP_1) | instskip(SKIP_4) | instid1(VALU_DEP_1)
	v_fmac_f16_e32 v12, s30, v27
	global_store_b16 v[10:11], v12, off
	global_load_u16 v12, v[22:23], off offset:32
	s_wait_loadcnt 0x0
	v_mul_f16_e32 v12, s33, v12
	v_fmac_f16_e32 v12, s30, v19
	global_store_b16 v[10:11], v12, off offset:32
	global_load_u16 v12, v[22:23], off offset:64
	s_wait_loadcnt 0x0
	v_mul_f16_e32 v12, s33, v12
	s_delay_alu instid0(VALU_DEP_1) | instskip(SKIP_4) | instid1(VALU_DEP_1)
	v_fmac_f16_e32 v12, s30, v26
	global_store_b16 v[10:11], v12, off offset:64
	global_load_u16 v12, v[22:23], off offset:96
	s_wait_loadcnt 0x0
	v_mul_f16_e32 v12, s33, v12
	v_fmac_f16_e32 v12, s30, v18
	global_store_b16 v[10:11], v12, off offset:96
	s_branch .LBB338_2
.LBB338_11:
	s_endpgm
	.section	.rodata,"a",@progbits
	.p2align	6, 0x0
	.amdhsa_kernel _ZN12_GLOBAL__N_127rocblas_gemm_batched_kernelIDF16_Li16ELi16ELi64ELi64ELi4ELi64ELi4ELi4ELi64ELc84ELc84EKDF16_S1_DF16_EEvlllT_PT11_llS4_llS2_PT12_llPT13_lli
		.amdhsa_group_segment_fixed_size 1024
		.amdhsa_private_segment_fixed_size 0
		.amdhsa_kernarg_size 140
		.amdhsa_user_sgpr_count 2
		.amdhsa_user_sgpr_dispatch_ptr 0
		.amdhsa_user_sgpr_queue_ptr 0
		.amdhsa_user_sgpr_kernarg_segment_ptr 1
		.amdhsa_user_sgpr_dispatch_id 0
		.amdhsa_user_sgpr_kernarg_preload_length 0
		.amdhsa_user_sgpr_kernarg_preload_offset 0
		.amdhsa_user_sgpr_private_segment_size 0
		.amdhsa_wavefront_size32 1
		.amdhsa_uses_dynamic_stack 0
		.amdhsa_enable_private_segment 0
		.amdhsa_system_sgpr_workgroup_id_x 1
		.amdhsa_system_sgpr_workgroup_id_y 1
		.amdhsa_system_sgpr_workgroup_id_z 1
		.amdhsa_system_sgpr_workgroup_info 0
		.amdhsa_system_vgpr_workitem_id 1
		.amdhsa_next_free_vgpr 50
		.amdhsa_next_free_sgpr 38
		.amdhsa_named_barrier_count 0
		.amdhsa_reserve_vcc 1
		.amdhsa_float_round_mode_32 0
		.amdhsa_float_round_mode_16_64 0
		.amdhsa_float_denorm_mode_32 3
		.amdhsa_float_denorm_mode_16_64 3
		.amdhsa_fp16_overflow 0
		.amdhsa_memory_ordered 1
		.amdhsa_forward_progress 1
		.amdhsa_inst_pref_size 19
		.amdhsa_round_robin_scheduling 0
		.amdhsa_exception_fp_ieee_invalid_op 0
		.amdhsa_exception_fp_denorm_src 0
		.amdhsa_exception_fp_ieee_div_zero 0
		.amdhsa_exception_fp_ieee_overflow 0
		.amdhsa_exception_fp_ieee_underflow 0
		.amdhsa_exception_fp_ieee_inexact 0
		.amdhsa_exception_int_div_zero 0
	.end_amdhsa_kernel
	.section	.text._ZN12_GLOBAL__N_127rocblas_gemm_batched_kernelIDF16_Li16ELi16ELi64ELi64ELi4ELi64ELi4ELi4ELi64ELc84ELc84EKDF16_S1_DF16_EEvlllT_PT11_llS4_llS2_PT12_llPT13_lli,"axG",@progbits,_ZN12_GLOBAL__N_127rocblas_gemm_batched_kernelIDF16_Li16ELi16ELi64ELi64ELi4ELi64ELi4ELi4ELi64ELc84ELc84EKDF16_S1_DF16_EEvlllT_PT11_llS4_llS2_PT12_llPT13_lli,comdat
.Lfunc_end338:
	.size	_ZN12_GLOBAL__N_127rocblas_gemm_batched_kernelIDF16_Li16ELi16ELi64ELi64ELi4ELi64ELi4ELi4ELi64ELc84ELc84EKDF16_S1_DF16_EEvlllT_PT11_llS4_llS2_PT12_llPT13_lli, .Lfunc_end338-_ZN12_GLOBAL__N_127rocblas_gemm_batched_kernelIDF16_Li16ELi16ELi64ELi64ELi4ELi64ELi4ELi4ELi64ELc84ELc84EKDF16_S1_DF16_EEvlllT_PT11_llS4_llS2_PT12_llPT13_lli
                                        ; -- End function
	.set _ZN12_GLOBAL__N_127rocblas_gemm_batched_kernelIDF16_Li16ELi16ELi64ELi64ELi4ELi64ELi4ELi4ELi64ELc84ELc84EKDF16_S1_DF16_EEvlllT_PT11_llS4_llS2_PT12_llPT13_lli.num_vgpr, 50
	.set _ZN12_GLOBAL__N_127rocblas_gemm_batched_kernelIDF16_Li16ELi16ELi64ELi64ELi4ELi64ELi4ELi4ELi64ELc84ELc84EKDF16_S1_DF16_EEvlllT_PT11_llS4_llS2_PT12_llPT13_lli.num_agpr, 0
	.set _ZN12_GLOBAL__N_127rocblas_gemm_batched_kernelIDF16_Li16ELi16ELi64ELi64ELi4ELi64ELi4ELi4ELi64ELc84ELc84EKDF16_S1_DF16_EEvlllT_PT11_llS4_llS2_PT12_llPT13_lli.numbered_sgpr, 38
	.set _ZN12_GLOBAL__N_127rocblas_gemm_batched_kernelIDF16_Li16ELi16ELi64ELi64ELi4ELi64ELi4ELi4ELi64ELc84ELc84EKDF16_S1_DF16_EEvlllT_PT11_llS4_llS2_PT12_llPT13_lli.num_named_barrier, 0
	.set _ZN12_GLOBAL__N_127rocblas_gemm_batched_kernelIDF16_Li16ELi16ELi64ELi64ELi4ELi64ELi4ELi4ELi64ELc84ELc84EKDF16_S1_DF16_EEvlllT_PT11_llS4_llS2_PT12_llPT13_lli.private_seg_size, 0
	.set _ZN12_GLOBAL__N_127rocblas_gemm_batched_kernelIDF16_Li16ELi16ELi64ELi64ELi4ELi64ELi4ELi4ELi64ELc84ELc84EKDF16_S1_DF16_EEvlllT_PT11_llS4_llS2_PT12_llPT13_lli.uses_vcc, 1
	.set _ZN12_GLOBAL__N_127rocblas_gemm_batched_kernelIDF16_Li16ELi16ELi64ELi64ELi4ELi64ELi4ELi4ELi64ELc84ELc84EKDF16_S1_DF16_EEvlllT_PT11_llS4_llS2_PT12_llPT13_lli.uses_flat_scratch, 0
	.set _ZN12_GLOBAL__N_127rocblas_gemm_batched_kernelIDF16_Li16ELi16ELi64ELi64ELi4ELi64ELi4ELi4ELi64ELc84ELc84EKDF16_S1_DF16_EEvlllT_PT11_llS4_llS2_PT12_llPT13_lli.has_dyn_sized_stack, 0
	.set _ZN12_GLOBAL__N_127rocblas_gemm_batched_kernelIDF16_Li16ELi16ELi64ELi64ELi4ELi64ELi4ELi4ELi64ELc84ELc84EKDF16_S1_DF16_EEvlllT_PT11_llS4_llS2_PT12_llPT13_lli.has_recursion, 0
	.set _ZN12_GLOBAL__N_127rocblas_gemm_batched_kernelIDF16_Li16ELi16ELi64ELi64ELi4ELi64ELi4ELi4ELi64ELc84ELc84EKDF16_S1_DF16_EEvlllT_PT11_llS4_llS2_PT12_llPT13_lli.has_indirect_call, 0
	.section	.AMDGPU.csdata,"",@progbits
; Kernel info:
; codeLenInByte = 2352
; TotalNumSgprs: 40
; NumVgprs: 50
; ScratchSize: 0
; MemoryBound: 0
; FloatMode: 240
; IeeeMode: 1
; LDSByteSize: 1024 bytes/workgroup (compile time only)
; SGPRBlocks: 0
; VGPRBlocks: 3
; NumSGPRsForWavesPerEU: 40
; NumVGPRsForWavesPerEU: 50
; NamedBarCnt: 0
; Occupancy: 16
; WaveLimiterHint : 0
; COMPUTE_PGM_RSRC2:SCRATCH_EN: 0
; COMPUTE_PGM_RSRC2:USER_SGPR: 2
; COMPUTE_PGM_RSRC2:TRAP_HANDLER: 0
; COMPUTE_PGM_RSRC2:TGID_X_EN: 1
; COMPUTE_PGM_RSRC2:TGID_Y_EN: 1
; COMPUTE_PGM_RSRC2:TGID_Z_EN: 1
; COMPUTE_PGM_RSRC2:TIDIG_COMP_CNT: 1
	.section	.text._ZN12_GLOBAL__N_127rocblas_gemm_batched_kernelIDF16_Li16ELi16ELi64ELi64ELi4ELi64ELi4ELi4ELi64ELc67ELc67EKDF16_S1_DF16_EEvlllT_PT11_llS4_llS2_PT12_llPT13_lli,"axG",@progbits,_ZN12_GLOBAL__N_127rocblas_gemm_batched_kernelIDF16_Li16ELi16ELi64ELi64ELi4ELi64ELi4ELi4ELi64ELc67ELc67EKDF16_S1_DF16_EEvlllT_PT11_llS4_llS2_PT12_llPT13_lli,comdat
	.globl	_ZN12_GLOBAL__N_127rocblas_gemm_batched_kernelIDF16_Li16ELi16ELi64ELi64ELi4ELi64ELi4ELi4ELi64ELc67ELc67EKDF16_S1_DF16_EEvlllT_PT11_llS4_llS2_PT12_llPT13_lli ; -- Begin function _ZN12_GLOBAL__N_127rocblas_gemm_batched_kernelIDF16_Li16ELi16ELi64ELi64ELi4ELi64ELi4ELi4ELi64ELc67ELc67EKDF16_S1_DF16_EEvlllT_PT11_llS4_llS2_PT12_llPT13_lli
	.p2align	8
	.type	_ZN12_GLOBAL__N_127rocblas_gemm_batched_kernelIDF16_Li16ELi16ELi64ELi64ELi4ELi64ELi4ELi4ELi64ELc67ELc67EKDF16_S1_DF16_EEvlllT_PT11_llS4_llS2_PT12_llPT13_lli,@function
_ZN12_GLOBAL__N_127rocblas_gemm_batched_kernelIDF16_Li16ELi16ELi64ELi64ELi4ELi64ELi4ELi4ELi64ELc67ELc67EKDF16_S1_DF16_EEvlllT_PT11_llS4_llS2_PT12_llPT13_lli: ; @_ZN12_GLOBAL__N_127rocblas_gemm_batched_kernelIDF16_Li16ELi16ELi64ELi64ELi4ELi64ELi4ELi4ELi64ELc67ELc67EKDF16_S1_DF16_EEvlllT_PT11_llS4_llS2_PT12_llPT13_lli
; %bb.0:
	s_load_b32 s31, s[0:1], 0x88
	s_bfe_u32 s2, ttmp6, 0x40014
	s_lshr_b32 s3, ttmp7, 16
	s_add_co_i32 s2, s2, 1
	s_bfe_u32 s4, ttmp6, 0x40008
	s_mul_i32 s2, s3, s2
	s_getreg_b32 s20, hwreg(HW_REG_IB_STS2, 6, 4)
	s_add_co_i32 s4, s4, s2
	s_cmp_eq_u32 s20, 0
	s_cselect_b32 s2, s3, s4
	s_mov_b32 s3, 0
	s_wait_kmcnt 0x0
	s_cmp_ge_i32 s2, s31
	s_cbranch_scc1 .LBB339_11
; %bb.1:
	s_bfe_u32 s21, ttmp6, 0x4000c
	s_bfe_u32 s23, ttmp6, 0x40010
	v_bfe_u32 v4, v0, 10, 10
	v_and_b32_e32 v2, 0x3ff, v0
	s_add_co_i32 s21, s21, 1
	s_and_b32 s28, ttmp7, 0xffff
	s_add_co_i32 s23, s23, 1
	s_clause 0x2
	s_load_b256 s[12:19], s[0:1], 0x20
	s_load_b128 s[24:27], s[0:1], 0x40
	s_load_b256 s[4:11], s[0:1], 0x58
	s_and_b32 s22, ttmp6, 15
	s_mul_i32 s21, ttmp9, s21
	s_mul_i32 s23, s28, s23
	s_bfe_u32 s29, ttmp6, 0x40004
	v_lshl_add_u32 v1, v4, 4, v2
	s_add_co_i32 s22, s22, s21
	s_add_co_i32 s29, s29, s23
	s_cmp_eq_u32 s20, 0
	s_delay_alu instid0(VALU_DEP_1)
	v_dual_mov_b32 v5, 0 :: v_dual_bitop2_b32 v3, 63, v1 bitop3:0x40
	s_cselect_b32 s20, ttmp9, s22
	s_cselect_b32 s22, s28, s29
	s_ashr_i32 s21, s20, 31
	s_lshl_b32 s34, s22, 6
	s_lshl_b64 s[36:37], s[20:21], 6
	s_load_b128 s[20:23], s[0:1], 0x78
	s_mov_b32 s35, s3
	v_dual_mov_b32 v9, s37 :: v_dual_bitop2_b32 v8, s36, v3 bitop3:0x54
	v_add_nc_u64_e32 v[6:7], s[34:35], v[4:5]
	v_dual_lshrrev_b32 v10, 2, v1 :: v_dual_bitop2_b32 v14, 3, v0 bitop3:0x40
	v_mov_b32_e32 v11, v5
	s_wait_kmcnt 0x0
	v_mul_u64_e32 v[8:9], s[14:15], v[8:9]
	s_clause 0x1
	s_load_b32 s33, s[0:1], 0x50
	s_load_b96 s[28:30], s[0:1], 0x10
	v_mul_u64_e32 v[12:13], s[6:7], v[6:7]
	v_lshlrev_b32_e32 v15, 1, v14
	v_mad_nc_u64_u32 v[18:19], s24, v14, v[10:11]
	v_lshrrev_b32_e32 v11, 6, v1
	v_lshl_add_u32 v17, v4, 3, 0x200
	v_lshlrev_b32_e32 v16, 1, v2
	v_mul_u64_e32 v[0:1], s[20:21], v[6:7]
	v_lshlrev_b32_e32 v6, 1, v3
	v_lshl_or_b32 v7, v10, 3, v15
	v_mov_b32_e32 v3, v5
	v_mad_u32 v19, s25, v14, v19
	v_lshlrev_b32_e32 v4, 1, v11
	v_lshl_or_b32 v14, v11, 7, v6
	v_add_nc_u32_e32 v15, 0x200, v7
	v_add_nc_u64_e32 v[10:11], s[36:37], v[2:3]
	s_wait_kmcnt 0x0
	s_cmp_eq_f16 s33, 0
	v_cmp_gt_i64_e64 s0, s[28:29], 0
	s_cselect_b32 s1, -1, 0
	s_lshl_b64 s[14:15], s[20:21], 4
	v_add_nc_u64_e32 v[6:7], s[34:35], v[18:19]
	s_lshl_b64 s[20:21], s[6:7], 4
	s_lshl_b64 s[6:7], s[24:25], 3
	;; [unrolled: 1-line block ×3, first 2 shown]
	v_lshl_add_u64 v[8:9], v[8:9], 1, v[4:5]
	s_delay_alu instid0(VALU_DEP_2) | instskip(SKIP_2) | instid1(VALU_DEP_4)
	v_lshl_add_u64 v[4:5], v[6:7], 1, s[18:19]
	v_lshl_add_u64 v[2:3], v[12:13], 1, s[4:5]
	v_cndmask_b32_e64 v12, 0, 1, s0
	v_add_nc_u64_e32 v[6:7], s[12:13], v[8:9]
	v_lshlrev_b64_e32 v[8:9], 1, v[10:11]
	s_lshl_b64 s[4:5], s[26:27], 1
	s_lshl_b64 s[12:13], s[16:17], 1
	v_cmp_ne_u32_e64 s0, 1, v12
	s_lshl_b64 s[16:17], s[20:21], 1
	s_branch .LBB339_3
.LBB339_2:                              ;   in Loop: Header=BB339_3 Depth=1
	s_add_co_i32 s2, s2, 0x10000
	s_delay_alu instid0(SALU_CYCLE_1)
	s_cmp_lt_i32 s2, s31
	s_cbranch_scc0 .LBB339_11
.LBB339_3:                              ; =>This Loop Header: Depth=1
                                        ;     Child Loop BB339_5 Depth 2
	s_and_b32 vcc_lo, exec_lo, s0
	s_cbranch_vccnz .LBB339_6
; %bb.4:                                ;   in Loop: Header=BB339_3 Depth=1
	s_wait_xcnt 0x0
	v_mad_nc_u64_u32 v[10:11], s4, s2, v[4:5]
	v_mad_nc_u64_u32 v[12:13], s12, s2, v[6:7]
	v_dual_mov_b32 v18, 0 :: v_dual_mov_b32 v19, 0
	v_dual_mov_b32 v20, 0 :: v_dual_mov_b32 v21, 0
	;; [unrolled: 1-line block ×4, first 2 shown]
	s_mov_b64 s[18:19], 0
	v_mad_u32 v11, s5, s2, v11
	v_mad_u32 v13, s13, s2, v13
.LBB339_5:                              ;   Parent Loop BB339_3 Depth=1
                                        ; =>  This Inner Loop Header: Depth=2
	global_load_u16 v26, v[12:13], off
	global_load_u16 v27, v[10:11], off
	s_add_nc_u64 s[18:19], s[18:19], 4
	s_wait_xcnt 0x0
	v_add_nc_u64_e32 v[10:11], s[6:7], v[10:11]
	v_cmp_lt_i64_e64 s20, s[18:19], s[28:29]
	v_add_nc_u64_e32 v[12:13], 8, v[12:13]
	s_wait_loadcnt 0x1
	ds_store_b16 v14, v26
	s_wait_loadcnt 0x0
	ds_store_b16 v15, v27
	s_wait_dscnt 0x0
	s_barrier_signal -1
	s_barrier_wait -1
	ds_load_u16 v34, v16
	ds_load_u16 v35, v16 offset:32
	ds_load_u16 v36, v16 offset:64
	;; [unrolled: 1-line block ×15, first 2 shown]
	ds_load_2addr_b64 v[26:29], v17 offset1:16
	ds_load_2addr_b64 v[30:33], v17 offset0:32 offset1:48
	s_and_b32 vcc_lo, exec_lo, s20
	s_wait_dscnt 0x0
	s_barrier_signal -1
	v_perm_b32 v34, v34, v35, 0x5040100
	s_barrier_wait -1
	v_perm_b32 v36, v36, v37, 0x5040100
	v_perm_b32 v35, v38, v39, 0x5040100
	;; [unrolled: 1-line block ×7, first 2 shown]
	v_pk_fma_f16 v25, v34, v26, v25 op_sel_hi:[1,0,1]
	v_pk_fma_f16 v24, v36, v26, v24 op_sel_hi:[1,0,1]
	v_pk_fma_f16 v23, v34, v28, v23 op_sel_hi:[1,0,1]
	v_pk_fma_f16 v22, v36, v28, v22 op_sel_hi:[1,0,1]
	v_pk_fma_f16 v21, v34, v30, v21 op_sel_hi:[1,0,1]
	v_pk_fma_f16 v20, v36, v30, v20 op_sel_hi:[1,0,1]
	v_pk_fma_f16 v19, v34, v32, v19 op_sel_hi:[1,0,1]
	v_pk_fma_f16 v18, v36, v32, v18 op_sel_hi:[1,0,1]
	v_pk_fma_f16 v25, v35, v26, v25 op_sel:[0,1,0]
	v_pk_fma_f16 v24, v37, v26, v24 op_sel:[0,1,0]
	;; [unrolled: 1-line block ×8, first 2 shown]
	v_pk_fma_f16 v25, v38, v27, v25 op_sel_hi:[1,0,1]
	v_pk_fma_f16 v24, v40, v27, v24 op_sel_hi:[1,0,1]
	;; [unrolled: 1-line block ×8, first 2 shown]
	v_pk_fma_f16 v25, v39, v27, v25 op_sel:[0,1,0]
	v_pk_fma_f16 v24, v41, v27, v24 op_sel:[0,1,0]
	;; [unrolled: 1-line block ×8, first 2 shown]
	s_cbranch_vccnz .LBB339_5
	s_branch .LBB339_7
.LBB339_6:                              ;   in Loop: Header=BB339_3 Depth=1
	v_dual_mov_b32 v25, 0 :: v_dual_mov_b32 v24, 0
	s_wait_xcnt 0x1
	v_dual_mov_b32 v23, 0 :: v_dual_mov_b32 v22, 0
	v_dual_mov_b32 v21, 0 :: v_dual_mov_b32 v20, 0
	;; [unrolled: 1-line block ×3, first 2 shown]
.LBB339_7:                              ;   in Loop: Header=BB339_3 Depth=1
	s_mul_u64 s[18:19], s[22:23], s[2:3]
	v_dual_lshrrev_b32 v33, 16, v25 :: v_dual_lshrrev_b32 v32, 16, v24
	s_lshl_b64 s[18:19], s[18:19], 1
	v_dual_lshrrev_b32 v31, 16, v23 :: v_dual_lshrrev_b32 v30, 16, v22
	s_add_nc_u64 s[18:19], s[10:11], s[18:19]
	v_dual_lshrrev_b32 v29, 16, v21 :: v_dual_lshrrev_b32 v28, 16, v20
	s_wait_xcnt 0x0
	v_lshl_add_u64 v[10:11], v[0:1], 1, s[18:19]
	v_dual_lshrrev_b32 v27, 16, v19 :: v_dual_lshrrev_b32 v26, 16, v18
	s_and_not1_b32 vcc_lo, exec_lo, s1
	s_delay_alu instid0(VALU_DEP_2)
	v_add_nc_u64_e32 v[12:13], v[10:11], v[8:9]
	v_add_nc_u64_e32 v[10:11], s[14:15], v[10:11]
	s_cbranch_vccnz .LBB339_9
; %bb.8:                                ;   in Loop: Header=BB339_3 Depth=1
	v_mul_f16_e32 v36, s30, v33
	v_mul_f16_e32 v37, s30, v25
	s_delay_alu instid0(VALU_DEP_3)
	v_add_nc_u64_e32 v[34:35], s[14:15], v[10:11]
	v_mul_f16_e32 v38, s30, v32
	v_mul_f16_e32 v39, s30, v24
	s_clause 0x3
	global_store_b16 v[12:13], v36, off
	global_store_b16 v[12:13], v37, off offset:32
	global_store_b16 v[12:13], v38, off offset:64
	global_store_b16 v[12:13], v39, off offset:96
	s_wait_xcnt 0x2
	v_add_nc_u64_e32 v[36:37], v[10:11], v[8:9]
	v_mul_f16_e32 v40, s30, v31
	v_mul_f16_e32 v41, s30, v23
	s_wait_xcnt 0x0
	v_add_nc_u64_e32 v[38:39], v[34:35], v[8:9]
	v_add_nc_u64_e32 v[34:35], s[14:15], v[34:35]
	v_mul_f16_e32 v42, s30, v30
	v_mul_f16_e32 v43, s30, v22
	s_clause 0x3
	global_store_b16 v[36:37], v40, off
	global_store_b16 v[36:37], v41, off offset:32
	global_store_b16 v[36:37], v42, off offset:64
	;; [unrolled: 1-line block ×3, first 2 shown]
	s_wait_xcnt 0x0
	v_mul_f16_e32 v36, s30, v29
	v_mul_f16_e32 v37, s30, v21
	;; [unrolled: 1-line block ×4, first 2 shown]
	v_add_nc_u64_e32 v[34:35], v[34:35], v[8:9]
	s_clause 0x3
	global_store_b16 v[38:39], v36, off
	global_store_b16 v[38:39], v37, off offset:32
	global_store_b16 v[38:39], v40, off offset:64
	;; [unrolled: 1-line block ×3, first 2 shown]
	s_wait_xcnt 0x3
	v_mul_f16_e32 v36, s30, v27
	s_wait_xcnt 0x2
	v_mul_f16_e32 v37, s30, v19
	;; [unrolled: 2-line block ×3, first 2 shown]
	v_mul_f16_e32 v39, s30, v18
	s_clause 0x3
	global_store_b16 v[34:35], v36, off
	global_store_b16 v[34:35], v37, off offset:32
	global_store_b16 v[34:35], v38, off offset:64
	;; [unrolled: 1-line block ×3, first 2 shown]
	s_cbranch_execnz .LBB339_2
	s_branch .LBB339_10
.LBB339_9:                              ;   in Loop: Header=BB339_3 Depth=1
.LBB339_10:                             ;   in Loop: Header=BB339_3 Depth=1
	s_mul_u64 s[18:19], s[8:9], s[2:3]
	s_wait_xcnt 0x0
	v_lshl_add_u64 v[34:35], s[18:19], 1, v[2:3]
	s_delay_alu instid0(VALU_DEP_1) | instskip(SKIP_3) | instid1(VALU_DEP_1)
	v_add_nc_u64_e32 v[36:37], v[34:35], v[8:9]
	global_load_u16 v38, v[36:37], off
	s_wait_loadcnt 0x0
	v_mul_f16_e32 v38, s33, v38
	v_fmac_f16_e32 v38, s30, v33
	global_store_b16 v[12:13], v38, off
	global_load_u16 v33, v[36:37], off offset:32
	s_wait_loadcnt 0x0
	v_mul_f16_e32 v33, s33, v33
	s_delay_alu instid0(VALU_DEP_1) | instskip(SKIP_4) | instid1(VALU_DEP_1)
	v_fmac_f16_e32 v33, s30, v25
	global_store_b16 v[12:13], v33, off offset:32
	global_load_u16 v25, v[36:37], off offset:64
	s_wait_loadcnt 0x0
	v_mul_f16_e32 v25, s33, v25
	v_fmac_f16_e32 v25, s30, v32
	s_wait_xcnt 0x1
	v_add_nc_u64_e32 v[32:33], s[16:17], v[34:35]
	global_store_b16 v[12:13], v25, off offset:64
	global_load_u16 v25, v[36:37], off offset:96
	v_add_nc_u64_e32 v[34:35], v[32:33], v[8:9]
	s_wait_loadcnt 0x0
	v_mul_f16_e32 v25, s33, v25
	s_delay_alu instid0(VALU_DEP_1)
	v_fmac_f16_e32 v25, s30, v24
	global_store_b16 v[12:13], v25, off offset:96
	global_load_u16 v12, v[34:35], off
	s_wait_loadcnt 0x0
	v_mul_f16_e32 v24, s33, v12
	v_add_nc_u64_e32 v[12:13], v[10:11], v[8:9]
	v_add_nc_u64_e32 v[10:11], s[14:15], v[10:11]
	s_delay_alu instid0(VALU_DEP_3) | instskip(SKIP_4) | instid1(VALU_DEP_1)
	v_fmac_f16_e32 v24, s30, v31
	global_store_b16 v[12:13], v24, off
	global_load_u16 v24, v[34:35], off offset:32
	s_wait_loadcnt 0x0
	v_mul_f16_e32 v24, s33, v24
	v_fmac_f16_e32 v24, s30, v23
	global_store_b16 v[12:13], v24, off offset:32
	global_load_u16 v23, v[34:35], off offset:64
	s_wait_xcnt 0x1
	v_add_nc_u64_e32 v[24:25], s[16:17], v[32:33]
	s_wait_loadcnt 0x0
	v_mul_f16_e32 v23, s33, v23
	s_delay_alu instid0(VALU_DEP_1) | instskip(NEXT) | instid1(VALU_DEP_3)
	v_fmac_f16_e32 v23, s30, v30
	v_add_nc_u64_e32 v[30:31], v[24:25], v[8:9]
	global_store_b16 v[12:13], v23, off offset:64
	global_load_u16 v23, v[34:35], off offset:96
	s_wait_loadcnt 0x0
	v_mul_f16_e32 v23, s33, v23
	s_delay_alu instid0(VALU_DEP_1)
	v_fmac_f16_e32 v23, s30, v22
	global_store_b16 v[12:13], v23, off offset:96
	global_load_u16 v12, v[30:31], off
	s_wait_loadcnt 0x0
	v_mul_f16_e32 v22, s33, v12
	v_add_nc_u64_e32 v[12:13], v[10:11], v[8:9]
	v_add_nc_u64_e32 v[10:11], s[14:15], v[10:11]
	s_delay_alu instid0(VALU_DEP_3) | instskip(NEXT) | instid1(VALU_DEP_2)
	v_fmac_f16_e32 v22, s30, v29
	v_add_nc_u64_e32 v[10:11], v[10:11], v[8:9]
	global_store_b16 v[12:13], v22, off
	global_load_u16 v22, v[30:31], off offset:32
	s_wait_loadcnt 0x0
	v_mul_f16_e32 v22, s33, v22
	s_delay_alu instid0(VALU_DEP_1) | instskip(SKIP_4) | instid1(VALU_DEP_1)
	v_fmac_f16_e32 v22, s30, v21
	global_store_b16 v[12:13], v22, off offset:32
	global_load_u16 v21, v[30:31], off offset:64
	s_wait_xcnt 0x1
	v_add_nc_u64_e32 v[22:23], s[16:17], v[24:25]
	v_add_nc_u64_e32 v[22:23], v[22:23], v[8:9]
	s_wait_loadcnt 0x0
	v_mul_f16_e32 v21, s33, v21
	s_delay_alu instid0(VALU_DEP_1) | instskip(SKIP_4) | instid1(VALU_DEP_1)
	v_fmac_f16_e32 v21, s30, v28
	global_store_b16 v[12:13], v21, off offset:64
	global_load_u16 v21, v[30:31], off offset:96
	s_wait_loadcnt 0x0
	v_mul_f16_e32 v21, s33, v21
	v_fmac_f16_e32 v21, s30, v20
	global_store_b16 v[12:13], v21, off offset:96
	global_load_u16 v12, v[22:23], off
	s_wait_loadcnt 0x0
	v_mul_f16_e32 v12, s33, v12
	s_delay_alu instid0(VALU_DEP_1) | instskip(SKIP_4) | instid1(VALU_DEP_1)
	v_fmac_f16_e32 v12, s30, v27
	global_store_b16 v[10:11], v12, off
	global_load_u16 v12, v[22:23], off offset:32
	s_wait_loadcnt 0x0
	v_mul_f16_e32 v12, s33, v12
	v_fmac_f16_e32 v12, s30, v19
	global_store_b16 v[10:11], v12, off offset:32
	global_load_u16 v12, v[22:23], off offset:64
	s_wait_loadcnt 0x0
	v_mul_f16_e32 v12, s33, v12
	s_delay_alu instid0(VALU_DEP_1) | instskip(SKIP_4) | instid1(VALU_DEP_1)
	v_fmac_f16_e32 v12, s30, v26
	global_store_b16 v[10:11], v12, off offset:64
	global_load_u16 v12, v[22:23], off offset:96
	s_wait_loadcnt 0x0
	v_mul_f16_e32 v12, s33, v12
	v_fmac_f16_e32 v12, s30, v18
	global_store_b16 v[10:11], v12, off offset:96
	s_branch .LBB339_2
.LBB339_11:
	s_endpgm
	.section	.rodata,"a",@progbits
	.p2align	6, 0x0
	.amdhsa_kernel _ZN12_GLOBAL__N_127rocblas_gemm_batched_kernelIDF16_Li16ELi16ELi64ELi64ELi4ELi64ELi4ELi4ELi64ELc67ELc67EKDF16_S1_DF16_EEvlllT_PT11_llS4_llS2_PT12_llPT13_lli
		.amdhsa_group_segment_fixed_size 1024
		.amdhsa_private_segment_fixed_size 0
		.amdhsa_kernarg_size 140
		.amdhsa_user_sgpr_count 2
		.amdhsa_user_sgpr_dispatch_ptr 0
		.amdhsa_user_sgpr_queue_ptr 0
		.amdhsa_user_sgpr_kernarg_segment_ptr 1
		.amdhsa_user_sgpr_dispatch_id 0
		.amdhsa_user_sgpr_kernarg_preload_length 0
		.amdhsa_user_sgpr_kernarg_preload_offset 0
		.amdhsa_user_sgpr_private_segment_size 0
		.amdhsa_wavefront_size32 1
		.amdhsa_uses_dynamic_stack 0
		.amdhsa_enable_private_segment 0
		.amdhsa_system_sgpr_workgroup_id_x 1
		.amdhsa_system_sgpr_workgroup_id_y 1
		.amdhsa_system_sgpr_workgroup_id_z 1
		.amdhsa_system_sgpr_workgroup_info 0
		.amdhsa_system_vgpr_workitem_id 1
		.amdhsa_next_free_vgpr 50
		.amdhsa_next_free_sgpr 38
		.amdhsa_named_barrier_count 0
		.amdhsa_reserve_vcc 1
		.amdhsa_float_round_mode_32 0
		.amdhsa_float_round_mode_16_64 0
		.amdhsa_float_denorm_mode_32 3
		.amdhsa_float_denorm_mode_16_64 3
		.amdhsa_fp16_overflow 0
		.amdhsa_memory_ordered 1
		.amdhsa_forward_progress 1
		.amdhsa_inst_pref_size 19
		.amdhsa_round_robin_scheduling 0
		.amdhsa_exception_fp_ieee_invalid_op 0
		.amdhsa_exception_fp_denorm_src 0
		.amdhsa_exception_fp_ieee_div_zero 0
		.amdhsa_exception_fp_ieee_overflow 0
		.amdhsa_exception_fp_ieee_underflow 0
		.amdhsa_exception_fp_ieee_inexact 0
		.amdhsa_exception_int_div_zero 0
	.end_amdhsa_kernel
	.section	.text._ZN12_GLOBAL__N_127rocblas_gemm_batched_kernelIDF16_Li16ELi16ELi64ELi64ELi4ELi64ELi4ELi4ELi64ELc67ELc67EKDF16_S1_DF16_EEvlllT_PT11_llS4_llS2_PT12_llPT13_lli,"axG",@progbits,_ZN12_GLOBAL__N_127rocblas_gemm_batched_kernelIDF16_Li16ELi16ELi64ELi64ELi4ELi64ELi4ELi4ELi64ELc67ELc67EKDF16_S1_DF16_EEvlllT_PT11_llS4_llS2_PT12_llPT13_lli,comdat
.Lfunc_end339:
	.size	_ZN12_GLOBAL__N_127rocblas_gemm_batched_kernelIDF16_Li16ELi16ELi64ELi64ELi4ELi64ELi4ELi4ELi64ELc67ELc67EKDF16_S1_DF16_EEvlllT_PT11_llS4_llS2_PT12_llPT13_lli, .Lfunc_end339-_ZN12_GLOBAL__N_127rocblas_gemm_batched_kernelIDF16_Li16ELi16ELi64ELi64ELi4ELi64ELi4ELi4ELi64ELc67ELc67EKDF16_S1_DF16_EEvlllT_PT11_llS4_llS2_PT12_llPT13_lli
                                        ; -- End function
	.set _ZN12_GLOBAL__N_127rocblas_gemm_batched_kernelIDF16_Li16ELi16ELi64ELi64ELi4ELi64ELi4ELi4ELi64ELc67ELc67EKDF16_S1_DF16_EEvlllT_PT11_llS4_llS2_PT12_llPT13_lli.num_vgpr, 50
	.set _ZN12_GLOBAL__N_127rocblas_gemm_batched_kernelIDF16_Li16ELi16ELi64ELi64ELi4ELi64ELi4ELi4ELi64ELc67ELc67EKDF16_S1_DF16_EEvlllT_PT11_llS4_llS2_PT12_llPT13_lli.num_agpr, 0
	.set _ZN12_GLOBAL__N_127rocblas_gemm_batched_kernelIDF16_Li16ELi16ELi64ELi64ELi4ELi64ELi4ELi4ELi64ELc67ELc67EKDF16_S1_DF16_EEvlllT_PT11_llS4_llS2_PT12_llPT13_lli.numbered_sgpr, 38
	.set _ZN12_GLOBAL__N_127rocblas_gemm_batched_kernelIDF16_Li16ELi16ELi64ELi64ELi4ELi64ELi4ELi4ELi64ELc67ELc67EKDF16_S1_DF16_EEvlllT_PT11_llS4_llS2_PT12_llPT13_lli.num_named_barrier, 0
	.set _ZN12_GLOBAL__N_127rocblas_gemm_batched_kernelIDF16_Li16ELi16ELi64ELi64ELi4ELi64ELi4ELi4ELi64ELc67ELc67EKDF16_S1_DF16_EEvlllT_PT11_llS4_llS2_PT12_llPT13_lli.private_seg_size, 0
	.set _ZN12_GLOBAL__N_127rocblas_gemm_batched_kernelIDF16_Li16ELi16ELi64ELi64ELi4ELi64ELi4ELi4ELi64ELc67ELc67EKDF16_S1_DF16_EEvlllT_PT11_llS4_llS2_PT12_llPT13_lli.uses_vcc, 1
	.set _ZN12_GLOBAL__N_127rocblas_gemm_batched_kernelIDF16_Li16ELi16ELi64ELi64ELi4ELi64ELi4ELi4ELi64ELc67ELc67EKDF16_S1_DF16_EEvlllT_PT11_llS4_llS2_PT12_llPT13_lli.uses_flat_scratch, 0
	.set _ZN12_GLOBAL__N_127rocblas_gemm_batched_kernelIDF16_Li16ELi16ELi64ELi64ELi4ELi64ELi4ELi4ELi64ELc67ELc67EKDF16_S1_DF16_EEvlllT_PT11_llS4_llS2_PT12_llPT13_lli.has_dyn_sized_stack, 0
	.set _ZN12_GLOBAL__N_127rocblas_gemm_batched_kernelIDF16_Li16ELi16ELi64ELi64ELi4ELi64ELi4ELi4ELi64ELc67ELc67EKDF16_S1_DF16_EEvlllT_PT11_llS4_llS2_PT12_llPT13_lli.has_recursion, 0
	.set _ZN12_GLOBAL__N_127rocblas_gemm_batched_kernelIDF16_Li16ELi16ELi64ELi64ELi4ELi64ELi4ELi4ELi64ELc67ELc67EKDF16_S1_DF16_EEvlllT_PT11_llS4_llS2_PT12_llPT13_lli.has_indirect_call, 0
	.section	.AMDGPU.csdata,"",@progbits
; Kernel info:
; codeLenInByte = 2352
; TotalNumSgprs: 40
; NumVgprs: 50
; ScratchSize: 0
; MemoryBound: 0
; FloatMode: 240
; IeeeMode: 1
; LDSByteSize: 1024 bytes/workgroup (compile time only)
; SGPRBlocks: 0
; VGPRBlocks: 3
; NumSGPRsForWavesPerEU: 40
; NumVGPRsForWavesPerEU: 50
; NamedBarCnt: 0
; Occupancy: 16
; WaveLimiterHint : 0
; COMPUTE_PGM_RSRC2:SCRATCH_EN: 0
; COMPUTE_PGM_RSRC2:USER_SGPR: 2
; COMPUTE_PGM_RSRC2:TRAP_HANDLER: 0
; COMPUTE_PGM_RSRC2:TGID_X_EN: 1
; COMPUTE_PGM_RSRC2:TGID_Y_EN: 1
; COMPUTE_PGM_RSRC2:TGID_Z_EN: 1
; COMPUTE_PGM_RSRC2:TIDIG_COMP_CNT: 1
	.section	.text._ZN12_GLOBAL__N_127rocblas_gemm_batched_kernelIDF16_Li16ELi16ELi64ELi64ELi4ELi64ELi4ELi4ELi64ELc67ELc78EKDF16_S1_DF16_EEvlllT_PT11_llS4_llS2_PT12_llPT13_lli,"axG",@progbits,_ZN12_GLOBAL__N_127rocblas_gemm_batched_kernelIDF16_Li16ELi16ELi64ELi64ELi4ELi64ELi4ELi4ELi64ELc67ELc78EKDF16_S1_DF16_EEvlllT_PT11_llS4_llS2_PT12_llPT13_lli,comdat
	.globl	_ZN12_GLOBAL__N_127rocblas_gemm_batched_kernelIDF16_Li16ELi16ELi64ELi64ELi4ELi64ELi4ELi4ELi64ELc67ELc78EKDF16_S1_DF16_EEvlllT_PT11_llS4_llS2_PT12_llPT13_lli ; -- Begin function _ZN12_GLOBAL__N_127rocblas_gemm_batched_kernelIDF16_Li16ELi16ELi64ELi64ELi4ELi64ELi4ELi4ELi64ELc67ELc78EKDF16_S1_DF16_EEvlllT_PT11_llS4_llS2_PT12_llPT13_lli
	.p2align	8
	.type	_ZN12_GLOBAL__N_127rocblas_gemm_batched_kernelIDF16_Li16ELi16ELi64ELi64ELi4ELi64ELi4ELi4ELi64ELc67ELc78EKDF16_S1_DF16_EEvlllT_PT11_llS4_llS2_PT12_llPT13_lli,@function
_ZN12_GLOBAL__N_127rocblas_gemm_batched_kernelIDF16_Li16ELi16ELi64ELi64ELi4ELi64ELi4ELi4ELi64ELc67ELc78EKDF16_S1_DF16_EEvlllT_PT11_llS4_llS2_PT12_llPT13_lli: ; @_ZN12_GLOBAL__N_127rocblas_gemm_batched_kernelIDF16_Li16ELi16ELi64ELi64ELi4ELi64ELi4ELi4ELi64ELc67ELc78EKDF16_S1_DF16_EEvlllT_PT11_llS4_llS2_PT12_llPT13_lli
; %bb.0:
	s_load_b32 s31, s[0:1], 0x88
	s_bfe_u32 s2, ttmp6, 0x40014
	s_lshr_b32 s3, ttmp7, 16
	s_add_co_i32 s2, s2, 1
	s_bfe_u32 s4, ttmp6, 0x40008
	s_mul_i32 s2, s3, s2
	s_getreg_b32 s28, hwreg(HW_REG_IB_STS2, 6, 4)
	s_add_co_i32 s4, s4, s2
	s_cmp_eq_u32 s28, 0
	s_cselect_b32 s2, s3, s4
	s_mov_b32 s3, 0
	s_wait_kmcnt 0x0
	s_cmp_ge_i32 s2, s31
	s_cbranch_scc1 .LBB340_11
; %bb.1:
	v_bfe_u32 v2, v0, 10, 10
	v_and_b32_e32 v4, 0x3ff, v0
	s_clause 0x1
	s_load_b256 s[12:19], s[0:1], 0x20
	s_load_b128 s[24:27], s[0:1], 0x40
	s_bfe_u32 s29, ttmp6, 0x4000c
	s_bfe_u32 s33, ttmp6, 0x40010
	s_add_co_i32 s29, s29, 1
	s_and_b32 s34, ttmp7, 0xffff
	s_add_co_i32 s33, s33, 1
	v_lshl_add_u32 v5, v2, 4, v4
	v_mov_b32_e32 v3, 0
	s_and_b32 s30, ttmp6, 15
	s_mul_i32 s29, ttmp9, s29
	s_mul_i32 s33, s34, s33
	s_bfe_u32 s35, ttmp6, 0x40004
	s_add_co_i32 s30, s30, s29
	s_add_co_i32 s35, s35, s33
	s_clause 0x1
	s_load_b128 s[20:23], s[0:1], 0x78
	s_load_b256 s[4:11], s[0:1], 0x58
	s_cmp_eq_u32 s28, 0
	v_dual_lshrrev_b32 v6, 2, v5 :: v_dual_bitop2_b32 v14, 63, v5 bitop3:0x40
	v_mov_b32_e32 v7, v3
	s_cselect_b32 s28, ttmp9, s30
	s_cselect_b32 s30, s34, s35
	s_ashr_i32 s29, s28, 31
	s_lshl_b32 s34, s30, 6
	s_mov_b32 s35, s3
	s_lshl_b64 s[36:37], s[28:29], 6
	v_add_nc_u64_e32 v[8:9], s[34:35], v[6:7]
	v_dual_mov_b32 v13, s37 :: v_dual_bitop2_b32 v12, s36, v14 bitop3:0x54
	v_add_nc_u64_e32 v[10:11], s[34:35], v[2:3]
	s_clause 0x1
	s_load_b32 s33, s[0:1], 0x50
	s_load_b96 s[28:30], s[0:1], 0x10
	v_dual_lshlrev_b32 v0, 1, v0 :: v_dual_lshrrev_b32 v7, 6, v5
	s_wait_kmcnt 0x0
	v_mul_u64_e32 v[8:9], s[24:25], v[8:9]
	v_mul_u64_e32 v[12:13], s[14:15], v[12:13]
	v_mul_u64_e32 v[18:19], s[6:7], v[10:11]
	v_and_b32_e32 v20, 6, v0
	v_mul_u64_e32 v[0:1], s[20:21], v[10:11]
	v_dual_mov_b32 v5, v3 :: v_dual_lshlrev_b32 v10, 1, v14
	v_lshlrev_b32_e32 v16, 1, v4
	s_delay_alu instid0(VALU_DEP_4)
	v_lshl_or_b32 v6, v6, 3, v20
	v_lshl_add_u32 v17, v2, 3, 0x200
	v_dual_mov_b32 v21, v3 :: v_dual_lshlrev_b32 v2, 1, v7
	v_lshl_or_b32 v14, v7, 7, v10
	v_add_nc_u64_e32 v[10:11], s[36:37], v[4:5]
	v_add_nc_u32_e32 v15, 0x200, v6
	s_cmp_eq_f16 s33, 0
	v_cmp_gt_i64_e64 s0, s[28:29], 0
	s_cselect_b32 s1, -1, 0
	s_lshl_b64 s[14:15], s[20:21], 4
	s_lshl_b64 s[20:21], s[6:7], 4
	;; [unrolled: 1-line block ×3, first 2 shown]
	v_lshl_add_u64 v[4:5], v[8:9], 1, v[20:21]
	v_lshl_add_u64 v[6:7], v[12:13], 1, v[2:3]
	v_cndmask_b32_e64 v12, 0, 1, s0
	v_lshlrev_b64_e32 v[8:9], 1, v[10:11]
	v_lshl_add_u64 v[2:3], v[18:19], 1, s[4:5]
	v_add_nc_u64_e32 v[4:5], s[18:19], v[4:5]
	v_add_nc_u64_e32 v[6:7], s[12:13], v[6:7]
	v_cmp_ne_u32_e64 s0, 1, v12
	s_lshl_b64 s[4:5], s[26:27], 1
	s_lshl_b64 s[12:13], s[14:15], 1
	;; [unrolled: 1-line block ×3, first 2 shown]
	s_branch .LBB340_3
.LBB340_2:                              ;   in Loop: Header=BB340_3 Depth=1
	s_add_co_i32 s2, s2, 0x10000
	s_delay_alu instid0(SALU_CYCLE_1)
	s_cmp_lt_i32 s2, s31
	s_cbranch_scc0 .LBB340_11
.LBB340_3:                              ; =>This Loop Header: Depth=1
                                        ;     Child Loop BB340_5 Depth 2
	s_and_b32 vcc_lo, exec_lo, s0
	s_cbranch_vccnz .LBB340_6
; %bb.4:                                ;   in Loop: Header=BB340_3 Depth=1
	s_wait_xcnt 0x0
	v_mad_nc_u64_u32 v[10:11], s4, s2, v[4:5]
	v_mad_nc_u64_u32 v[12:13], s6, s2, v[6:7]
	v_dual_mov_b32 v18, 0 :: v_dual_mov_b32 v19, 0
	v_dual_mov_b32 v20, 0 :: v_dual_mov_b32 v21, 0
	;; [unrolled: 1-line block ×4, first 2 shown]
	s_mov_b64 s[16:17], 0
	v_mad_u32 v11, s5, s2, v11
	v_mad_u32 v13, s7, s2, v13
.LBB340_5:                              ;   Parent Loop BB340_3 Depth=1
                                        ; =>  This Inner Loop Header: Depth=2
	global_load_u16 v26, v[12:13], off
	global_load_u16 v27, v[10:11], off
	s_add_nc_u64 s[16:17], s[16:17], 4
	s_wait_xcnt 0x0
	v_add_nc_u64_e32 v[10:11], 8, v[10:11]
	v_cmp_lt_i64_e64 s18, s[16:17], s[28:29]
	v_add_nc_u64_e32 v[12:13], 8, v[12:13]
	s_wait_loadcnt 0x1
	ds_store_b16 v14, v26
	s_wait_loadcnt 0x0
	ds_store_b16 v15, v27
	s_wait_dscnt 0x0
	s_barrier_signal -1
	s_barrier_wait -1
	ds_load_u16 v34, v16
	ds_load_u16 v35, v16 offset:32
	ds_load_u16 v36, v16 offset:64
	;; [unrolled: 1-line block ×15, first 2 shown]
	ds_load_2addr_b64 v[26:29], v17 offset1:16
	ds_load_2addr_b64 v[30:33], v17 offset0:32 offset1:48
	s_and_b32 vcc_lo, exec_lo, s18
	s_wait_dscnt 0x0
	s_barrier_signal -1
	v_perm_b32 v34, v34, v35, 0x5040100
	s_barrier_wait -1
	v_perm_b32 v36, v36, v37, 0x5040100
	v_perm_b32 v35, v38, v39, 0x5040100
	v_perm_b32 v37, v40, v41, 0x5040100
	v_perm_b32 v38, v42, v43, 0x5040100
	v_perm_b32 v39, v44, v45, 0x5040100
	v_perm_b32 v40, v46, v47, 0x5040100
	v_perm_b32 v41, v48, v49, 0x5040100
	v_pk_fma_f16 v25, v34, v26, v25 op_sel_hi:[1,0,1]
	v_pk_fma_f16 v24, v36, v26, v24 op_sel_hi:[1,0,1]
	;; [unrolled: 1-line block ×8, first 2 shown]
	v_pk_fma_f16 v25, v35, v26, v25 op_sel:[0,1,0]
	v_pk_fma_f16 v24, v37, v26, v24 op_sel:[0,1,0]
	;; [unrolled: 1-line block ×8, first 2 shown]
	v_pk_fma_f16 v25, v38, v27, v25 op_sel_hi:[1,0,1]
	v_pk_fma_f16 v24, v40, v27, v24 op_sel_hi:[1,0,1]
	;; [unrolled: 1-line block ×8, first 2 shown]
	v_pk_fma_f16 v25, v39, v27, v25 op_sel:[0,1,0]
	v_pk_fma_f16 v24, v41, v27, v24 op_sel:[0,1,0]
	v_pk_fma_f16 v23, v39, v29, v23 op_sel:[0,1,0]
	v_pk_fma_f16 v22, v41, v29, v22 op_sel:[0,1,0]
	v_pk_fma_f16 v21, v39, v31, v21 op_sel:[0,1,0]
	v_pk_fma_f16 v20, v41, v31, v20 op_sel:[0,1,0]
	v_pk_fma_f16 v19, v39, v33, v19 op_sel:[0,1,0]
	v_pk_fma_f16 v18, v41, v33, v18 op_sel:[0,1,0]
	s_cbranch_vccnz .LBB340_5
	s_branch .LBB340_7
.LBB340_6:                              ;   in Loop: Header=BB340_3 Depth=1
	v_dual_mov_b32 v25, 0 :: v_dual_mov_b32 v24, 0
	s_wait_xcnt 0x1
	v_dual_mov_b32 v23, 0 :: v_dual_mov_b32 v22, 0
	v_dual_mov_b32 v21, 0 :: v_dual_mov_b32 v20, 0
	;; [unrolled: 1-line block ×3, first 2 shown]
.LBB340_7:                              ;   in Loop: Header=BB340_3 Depth=1
	s_mul_u64 s[16:17], s[22:23], s[2:3]
	v_dual_lshrrev_b32 v33, 16, v25 :: v_dual_lshrrev_b32 v32, 16, v24
	s_lshl_b64 s[16:17], s[16:17], 1
	v_dual_lshrrev_b32 v31, 16, v23 :: v_dual_lshrrev_b32 v30, 16, v22
	s_add_nc_u64 s[16:17], s[10:11], s[16:17]
	v_dual_lshrrev_b32 v29, 16, v21 :: v_dual_lshrrev_b32 v28, 16, v20
	s_wait_xcnt 0x0
	v_lshl_add_u64 v[10:11], v[0:1], 1, s[16:17]
	v_dual_lshrrev_b32 v27, 16, v19 :: v_dual_lshrrev_b32 v26, 16, v18
	s_and_not1_b32 vcc_lo, exec_lo, s1
	s_delay_alu instid0(VALU_DEP_2)
	v_add_nc_u64_e32 v[12:13], v[10:11], v[8:9]
	v_add_nc_u64_e32 v[10:11], s[12:13], v[10:11]
	s_cbranch_vccnz .LBB340_9
; %bb.8:                                ;   in Loop: Header=BB340_3 Depth=1
	v_mul_f16_e32 v36, s30, v33
	v_mul_f16_e32 v37, s30, v25
	s_delay_alu instid0(VALU_DEP_3)
	v_add_nc_u64_e32 v[34:35], s[12:13], v[10:11]
	v_mul_f16_e32 v38, s30, v32
	v_mul_f16_e32 v39, s30, v24
	s_clause 0x3
	global_store_b16 v[12:13], v36, off
	global_store_b16 v[12:13], v37, off offset:32
	global_store_b16 v[12:13], v38, off offset:64
	;; [unrolled: 1-line block ×3, first 2 shown]
	s_wait_xcnt 0x2
	v_add_nc_u64_e32 v[36:37], v[10:11], v[8:9]
	v_mul_f16_e32 v40, s30, v31
	v_mul_f16_e32 v41, s30, v23
	s_wait_xcnt 0x0
	v_add_nc_u64_e32 v[38:39], v[34:35], v[8:9]
	v_add_nc_u64_e32 v[34:35], s[12:13], v[34:35]
	v_mul_f16_e32 v42, s30, v30
	v_mul_f16_e32 v43, s30, v22
	s_clause 0x3
	global_store_b16 v[36:37], v40, off
	global_store_b16 v[36:37], v41, off offset:32
	global_store_b16 v[36:37], v42, off offset:64
	;; [unrolled: 1-line block ×3, first 2 shown]
	s_wait_xcnt 0x0
	v_mul_f16_e32 v36, s30, v29
	v_mul_f16_e32 v37, s30, v21
	;; [unrolled: 1-line block ×4, first 2 shown]
	v_add_nc_u64_e32 v[34:35], v[34:35], v[8:9]
	s_clause 0x3
	global_store_b16 v[38:39], v36, off
	global_store_b16 v[38:39], v37, off offset:32
	global_store_b16 v[38:39], v40, off offset:64
	global_store_b16 v[38:39], v41, off offset:96
	s_wait_xcnt 0x3
	v_mul_f16_e32 v36, s30, v27
	s_wait_xcnt 0x2
	v_mul_f16_e32 v37, s30, v19
	;; [unrolled: 2-line block ×3, first 2 shown]
	v_mul_f16_e32 v39, s30, v18
	s_clause 0x3
	global_store_b16 v[34:35], v36, off
	global_store_b16 v[34:35], v37, off offset:32
	global_store_b16 v[34:35], v38, off offset:64
	;; [unrolled: 1-line block ×3, first 2 shown]
	s_cbranch_execnz .LBB340_2
	s_branch .LBB340_10
.LBB340_9:                              ;   in Loop: Header=BB340_3 Depth=1
.LBB340_10:                             ;   in Loop: Header=BB340_3 Depth=1
	s_mul_u64 s[16:17], s[8:9], s[2:3]
	s_wait_xcnt 0x0
	v_lshl_add_u64 v[34:35], s[16:17], 1, v[2:3]
	s_delay_alu instid0(VALU_DEP_1) | instskip(SKIP_3) | instid1(VALU_DEP_1)
	v_add_nc_u64_e32 v[36:37], v[34:35], v[8:9]
	global_load_u16 v38, v[36:37], off
	s_wait_loadcnt 0x0
	v_mul_f16_e32 v38, s33, v38
	v_fmac_f16_e32 v38, s30, v33
	global_store_b16 v[12:13], v38, off
	global_load_u16 v33, v[36:37], off offset:32
	s_wait_loadcnt 0x0
	v_mul_f16_e32 v33, s33, v33
	s_delay_alu instid0(VALU_DEP_1) | instskip(SKIP_4) | instid1(VALU_DEP_1)
	v_fmac_f16_e32 v33, s30, v25
	global_store_b16 v[12:13], v33, off offset:32
	global_load_u16 v25, v[36:37], off offset:64
	s_wait_loadcnt 0x0
	v_mul_f16_e32 v25, s33, v25
	v_fmac_f16_e32 v25, s30, v32
	s_wait_xcnt 0x1
	v_add_nc_u64_e32 v[32:33], s[14:15], v[34:35]
	global_store_b16 v[12:13], v25, off offset:64
	global_load_u16 v25, v[36:37], off offset:96
	v_add_nc_u64_e32 v[34:35], v[32:33], v[8:9]
	s_wait_loadcnt 0x0
	v_mul_f16_e32 v25, s33, v25
	s_delay_alu instid0(VALU_DEP_1)
	v_fmac_f16_e32 v25, s30, v24
	global_store_b16 v[12:13], v25, off offset:96
	global_load_u16 v12, v[34:35], off
	s_wait_loadcnt 0x0
	v_mul_f16_e32 v24, s33, v12
	v_add_nc_u64_e32 v[12:13], v[10:11], v[8:9]
	v_add_nc_u64_e32 v[10:11], s[12:13], v[10:11]
	s_delay_alu instid0(VALU_DEP_3) | instskip(SKIP_4) | instid1(VALU_DEP_1)
	v_fmac_f16_e32 v24, s30, v31
	global_store_b16 v[12:13], v24, off
	global_load_u16 v24, v[34:35], off offset:32
	s_wait_loadcnt 0x0
	v_mul_f16_e32 v24, s33, v24
	v_fmac_f16_e32 v24, s30, v23
	global_store_b16 v[12:13], v24, off offset:32
	global_load_u16 v23, v[34:35], off offset:64
	s_wait_xcnt 0x1
	v_add_nc_u64_e32 v[24:25], s[14:15], v[32:33]
	s_wait_loadcnt 0x0
	v_mul_f16_e32 v23, s33, v23
	s_delay_alu instid0(VALU_DEP_1) | instskip(NEXT) | instid1(VALU_DEP_3)
	v_fmac_f16_e32 v23, s30, v30
	v_add_nc_u64_e32 v[30:31], v[24:25], v[8:9]
	global_store_b16 v[12:13], v23, off offset:64
	global_load_u16 v23, v[34:35], off offset:96
	s_wait_loadcnt 0x0
	v_mul_f16_e32 v23, s33, v23
	s_delay_alu instid0(VALU_DEP_1)
	v_fmac_f16_e32 v23, s30, v22
	global_store_b16 v[12:13], v23, off offset:96
	global_load_u16 v12, v[30:31], off
	s_wait_loadcnt 0x0
	v_mul_f16_e32 v22, s33, v12
	v_add_nc_u64_e32 v[12:13], v[10:11], v[8:9]
	v_add_nc_u64_e32 v[10:11], s[12:13], v[10:11]
	s_delay_alu instid0(VALU_DEP_3) | instskip(NEXT) | instid1(VALU_DEP_2)
	v_fmac_f16_e32 v22, s30, v29
	v_add_nc_u64_e32 v[10:11], v[10:11], v[8:9]
	global_store_b16 v[12:13], v22, off
	global_load_u16 v22, v[30:31], off offset:32
	s_wait_loadcnt 0x0
	v_mul_f16_e32 v22, s33, v22
	s_delay_alu instid0(VALU_DEP_1) | instskip(SKIP_4) | instid1(VALU_DEP_1)
	v_fmac_f16_e32 v22, s30, v21
	global_store_b16 v[12:13], v22, off offset:32
	global_load_u16 v21, v[30:31], off offset:64
	s_wait_xcnt 0x1
	v_add_nc_u64_e32 v[22:23], s[14:15], v[24:25]
	v_add_nc_u64_e32 v[22:23], v[22:23], v[8:9]
	s_wait_loadcnt 0x0
	v_mul_f16_e32 v21, s33, v21
	s_delay_alu instid0(VALU_DEP_1) | instskip(SKIP_4) | instid1(VALU_DEP_1)
	v_fmac_f16_e32 v21, s30, v28
	global_store_b16 v[12:13], v21, off offset:64
	global_load_u16 v21, v[30:31], off offset:96
	s_wait_loadcnt 0x0
	v_mul_f16_e32 v21, s33, v21
	v_fmac_f16_e32 v21, s30, v20
	global_store_b16 v[12:13], v21, off offset:96
	global_load_u16 v12, v[22:23], off
	s_wait_loadcnt 0x0
	v_mul_f16_e32 v12, s33, v12
	s_delay_alu instid0(VALU_DEP_1) | instskip(SKIP_4) | instid1(VALU_DEP_1)
	v_fmac_f16_e32 v12, s30, v27
	global_store_b16 v[10:11], v12, off
	global_load_u16 v12, v[22:23], off offset:32
	s_wait_loadcnt 0x0
	v_mul_f16_e32 v12, s33, v12
	v_fmac_f16_e32 v12, s30, v19
	global_store_b16 v[10:11], v12, off offset:32
	global_load_u16 v12, v[22:23], off offset:64
	s_wait_loadcnt 0x0
	v_mul_f16_e32 v12, s33, v12
	s_delay_alu instid0(VALU_DEP_1) | instskip(SKIP_4) | instid1(VALU_DEP_1)
	v_fmac_f16_e32 v12, s30, v26
	global_store_b16 v[10:11], v12, off offset:64
	global_load_u16 v12, v[22:23], off offset:96
	s_wait_loadcnt 0x0
	v_mul_f16_e32 v12, s33, v12
	v_fmac_f16_e32 v12, s30, v18
	global_store_b16 v[10:11], v12, off offset:96
	s_branch .LBB340_2
.LBB340_11:
	s_endpgm
	.section	.rodata,"a",@progbits
	.p2align	6, 0x0
	.amdhsa_kernel _ZN12_GLOBAL__N_127rocblas_gemm_batched_kernelIDF16_Li16ELi16ELi64ELi64ELi4ELi64ELi4ELi4ELi64ELc67ELc78EKDF16_S1_DF16_EEvlllT_PT11_llS4_llS2_PT12_llPT13_lli
		.amdhsa_group_segment_fixed_size 1024
		.amdhsa_private_segment_fixed_size 0
		.amdhsa_kernarg_size 140
		.amdhsa_user_sgpr_count 2
		.amdhsa_user_sgpr_dispatch_ptr 0
		.amdhsa_user_sgpr_queue_ptr 0
		.amdhsa_user_sgpr_kernarg_segment_ptr 1
		.amdhsa_user_sgpr_dispatch_id 0
		.amdhsa_user_sgpr_kernarg_preload_length 0
		.amdhsa_user_sgpr_kernarg_preload_offset 0
		.amdhsa_user_sgpr_private_segment_size 0
		.amdhsa_wavefront_size32 1
		.amdhsa_uses_dynamic_stack 0
		.amdhsa_enable_private_segment 0
		.amdhsa_system_sgpr_workgroup_id_x 1
		.amdhsa_system_sgpr_workgroup_id_y 1
		.amdhsa_system_sgpr_workgroup_id_z 1
		.amdhsa_system_sgpr_workgroup_info 0
		.amdhsa_system_vgpr_workitem_id 1
		.amdhsa_next_free_vgpr 50
		.amdhsa_next_free_sgpr 38
		.amdhsa_named_barrier_count 0
		.amdhsa_reserve_vcc 1
		.amdhsa_float_round_mode_32 0
		.amdhsa_float_round_mode_16_64 0
		.amdhsa_float_denorm_mode_32 3
		.amdhsa_float_denorm_mode_16_64 3
		.amdhsa_fp16_overflow 0
		.amdhsa_memory_ordered 1
		.amdhsa_forward_progress 1
		.amdhsa_inst_pref_size 19
		.amdhsa_round_robin_scheduling 0
		.amdhsa_exception_fp_ieee_invalid_op 0
		.amdhsa_exception_fp_denorm_src 0
		.amdhsa_exception_fp_ieee_div_zero 0
		.amdhsa_exception_fp_ieee_overflow 0
		.amdhsa_exception_fp_ieee_underflow 0
		.amdhsa_exception_fp_ieee_inexact 0
		.amdhsa_exception_int_div_zero 0
	.end_amdhsa_kernel
	.section	.text._ZN12_GLOBAL__N_127rocblas_gemm_batched_kernelIDF16_Li16ELi16ELi64ELi64ELi4ELi64ELi4ELi4ELi64ELc67ELc78EKDF16_S1_DF16_EEvlllT_PT11_llS4_llS2_PT12_llPT13_lli,"axG",@progbits,_ZN12_GLOBAL__N_127rocblas_gemm_batched_kernelIDF16_Li16ELi16ELi64ELi64ELi4ELi64ELi4ELi4ELi64ELc67ELc78EKDF16_S1_DF16_EEvlllT_PT11_llS4_llS2_PT12_llPT13_lli,comdat
.Lfunc_end340:
	.size	_ZN12_GLOBAL__N_127rocblas_gemm_batched_kernelIDF16_Li16ELi16ELi64ELi64ELi4ELi64ELi4ELi4ELi64ELc67ELc78EKDF16_S1_DF16_EEvlllT_PT11_llS4_llS2_PT12_llPT13_lli, .Lfunc_end340-_ZN12_GLOBAL__N_127rocblas_gemm_batched_kernelIDF16_Li16ELi16ELi64ELi64ELi4ELi64ELi4ELi4ELi64ELc67ELc78EKDF16_S1_DF16_EEvlllT_PT11_llS4_llS2_PT12_llPT13_lli
                                        ; -- End function
	.set _ZN12_GLOBAL__N_127rocblas_gemm_batched_kernelIDF16_Li16ELi16ELi64ELi64ELi4ELi64ELi4ELi4ELi64ELc67ELc78EKDF16_S1_DF16_EEvlllT_PT11_llS4_llS2_PT12_llPT13_lli.num_vgpr, 50
	.set _ZN12_GLOBAL__N_127rocblas_gemm_batched_kernelIDF16_Li16ELi16ELi64ELi64ELi4ELi64ELi4ELi4ELi64ELc67ELc78EKDF16_S1_DF16_EEvlllT_PT11_llS4_llS2_PT12_llPT13_lli.num_agpr, 0
	.set _ZN12_GLOBAL__N_127rocblas_gemm_batched_kernelIDF16_Li16ELi16ELi64ELi64ELi4ELi64ELi4ELi4ELi64ELc67ELc78EKDF16_S1_DF16_EEvlllT_PT11_llS4_llS2_PT12_llPT13_lli.numbered_sgpr, 38
	.set _ZN12_GLOBAL__N_127rocblas_gemm_batched_kernelIDF16_Li16ELi16ELi64ELi64ELi4ELi64ELi4ELi4ELi64ELc67ELc78EKDF16_S1_DF16_EEvlllT_PT11_llS4_llS2_PT12_llPT13_lli.num_named_barrier, 0
	.set _ZN12_GLOBAL__N_127rocblas_gemm_batched_kernelIDF16_Li16ELi16ELi64ELi64ELi4ELi64ELi4ELi4ELi64ELc67ELc78EKDF16_S1_DF16_EEvlllT_PT11_llS4_llS2_PT12_llPT13_lli.private_seg_size, 0
	.set _ZN12_GLOBAL__N_127rocblas_gemm_batched_kernelIDF16_Li16ELi16ELi64ELi64ELi4ELi64ELi4ELi4ELi64ELc67ELc78EKDF16_S1_DF16_EEvlllT_PT11_llS4_llS2_PT12_llPT13_lli.uses_vcc, 1
	.set _ZN12_GLOBAL__N_127rocblas_gemm_batched_kernelIDF16_Li16ELi16ELi64ELi64ELi4ELi64ELi4ELi4ELi64ELc67ELc78EKDF16_S1_DF16_EEvlllT_PT11_llS4_llS2_PT12_llPT13_lli.uses_flat_scratch, 0
	.set _ZN12_GLOBAL__N_127rocblas_gemm_batched_kernelIDF16_Li16ELi16ELi64ELi64ELi4ELi64ELi4ELi4ELi64ELc67ELc78EKDF16_S1_DF16_EEvlllT_PT11_llS4_llS2_PT12_llPT13_lli.has_dyn_sized_stack, 0
	.set _ZN12_GLOBAL__N_127rocblas_gemm_batched_kernelIDF16_Li16ELi16ELi64ELi64ELi4ELi64ELi4ELi4ELi64ELc67ELc78EKDF16_S1_DF16_EEvlllT_PT11_llS4_llS2_PT12_llPT13_lli.has_recursion, 0
	.set _ZN12_GLOBAL__N_127rocblas_gemm_batched_kernelIDF16_Li16ELi16ELi64ELi64ELi4ELi64ELi4ELi4ELi64ELc67ELc78EKDF16_S1_DF16_EEvlllT_PT11_llS4_llS2_PT12_llPT13_lli.has_indirect_call, 0
	.section	.AMDGPU.csdata,"",@progbits
; Kernel info:
; codeLenInByte = 2340
; TotalNumSgprs: 40
; NumVgprs: 50
; ScratchSize: 0
; MemoryBound: 0
; FloatMode: 240
; IeeeMode: 1
; LDSByteSize: 1024 bytes/workgroup (compile time only)
; SGPRBlocks: 0
; VGPRBlocks: 3
; NumSGPRsForWavesPerEU: 40
; NumVGPRsForWavesPerEU: 50
; NamedBarCnt: 0
; Occupancy: 16
; WaveLimiterHint : 0
; COMPUTE_PGM_RSRC2:SCRATCH_EN: 0
; COMPUTE_PGM_RSRC2:USER_SGPR: 2
; COMPUTE_PGM_RSRC2:TRAP_HANDLER: 0
; COMPUTE_PGM_RSRC2:TGID_X_EN: 1
; COMPUTE_PGM_RSRC2:TGID_Y_EN: 1
; COMPUTE_PGM_RSRC2:TGID_Z_EN: 1
; COMPUTE_PGM_RSRC2:TIDIG_COMP_CNT: 1
	.section	.text._ZN12_GLOBAL__N_127rocblas_gemm_batched_kernelIDF16_Li16ELi16ELi64ELi64ELi4ELi64ELi4ELi4ELi64ELc67ELc84EKDF16_S1_DF16_EEvlllT_PT11_llS4_llS2_PT12_llPT13_lli,"axG",@progbits,_ZN12_GLOBAL__N_127rocblas_gemm_batched_kernelIDF16_Li16ELi16ELi64ELi64ELi4ELi64ELi4ELi4ELi64ELc67ELc84EKDF16_S1_DF16_EEvlllT_PT11_llS4_llS2_PT12_llPT13_lli,comdat
	.globl	_ZN12_GLOBAL__N_127rocblas_gemm_batched_kernelIDF16_Li16ELi16ELi64ELi64ELi4ELi64ELi4ELi4ELi64ELc67ELc84EKDF16_S1_DF16_EEvlllT_PT11_llS4_llS2_PT12_llPT13_lli ; -- Begin function _ZN12_GLOBAL__N_127rocblas_gemm_batched_kernelIDF16_Li16ELi16ELi64ELi64ELi4ELi64ELi4ELi4ELi64ELc67ELc84EKDF16_S1_DF16_EEvlllT_PT11_llS4_llS2_PT12_llPT13_lli
	.p2align	8
	.type	_ZN12_GLOBAL__N_127rocblas_gemm_batched_kernelIDF16_Li16ELi16ELi64ELi64ELi4ELi64ELi4ELi4ELi64ELc67ELc84EKDF16_S1_DF16_EEvlllT_PT11_llS4_llS2_PT12_llPT13_lli,@function
_ZN12_GLOBAL__N_127rocblas_gemm_batched_kernelIDF16_Li16ELi16ELi64ELi64ELi4ELi64ELi4ELi4ELi64ELc67ELc84EKDF16_S1_DF16_EEvlllT_PT11_llS4_llS2_PT12_llPT13_lli: ; @_ZN12_GLOBAL__N_127rocblas_gemm_batched_kernelIDF16_Li16ELi16ELi64ELi64ELi4ELi64ELi4ELi4ELi64ELc67ELc84EKDF16_S1_DF16_EEvlllT_PT11_llS4_llS2_PT12_llPT13_lli
; %bb.0:
	s_load_b32 s31, s[0:1], 0x88
	s_bfe_u32 s2, ttmp6, 0x40014
	s_lshr_b32 s3, ttmp7, 16
	s_add_co_i32 s2, s2, 1
	s_bfe_u32 s4, ttmp6, 0x40008
	s_mul_i32 s2, s3, s2
	s_getreg_b32 s20, hwreg(HW_REG_IB_STS2, 6, 4)
	s_add_co_i32 s4, s4, s2
	s_cmp_eq_u32 s20, 0
	s_cselect_b32 s2, s3, s4
	s_mov_b32 s3, 0
	s_wait_kmcnt 0x0
	s_cmp_ge_i32 s2, s31
	s_cbranch_scc1 .LBB341_11
; %bb.1:
	s_bfe_u32 s21, ttmp6, 0x4000c
	s_bfe_u32 s23, ttmp6, 0x40010
	v_bfe_u32 v4, v0, 10, 10
	v_and_b32_e32 v2, 0x3ff, v0
	s_add_co_i32 s21, s21, 1
	s_and_b32 s28, ttmp7, 0xffff
	s_add_co_i32 s23, s23, 1
	s_clause 0x2
	s_load_b256 s[12:19], s[0:1], 0x20
	s_load_b128 s[24:27], s[0:1], 0x40
	s_load_b256 s[4:11], s[0:1], 0x58
	s_and_b32 s22, ttmp6, 15
	s_mul_i32 s21, ttmp9, s21
	s_mul_i32 s23, s28, s23
	s_bfe_u32 s29, ttmp6, 0x40004
	v_lshl_add_u32 v1, v4, 4, v2
	s_add_co_i32 s22, s22, s21
	s_add_co_i32 s29, s29, s23
	s_cmp_eq_u32 s20, 0
	s_delay_alu instid0(VALU_DEP_1)
	v_dual_mov_b32 v5, 0 :: v_dual_bitop2_b32 v3, 63, v1 bitop3:0x40
	s_cselect_b32 s20, ttmp9, s22
	s_cselect_b32 s22, s28, s29
	s_ashr_i32 s21, s20, 31
	s_lshl_b32 s34, s22, 6
	s_lshl_b64 s[36:37], s[20:21], 6
	s_load_b128 s[20:23], s[0:1], 0x78
	s_mov_b32 s35, s3
	v_dual_mov_b32 v9, s37 :: v_dual_bitop2_b32 v8, s36, v3 bitop3:0x54
	v_add_nc_u64_e32 v[6:7], s[34:35], v[4:5]
	v_dual_lshrrev_b32 v10, 2, v1 :: v_dual_bitop2_b32 v14, 3, v0 bitop3:0x40
	v_mov_b32_e32 v11, v5
	s_wait_kmcnt 0x0
	v_mul_u64_e32 v[8:9], s[14:15], v[8:9]
	s_clause 0x1
	s_load_b32 s33, s[0:1], 0x50
	s_load_b96 s[28:30], s[0:1], 0x10
	v_mul_u64_e32 v[12:13], s[6:7], v[6:7]
	v_lshlrev_b32_e32 v15, 1, v14
	v_mad_nc_u64_u32 v[18:19], s24, v14, v[10:11]
	v_lshrrev_b32_e32 v11, 6, v1
	v_lshl_add_u32 v17, v4, 3, 0x200
	v_lshlrev_b32_e32 v16, 1, v2
	v_mul_u64_e32 v[0:1], s[20:21], v[6:7]
	v_lshlrev_b32_e32 v6, 1, v3
	v_lshl_or_b32 v7, v10, 3, v15
	v_mov_b32_e32 v3, v5
	v_mad_u32 v19, s25, v14, v19
	v_lshlrev_b32_e32 v4, 1, v11
	v_lshl_or_b32 v14, v11, 7, v6
	v_add_nc_u32_e32 v15, 0x200, v7
	v_add_nc_u64_e32 v[10:11], s[36:37], v[2:3]
	s_wait_kmcnt 0x0
	s_cmp_eq_f16 s33, 0
	v_cmp_gt_i64_e64 s0, s[28:29], 0
	s_cselect_b32 s1, -1, 0
	s_lshl_b64 s[14:15], s[20:21], 4
	v_add_nc_u64_e32 v[6:7], s[34:35], v[18:19]
	s_lshl_b64 s[20:21], s[6:7], 4
	s_lshl_b64 s[6:7], s[24:25], 3
	;; [unrolled: 1-line block ×3, first 2 shown]
	v_lshl_add_u64 v[8:9], v[8:9], 1, v[4:5]
	s_delay_alu instid0(VALU_DEP_2) | instskip(SKIP_2) | instid1(VALU_DEP_4)
	v_lshl_add_u64 v[4:5], v[6:7], 1, s[18:19]
	v_lshl_add_u64 v[2:3], v[12:13], 1, s[4:5]
	v_cndmask_b32_e64 v12, 0, 1, s0
	v_add_nc_u64_e32 v[6:7], s[12:13], v[8:9]
	v_lshlrev_b64_e32 v[8:9], 1, v[10:11]
	s_lshl_b64 s[4:5], s[26:27], 1
	s_lshl_b64 s[12:13], s[16:17], 1
	v_cmp_ne_u32_e64 s0, 1, v12
	s_lshl_b64 s[16:17], s[20:21], 1
	s_branch .LBB341_3
.LBB341_2:                              ;   in Loop: Header=BB341_3 Depth=1
	s_add_co_i32 s2, s2, 0x10000
	s_delay_alu instid0(SALU_CYCLE_1)
	s_cmp_lt_i32 s2, s31
	s_cbranch_scc0 .LBB341_11
.LBB341_3:                              ; =>This Loop Header: Depth=1
                                        ;     Child Loop BB341_5 Depth 2
	s_and_b32 vcc_lo, exec_lo, s0
	s_cbranch_vccnz .LBB341_6
; %bb.4:                                ;   in Loop: Header=BB341_3 Depth=1
	s_wait_xcnt 0x0
	v_mad_nc_u64_u32 v[10:11], s4, s2, v[4:5]
	v_mad_nc_u64_u32 v[12:13], s12, s2, v[6:7]
	v_dual_mov_b32 v18, 0 :: v_dual_mov_b32 v19, 0
	v_dual_mov_b32 v20, 0 :: v_dual_mov_b32 v21, 0
	;; [unrolled: 1-line block ×4, first 2 shown]
	s_mov_b64 s[18:19], 0
	v_mad_u32 v11, s5, s2, v11
	v_mad_u32 v13, s13, s2, v13
.LBB341_5:                              ;   Parent Loop BB341_3 Depth=1
                                        ; =>  This Inner Loop Header: Depth=2
	global_load_u16 v26, v[12:13], off
	global_load_u16 v27, v[10:11], off
	s_add_nc_u64 s[18:19], s[18:19], 4
	s_wait_xcnt 0x0
	v_add_nc_u64_e32 v[10:11], s[6:7], v[10:11]
	v_cmp_lt_i64_e64 s20, s[18:19], s[28:29]
	v_add_nc_u64_e32 v[12:13], 8, v[12:13]
	s_wait_loadcnt 0x1
	ds_store_b16 v14, v26
	s_wait_loadcnt 0x0
	ds_store_b16 v15, v27
	s_wait_dscnt 0x0
	s_barrier_signal -1
	s_barrier_wait -1
	ds_load_u16 v34, v16
	ds_load_u16 v35, v16 offset:32
	ds_load_u16 v36, v16 offset:64
	;; [unrolled: 1-line block ×15, first 2 shown]
	ds_load_2addr_b64 v[26:29], v17 offset1:16
	ds_load_2addr_b64 v[30:33], v17 offset0:32 offset1:48
	s_and_b32 vcc_lo, exec_lo, s20
	s_wait_dscnt 0x0
	s_barrier_signal -1
	v_perm_b32 v34, v34, v35, 0x5040100
	s_barrier_wait -1
	v_perm_b32 v36, v36, v37, 0x5040100
	v_perm_b32 v35, v38, v39, 0x5040100
	;; [unrolled: 1-line block ×7, first 2 shown]
	v_pk_fma_f16 v25, v34, v26, v25 op_sel_hi:[1,0,1]
	v_pk_fma_f16 v24, v36, v26, v24 op_sel_hi:[1,0,1]
	;; [unrolled: 1-line block ×8, first 2 shown]
	v_pk_fma_f16 v25, v35, v26, v25 op_sel:[0,1,0]
	v_pk_fma_f16 v24, v37, v26, v24 op_sel:[0,1,0]
	v_pk_fma_f16 v23, v35, v28, v23 op_sel:[0,1,0]
	v_pk_fma_f16 v22, v37, v28, v22 op_sel:[0,1,0]
	v_pk_fma_f16 v21, v35, v30, v21 op_sel:[0,1,0]
	v_pk_fma_f16 v20, v37, v30, v20 op_sel:[0,1,0]
	v_pk_fma_f16 v19, v35, v32, v19 op_sel:[0,1,0]
	v_pk_fma_f16 v18, v37, v32, v18 op_sel:[0,1,0]
	v_pk_fma_f16 v25, v38, v27, v25 op_sel_hi:[1,0,1]
	v_pk_fma_f16 v24, v40, v27, v24 op_sel_hi:[1,0,1]
	;; [unrolled: 1-line block ×8, first 2 shown]
	v_pk_fma_f16 v25, v39, v27, v25 op_sel:[0,1,0]
	v_pk_fma_f16 v24, v41, v27, v24 op_sel:[0,1,0]
	v_pk_fma_f16 v23, v39, v29, v23 op_sel:[0,1,0]
	v_pk_fma_f16 v22, v41, v29, v22 op_sel:[0,1,0]
	v_pk_fma_f16 v21, v39, v31, v21 op_sel:[0,1,0]
	v_pk_fma_f16 v20, v41, v31, v20 op_sel:[0,1,0]
	v_pk_fma_f16 v19, v39, v33, v19 op_sel:[0,1,0]
	v_pk_fma_f16 v18, v41, v33, v18 op_sel:[0,1,0]
	s_cbranch_vccnz .LBB341_5
	s_branch .LBB341_7
.LBB341_6:                              ;   in Loop: Header=BB341_3 Depth=1
	v_dual_mov_b32 v25, 0 :: v_dual_mov_b32 v24, 0
	s_wait_xcnt 0x1
	v_dual_mov_b32 v23, 0 :: v_dual_mov_b32 v22, 0
	v_dual_mov_b32 v21, 0 :: v_dual_mov_b32 v20, 0
	;; [unrolled: 1-line block ×3, first 2 shown]
.LBB341_7:                              ;   in Loop: Header=BB341_3 Depth=1
	s_mul_u64 s[18:19], s[22:23], s[2:3]
	v_dual_lshrrev_b32 v33, 16, v25 :: v_dual_lshrrev_b32 v32, 16, v24
	s_lshl_b64 s[18:19], s[18:19], 1
	v_dual_lshrrev_b32 v31, 16, v23 :: v_dual_lshrrev_b32 v30, 16, v22
	s_add_nc_u64 s[18:19], s[10:11], s[18:19]
	v_dual_lshrrev_b32 v29, 16, v21 :: v_dual_lshrrev_b32 v28, 16, v20
	s_wait_xcnt 0x0
	v_lshl_add_u64 v[10:11], v[0:1], 1, s[18:19]
	v_dual_lshrrev_b32 v27, 16, v19 :: v_dual_lshrrev_b32 v26, 16, v18
	s_and_not1_b32 vcc_lo, exec_lo, s1
	s_delay_alu instid0(VALU_DEP_2)
	v_add_nc_u64_e32 v[12:13], v[10:11], v[8:9]
	v_add_nc_u64_e32 v[10:11], s[14:15], v[10:11]
	s_cbranch_vccnz .LBB341_9
; %bb.8:                                ;   in Loop: Header=BB341_3 Depth=1
	v_mul_f16_e32 v36, s30, v33
	v_mul_f16_e32 v37, s30, v25
	s_delay_alu instid0(VALU_DEP_3)
	v_add_nc_u64_e32 v[34:35], s[14:15], v[10:11]
	v_mul_f16_e32 v38, s30, v32
	v_mul_f16_e32 v39, s30, v24
	s_clause 0x3
	global_store_b16 v[12:13], v36, off
	global_store_b16 v[12:13], v37, off offset:32
	global_store_b16 v[12:13], v38, off offset:64
	;; [unrolled: 1-line block ×3, first 2 shown]
	s_wait_xcnt 0x2
	v_add_nc_u64_e32 v[36:37], v[10:11], v[8:9]
	v_mul_f16_e32 v40, s30, v31
	v_mul_f16_e32 v41, s30, v23
	s_wait_xcnt 0x0
	v_add_nc_u64_e32 v[38:39], v[34:35], v[8:9]
	v_add_nc_u64_e32 v[34:35], s[14:15], v[34:35]
	v_mul_f16_e32 v42, s30, v30
	v_mul_f16_e32 v43, s30, v22
	s_clause 0x3
	global_store_b16 v[36:37], v40, off
	global_store_b16 v[36:37], v41, off offset:32
	global_store_b16 v[36:37], v42, off offset:64
	;; [unrolled: 1-line block ×3, first 2 shown]
	s_wait_xcnt 0x0
	v_mul_f16_e32 v36, s30, v29
	v_mul_f16_e32 v37, s30, v21
	;; [unrolled: 1-line block ×4, first 2 shown]
	v_add_nc_u64_e32 v[34:35], v[34:35], v[8:9]
	s_clause 0x3
	global_store_b16 v[38:39], v36, off
	global_store_b16 v[38:39], v37, off offset:32
	global_store_b16 v[38:39], v40, off offset:64
	;; [unrolled: 1-line block ×3, first 2 shown]
	s_wait_xcnt 0x3
	v_mul_f16_e32 v36, s30, v27
	s_wait_xcnt 0x2
	v_mul_f16_e32 v37, s30, v19
	s_wait_xcnt 0x0
	v_mul_f16_e32 v38, s30, v26
	v_mul_f16_e32 v39, s30, v18
	s_clause 0x3
	global_store_b16 v[34:35], v36, off
	global_store_b16 v[34:35], v37, off offset:32
	global_store_b16 v[34:35], v38, off offset:64
	global_store_b16 v[34:35], v39, off offset:96
	s_cbranch_execnz .LBB341_2
	s_branch .LBB341_10
.LBB341_9:                              ;   in Loop: Header=BB341_3 Depth=1
.LBB341_10:                             ;   in Loop: Header=BB341_3 Depth=1
	s_mul_u64 s[18:19], s[8:9], s[2:3]
	s_wait_xcnt 0x0
	v_lshl_add_u64 v[34:35], s[18:19], 1, v[2:3]
	s_delay_alu instid0(VALU_DEP_1) | instskip(SKIP_3) | instid1(VALU_DEP_1)
	v_add_nc_u64_e32 v[36:37], v[34:35], v[8:9]
	global_load_u16 v38, v[36:37], off
	s_wait_loadcnt 0x0
	v_mul_f16_e32 v38, s33, v38
	v_fmac_f16_e32 v38, s30, v33
	global_store_b16 v[12:13], v38, off
	global_load_u16 v33, v[36:37], off offset:32
	s_wait_loadcnt 0x0
	v_mul_f16_e32 v33, s33, v33
	s_delay_alu instid0(VALU_DEP_1) | instskip(SKIP_4) | instid1(VALU_DEP_1)
	v_fmac_f16_e32 v33, s30, v25
	global_store_b16 v[12:13], v33, off offset:32
	global_load_u16 v25, v[36:37], off offset:64
	s_wait_loadcnt 0x0
	v_mul_f16_e32 v25, s33, v25
	v_fmac_f16_e32 v25, s30, v32
	s_wait_xcnt 0x1
	v_add_nc_u64_e32 v[32:33], s[16:17], v[34:35]
	global_store_b16 v[12:13], v25, off offset:64
	global_load_u16 v25, v[36:37], off offset:96
	v_add_nc_u64_e32 v[34:35], v[32:33], v[8:9]
	s_wait_loadcnt 0x0
	v_mul_f16_e32 v25, s33, v25
	s_delay_alu instid0(VALU_DEP_1)
	v_fmac_f16_e32 v25, s30, v24
	global_store_b16 v[12:13], v25, off offset:96
	global_load_u16 v12, v[34:35], off
	s_wait_loadcnt 0x0
	v_mul_f16_e32 v24, s33, v12
	v_add_nc_u64_e32 v[12:13], v[10:11], v[8:9]
	v_add_nc_u64_e32 v[10:11], s[14:15], v[10:11]
	s_delay_alu instid0(VALU_DEP_3) | instskip(SKIP_4) | instid1(VALU_DEP_1)
	v_fmac_f16_e32 v24, s30, v31
	global_store_b16 v[12:13], v24, off
	global_load_u16 v24, v[34:35], off offset:32
	s_wait_loadcnt 0x0
	v_mul_f16_e32 v24, s33, v24
	v_fmac_f16_e32 v24, s30, v23
	global_store_b16 v[12:13], v24, off offset:32
	global_load_u16 v23, v[34:35], off offset:64
	s_wait_xcnt 0x1
	v_add_nc_u64_e32 v[24:25], s[16:17], v[32:33]
	s_wait_loadcnt 0x0
	v_mul_f16_e32 v23, s33, v23
	s_delay_alu instid0(VALU_DEP_1) | instskip(NEXT) | instid1(VALU_DEP_3)
	v_fmac_f16_e32 v23, s30, v30
	v_add_nc_u64_e32 v[30:31], v[24:25], v[8:9]
	global_store_b16 v[12:13], v23, off offset:64
	global_load_u16 v23, v[34:35], off offset:96
	s_wait_loadcnt 0x0
	v_mul_f16_e32 v23, s33, v23
	s_delay_alu instid0(VALU_DEP_1)
	v_fmac_f16_e32 v23, s30, v22
	global_store_b16 v[12:13], v23, off offset:96
	global_load_u16 v12, v[30:31], off
	s_wait_loadcnt 0x0
	v_mul_f16_e32 v22, s33, v12
	v_add_nc_u64_e32 v[12:13], v[10:11], v[8:9]
	v_add_nc_u64_e32 v[10:11], s[14:15], v[10:11]
	s_delay_alu instid0(VALU_DEP_3) | instskip(NEXT) | instid1(VALU_DEP_2)
	v_fmac_f16_e32 v22, s30, v29
	v_add_nc_u64_e32 v[10:11], v[10:11], v[8:9]
	global_store_b16 v[12:13], v22, off
	global_load_u16 v22, v[30:31], off offset:32
	s_wait_loadcnt 0x0
	v_mul_f16_e32 v22, s33, v22
	s_delay_alu instid0(VALU_DEP_1) | instskip(SKIP_4) | instid1(VALU_DEP_1)
	v_fmac_f16_e32 v22, s30, v21
	global_store_b16 v[12:13], v22, off offset:32
	global_load_u16 v21, v[30:31], off offset:64
	s_wait_xcnt 0x1
	v_add_nc_u64_e32 v[22:23], s[16:17], v[24:25]
	v_add_nc_u64_e32 v[22:23], v[22:23], v[8:9]
	s_wait_loadcnt 0x0
	v_mul_f16_e32 v21, s33, v21
	s_delay_alu instid0(VALU_DEP_1) | instskip(SKIP_4) | instid1(VALU_DEP_1)
	v_fmac_f16_e32 v21, s30, v28
	global_store_b16 v[12:13], v21, off offset:64
	global_load_u16 v21, v[30:31], off offset:96
	s_wait_loadcnt 0x0
	v_mul_f16_e32 v21, s33, v21
	v_fmac_f16_e32 v21, s30, v20
	global_store_b16 v[12:13], v21, off offset:96
	global_load_u16 v12, v[22:23], off
	s_wait_loadcnt 0x0
	v_mul_f16_e32 v12, s33, v12
	s_delay_alu instid0(VALU_DEP_1) | instskip(SKIP_4) | instid1(VALU_DEP_1)
	v_fmac_f16_e32 v12, s30, v27
	global_store_b16 v[10:11], v12, off
	global_load_u16 v12, v[22:23], off offset:32
	s_wait_loadcnt 0x0
	v_mul_f16_e32 v12, s33, v12
	v_fmac_f16_e32 v12, s30, v19
	global_store_b16 v[10:11], v12, off offset:32
	global_load_u16 v12, v[22:23], off offset:64
	s_wait_loadcnt 0x0
	v_mul_f16_e32 v12, s33, v12
	s_delay_alu instid0(VALU_DEP_1) | instskip(SKIP_4) | instid1(VALU_DEP_1)
	v_fmac_f16_e32 v12, s30, v26
	global_store_b16 v[10:11], v12, off offset:64
	global_load_u16 v12, v[22:23], off offset:96
	s_wait_loadcnt 0x0
	v_mul_f16_e32 v12, s33, v12
	v_fmac_f16_e32 v12, s30, v18
	global_store_b16 v[10:11], v12, off offset:96
	s_branch .LBB341_2
.LBB341_11:
	s_endpgm
	.section	.rodata,"a",@progbits
	.p2align	6, 0x0
	.amdhsa_kernel _ZN12_GLOBAL__N_127rocblas_gemm_batched_kernelIDF16_Li16ELi16ELi64ELi64ELi4ELi64ELi4ELi4ELi64ELc67ELc84EKDF16_S1_DF16_EEvlllT_PT11_llS4_llS2_PT12_llPT13_lli
		.amdhsa_group_segment_fixed_size 1024
		.amdhsa_private_segment_fixed_size 0
		.amdhsa_kernarg_size 140
		.amdhsa_user_sgpr_count 2
		.amdhsa_user_sgpr_dispatch_ptr 0
		.amdhsa_user_sgpr_queue_ptr 0
		.amdhsa_user_sgpr_kernarg_segment_ptr 1
		.amdhsa_user_sgpr_dispatch_id 0
		.amdhsa_user_sgpr_kernarg_preload_length 0
		.amdhsa_user_sgpr_kernarg_preload_offset 0
		.amdhsa_user_sgpr_private_segment_size 0
		.amdhsa_wavefront_size32 1
		.amdhsa_uses_dynamic_stack 0
		.amdhsa_enable_private_segment 0
		.amdhsa_system_sgpr_workgroup_id_x 1
		.amdhsa_system_sgpr_workgroup_id_y 1
		.amdhsa_system_sgpr_workgroup_id_z 1
		.amdhsa_system_sgpr_workgroup_info 0
		.amdhsa_system_vgpr_workitem_id 1
		.amdhsa_next_free_vgpr 50
		.amdhsa_next_free_sgpr 38
		.amdhsa_named_barrier_count 0
		.amdhsa_reserve_vcc 1
		.amdhsa_float_round_mode_32 0
		.amdhsa_float_round_mode_16_64 0
		.amdhsa_float_denorm_mode_32 3
		.amdhsa_float_denorm_mode_16_64 3
		.amdhsa_fp16_overflow 0
		.amdhsa_memory_ordered 1
		.amdhsa_forward_progress 1
		.amdhsa_inst_pref_size 19
		.amdhsa_round_robin_scheduling 0
		.amdhsa_exception_fp_ieee_invalid_op 0
		.amdhsa_exception_fp_denorm_src 0
		.amdhsa_exception_fp_ieee_div_zero 0
		.amdhsa_exception_fp_ieee_overflow 0
		.amdhsa_exception_fp_ieee_underflow 0
		.amdhsa_exception_fp_ieee_inexact 0
		.amdhsa_exception_int_div_zero 0
	.end_amdhsa_kernel
	.section	.text._ZN12_GLOBAL__N_127rocblas_gemm_batched_kernelIDF16_Li16ELi16ELi64ELi64ELi4ELi64ELi4ELi4ELi64ELc67ELc84EKDF16_S1_DF16_EEvlllT_PT11_llS4_llS2_PT12_llPT13_lli,"axG",@progbits,_ZN12_GLOBAL__N_127rocblas_gemm_batched_kernelIDF16_Li16ELi16ELi64ELi64ELi4ELi64ELi4ELi4ELi64ELc67ELc84EKDF16_S1_DF16_EEvlllT_PT11_llS4_llS2_PT12_llPT13_lli,comdat
.Lfunc_end341:
	.size	_ZN12_GLOBAL__N_127rocblas_gemm_batched_kernelIDF16_Li16ELi16ELi64ELi64ELi4ELi64ELi4ELi4ELi64ELc67ELc84EKDF16_S1_DF16_EEvlllT_PT11_llS4_llS2_PT12_llPT13_lli, .Lfunc_end341-_ZN12_GLOBAL__N_127rocblas_gemm_batched_kernelIDF16_Li16ELi16ELi64ELi64ELi4ELi64ELi4ELi4ELi64ELc67ELc84EKDF16_S1_DF16_EEvlllT_PT11_llS4_llS2_PT12_llPT13_lli
                                        ; -- End function
	.set _ZN12_GLOBAL__N_127rocblas_gemm_batched_kernelIDF16_Li16ELi16ELi64ELi64ELi4ELi64ELi4ELi4ELi64ELc67ELc84EKDF16_S1_DF16_EEvlllT_PT11_llS4_llS2_PT12_llPT13_lli.num_vgpr, 50
	.set _ZN12_GLOBAL__N_127rocblas_gemm_batched_kernelIDF16_Li16ELi16ELi64ELi64ELi4ELi64ELi4ELi4ELi64ELc67ELc84EKDF16_S1_DF16_EEvlllT_PT11_llS4_llS2_PT12_llPT13_lli.num_agpr, 0
	.set _ZN12_GLOBAL__N_127rocblas_gemm_batched_kernelIDF16_Li16ELi16ELi64ELi64ELi4ELi64ELi4ELi4ELi64ELc67ELc84EKDF16_S1_DF16_EEvlllT_PT11_llS4_llS2_PT12_llPT13_lli.numbered_sgpr, 38
	.set _ZN12_GLOBAL__N_127rocblas_gemm_batched_kernelIDF16_Li16ELi16ELi64ELi64ELi4ELi64ELi4ELi4ELi64ELc67ELc84EKDF16_S1_DF16_EEvlllT_PT11_llS4_llS2_PT12_llPT13_lli.num_named_barrier, 0
	.set _ZN12_GLOBAL__N_127rocblas_gemm_batched_kernelIDF16_Li16ELi16ELi64ELi64ELi4ELi64ELi4ELi4ELi64ELc67ELc84EKDF16_S1_DF16_EEvlllT_PT11_llS4_llS2_PT12_llPT13_lli.private_seg_size, 0
	.set _ZN12_GLOBAL__N_127rocblas_gemm_batched_kernelIDF16_Li16ELi16ELi64ELi64ELi4ELi64ELi4ELi4ELi64ELc67ELc84EKDF16_S1_DF16_EEvlllT_PT11_llS4_llS2_PT12_llPT13_lli.uses_vcc, 1
	.set _ZN12_GLOBAL__N_127rocblas_gemm_batched_kernelIDF16_Li16ELi16ELi64ELi64ELi4ELi64ELi4ELi4ELi64ELc67ELc84EKDF16_S1_DF16_EEvlllT_PT11_llS4_llS2_PT12_llPT13_lli.uses_flat_scratch, 0
	.set _ZN12_GLOBAL__N_127rocblas_gemm_batched_kernelIDF16_Li16ELi16ELi64ELi64ELi4ELi64ELi4ELi4ELi64ELc67ELc84EKDF16_S1_DF16_EEvlllT_PT11_llS4_llS2_PT12_llPT13_lli.has_dyn_sized_stack, 0
	.set _ZN12_GLOBAL__N_127rocblas_gemm_batched_kernelIDF16_Li16ELi16ELi64ELi64ELi4ELi64ELi4ELi4ELi64ELc67ELc84EKDF16_S1_DF16_EEvlllT_PT11_llS4_llS2_PT12_llPT13_lli.has_recursion, 0
	.set _ZN12_GLOBAL__N_127rocblas_gemm_batched_kernelIDF16_Li16ELi16ELi64ELi64ELi4ELi64ELi4ELi4ELi64ELc67ELc84EKDF16_S1_DF16_EEvlllT_PT11_llS4_llS2_PT12_llPT13_lli.has_indirect_call, 0
	.section	.AMDGPU.csdata,"",@progbits
; Kernel info:
; codeLenInByte = 2352
; TotalNumSgprs: 40
; NumVgprs: 50
; ScratchSize: 0
; MemoryBound: 0
; FloatMode: 240
; IeeeMode: 1
; LDSByteSize: 1024 bytes/workgroup (compile time only)
; SGPRBlocks: 0
; VGPRBlocks: 3
; NumSGPRsForWavesPerEU: 40
; NumVGPRsForWavesPerEU: 50
; NamedBarCnt: 0
; Occupancy: 16
; WaveLimiterHint : 0
; COMPUTE_PGM_RSRC2:SCRATCH_EN: 0
; COMPUTE_PGM_RSRC2:USER_SGPR: 2
; COMPUTE_PGM_RSRC2:TRAP_HANDLER: 0
; COMPUTE_PGM_RSRC2:TGID_X_EN: 1
; COMPUTE_PGM_RSRC2:TGID_Y_EN: 1
; COMPUTE_PGM_RSRC2:TGID_Z_EN: 1
; COMPUTE_PGM_RSRC2:TIDIG_COMP_CNT: 1
	.section	.text._ZN12_GLOBAL__N_127rocblas_gemm_batched_kernelIDF16_Li16ELi16ELi64ELi64ELi4ELi64ELi4ELi4ELi64ELc78ELc67EKDF16_S1_DF16_EEvlllT_PT11_llS4_llS2_PT12_llPT13_lli,"axG",@progbits,_ZN12_GLOBAL__N_127rocblas_gemm_batched_kernelIDF16_Li16ELi16ELi64ELi64ELi4ELi64ELi4ELi4ELi64ELc78ELc67EKDF16_S1_DF16_EEvlllT_PT11_llS4_llS2_PT12_llPT13_lli,comdat
	.globl	_ZN12_GLOBAL__N_127rocblas_gemm_batched_kernelIDF16_Li16ELi16ELi64ELi64ELi4ELi64ELi4ELi4ELi64ELc78ELc67EKDF16_S1_DF16_EEvlllT_PT11_llS4_llS2_PT12_llPT13_lli ; -- Begin function _ZN12_GLOBAL__N_127rocblas_gemm_batched_kernelIDF16_Li16ELi16ELi64ELi64ELi4ELi64ELi4ELi4ELi64ELc78ELc67EKDF16_S1_DF16_EEvlllT_PT11_llS4_llS2_PT12_llPT13_lli
	.p2align	8
	.type	_ZN12_GLOBAL__N_127rocblas_gemm_batched_kernelIDF16_Li16ELi16ELi64ELi64ELi4ELi64ELi4ELi4ELi64ELc78ELc67EKDF16_S1_DF16_EEvlllT_PT11_llS4_llS2_PT12_llPT13_lli,@function
_ZN12_GLOBAL__N_127rocblas_gemm_batched_kernelIDF16_Li16ELi16ELi64ELi64ELi4ELi64ELi4ELi4ELi64ELc78ELc67EKDF16_S1_DF16_EEvlllT_PT11_llS4_llS2_PT12_llPT13_lli: ; @_ZN12_GLOBAL__N_127rocblas_gemm_batched_kernelIDF16_Li16ELi16ELi64ELi64ELi4ELi64ELi4ELi4ELi64ELc78ELc67EKDF16_S1_DF16_EEvlllT_PT11_llS4_llS2_PT12_llPT13_lli
; %bb.0:
	s_load_b32 s31, s[0:1], 0x88
	s_bfe_u32 s2, ttmp6, 0x40014
	s_lshr_b32 s3, ttmp7, 16
	s_add_co_i32 s2, s2, 1
	s_bfe_u32 s4, ttmp6, 0x40008
	s_mul_i32 s2, s3, s2
	s_getreg_b32 s20, hwreg(HW_REG_IB_STS2, 6, 4)
	s_add_co_i32 s4, s4, s2
	s_cmp_eq_u32 s20, 0
	s_cselect_b32 s2, s3, s4
	s_mov_b32 s3, 0
	s_wait_kmcnt 0x0
	s_cmp_ge_i32 s2, s31
	s_cbranch_scc1 .LBB342_11
; %bb.1:
	s_bfe_u32 s21, ttmp6, 0x4000c
	s_bfe_u32 s23, ttmp6, 0x40010
	s_clause 0x2
	s_load_b256 s[12:19], s[0:1], 0x20
	s_load_b128 s[24:27], s[0:1], 0x40
	s_load_b256 s[4:11], s[0:1], 0x58
	s_add_co_i32 s21, s21, 1
	s_and_b32 s28, ttmp7, 0xffff
	s_add_co_i32 s23, s23, 1
	s_and_b32 s22, ttmp6, 15
	s_mul_i32 s21, ttmp9, s21
	s_mul_i32 s23, s28, s23
	s_bfe_u32 s29, ttmp6, 0x40004
	s_add_co_i32 s22, s22, s21
	s_add_co_i32 s29, s29, s23
	s_cmp_eq_u32 s20, 0
	v_bfe_u32 v2, v0, 10, 10
	v_dual_mov_b32 v3, 0 :: v_dual_bitop2_b32 v5, 3, v0 bitop3:0x40
	s_cselect_b32 s20, s28, s29
	s_cselect_b32 s28, ttmp9, s22
	s_lshl_b32 s34, s20, 6
	s_load_b128 s[20:23], s[0:1], 0x78
	s_mov_b32 s35, s3
	v_and_b32_e32 v4, 0x3ff, v0
	v_add_nc_u64_e32 v[6:7], s[34:35], v[2:3]
	v_mov_b32_e32 v9, v3
	s_ashr_i32 s29, s28, 31
	s_load_b32 s33, s[0:1], 0x50
	v_lshl_add_u32 v1, v2, 4, v4
	s_lshl_b64 s[36:37], s[28:29], 6
	s_load_b96 s[28:30], s[0:1], 0x10
	s_wait_kmcnt 0x0
	v_mul_u64_e32 v[10:11], s[6:7], v[6:7]
	v_dual_mov_b32 v21, v3 :: v_dual_lshrrev_b32 v8, 2, v1
	v_dual_lshrrev_b32 v14, 6, v1 :: v_dual_bitop2_b32 v20, 63, v1 bitop3:0x40
	v_lshl_add_u32 v17, v2, 3, 0x200
	v_lshlrev_b32_e32 v16, 1, v4
	s_delay_alu instid0(VALU_DEP_4) | instskip(NEXT) | instid1(VALU_DEP_4)
	v_mad_nc_u64_u32 v[12:13], s24, v5, v[8:9]
	v_mad_nc_u64_u32 v[18:19], s14, v14, s[36:37]
	v_lshlrev_b32_e32 v9, 1, v5
	v_mul_u64_e32 v[0:1], s[20:21], v[6:7]
	v_lshlrev_b32_e32 v6, 1, v20
	s_delay_alu instid0(VALU_DEP_3)
	v_lshl_or_b32 v7, v8, 3, v9
	s_cmp_eq_f16 s33, 0
	v_mad_u32 v13, s25, v5, v13
	v_mad_u32 v19, s15, v14, v19
	v_mov_b32_e32 v5, v3
	v_cmp_gt_i64_e64 s0, s[28:29], 0
	v_lshl_or_b32 v14, v14, 7, v6
	v_add_nc_u32_e32 v15, 0x200, v7
	s_cselect_b32 s1, -1, 0
	v_add_nc_u64_e32 v[8:9], s[36:37], v[4:5]
	s_lshl_b64 s[20:21], s[20:21], 4
	s_lshl_b64 s[14:15], s[14:15], 3
	v_add_nc_u64_e32 v[6:7], s[34:35], v[12:13]
	v_add_nc_u64_e32 v[12:13], v[18:19], v[20:21]
	s_lshl_b64 s[34:35], s[6:7], 4
	v_lshl_add_u64 v[2:3], v[10:11], 1, s[4:5]
	v_cndmask_b32_e64 v10, 0, 1, s0
	v_lshlrev_b64_e32 v[8:9], 1, v[8:9]
	s_lshl_b64 s[4:5], s[26:27], 1
	v_lshl_add_u64 v[4:5], v[6:7], 1, s[18:19]
	v_lshl_add_u64 v[6:7], v[12:13], 1, s[12:13]
	v_cmp_ne_u32_e64 s0, 1, v10
	s_lshl_b64 s[6:7], s[24:25], 3
	s_lshl_b64 s[12:13], s[16:17], 1
	;; [unrolled: 1-line block ×4, first 2 shown]
	s_branch .LBB342_3
.LBB342_2:                              ;   in Loop: Header=BB342_3 Depth=1
	s_add_co_i32 s2, s2, 0x10000
	s_delay_alu instid0(SALU_CYCLE_1)
	s_cmp_lt_i32 s2, s31
	s_cbranch_scc0 .LBB342_11
.LBB342_3:                              ; =>This Loop Header: Depth=1
                                        ;     Child Loop BB342_5 Depth 2
	s_and_b32 vcc_lo, exec_lo, s0
	s_cbranch_vccnz .LBB342_6
; %bb.4:                                ;   in Loop: Header=BB342_3 Depth=1
	s_wait_xcnt 0x0
	v_mad_nc_u64_u32 v[10:11], s4, s2, v[4:5]
	v_mad_nc_u64_u32 v[12:13], s12, s2, v[6:7]
	v_dual_mov_b32 v18, 0 :: v_dual_mov_b32 v19, 0
	v_dual_mov_b32 v20, 0 :: v_dual_mov_b32 v21, 0
	;; [unrolled: 1-line block ×4, first 2 shown]
	s_mov_b64 s[20:21], 0
	v_mad_u32 v11, s5, s2, v11
	v_mad_u32 v13, s13, s2, v13
.LBB342_5:                              ;   Parent Loop BB342_3 Depth=1
                                        ; =>  This Inner Loop Header: Depth=2
	global_load_u16 v26, v[12:13], off
	global_load_u16 v27, v[10:11], off
	s_add_nc_u64 s[20:21], s[20:21], 4
	s_wait_xcnt 0x0
	v_add_nc_u64_e32 v[10:11], s[6:7], v[10:11]
	v_cmp_lt_i64_e64 s24, s[20:21], s[28:29]
	v_add_nc_u64_e32 v[12:13], s[14:15], v[12:13]
	s_wait_loadcnt 0x1
	ds_store_b16 v14, v26
	s_wait_loadcnt 0x0
	ds_store_b16 v15, v27
	s_wait_dscnt 0x0
	s_barrier_signal -1
	s_barrier_wait -1
	ds_load_u16 v34, v16
	ds_load_u16 v35, v16 offset:32
	ds_load_u16 v36, v16 offset:64
	;; [unrolled: 1-line block ×15, first 2 shown]
	ds_load_2addr_b64 v[26:29], v17 offset1:16
	ds_load_2addr_b64 v[30:33], v17 offset0:32 offset1:48
	s_and_b32 vcc_lo, exec_lo, s24
	s_wait_dscnt 0x0
	s_barrier_signal -1
	v_perm_b32 v34, v34, v35, 0x5040100
	s_barrier_wait -1
	v_perm_b32 v36, v36, v37, 0x5040100
	v_perm_b32 v35, v38, v39, 0x5040100
	;; [unrolled: 1-line block ×7, first 2 shown]
	v_pk_fma_f16 v25, v34, v26, v25 op_sel_hi:[1,0,1]
	v_pk_fma_f16 v24, v36, v26, v24 op_sel_hi:[1,0,1]
	;; [unrolled: 1-line block ×8, first 2 shown]
	v_pk_fma_f16 v25, v35, v26, v25 op_sel:[0,1,0]
	v_pk_fma_f16 v24, v37, v26, v24 op_sel:[0,1,0]
	;; [unrolled: 1-line block ×8, first 2 shown]
	v_pk_fma_f16 v25, v38, v27, v25 op_sel_hi:[1,0,1]
	v_pk_fma_f16 v24, v40, v27, v24 op_sel_hi:[1,0,1]
	;; [unrolled: 1-line block ×8, first 2 shown]
	v_pk_fma_f16 v25, v39, v27, v25 op_sel:[0,1,0]
	v_pk_fma_f16 v24, v41, v27, v24 op_sel:[0,1,0]
	;; [unrolled: 1-line block ×8, first 2 shown]
	s_cbranch_vccnz .LBB342_5
	s_branch .LBB342_7
.LBB342_6:                              ;   in Loop: Header=BB342_3 Depth=1
	v_dual_mov_b32 v25, 0 :: v_dual_mov_b32 v24, 0
	s_wait_xcnt 0x1
	v_dual_mov_b32 v23, 0 :: v_dual_mov_b32 v22, 0
	v_dual_mov_b32 v21, 0 :: v_dual_mov_b32 v20, 0
	;; [unrolled: 1-line block ×3, first 2 shown]
.LBB342_7:                              ;   in Loop: Header=BB342_3 Depth=1
	s_mul_u64 s[20:21], s[22:23], s[2:3]
	v_dual_lshrrev_b32 v33, 16, v25 :: v_dual_lshrrev_b32 v32, 16, v24
	s_lshl_b64 s[20:21], s[20:21], 1
	v_dual_lshrrev_b32 v31, 16, v23 :: v_dual_lshrrev_b32 v30, 16, v22
	s_add_nc_u64 s[20:21], s[10:11], s[20:21]
	v_dual_lshrrev_b32 v29, 16, v21 :: v_dual_lshrrev_b32 v28, 16, v20
	s_wait_xcnt 0x0
	v_lshl_add_u64 v[10:11], v[0:1], 1, s[20:21]
	v_dual_lshrrev_b32 v27, 16, v19 :: v_dual_lshrrev_b32 v26, 16, v18
	s_and_not1_b32 vcc_lo, exec_lo, s1
	s_delay_alu instid0(VALU_DEP_2)
	v_add_nc_u64_e32 v[12:13], v[10:11], v[8:9]
	v_add_nc_u64_e32 v[10:11], s[16:17], v[10:11]
	s_cbranch_vccnz .LBB342_9
; %bb.8:                                ;   in Loop: Header=BB342_3 Depth=1
	v_mul_f16_e32 v36, s30, v33
	v_mul_f16_e32 v37, s30, v25
	s_delay_alu instid0(VALU_DEP_3)
	v_add_nc_u64_e32 v[34:35], s[16:17], v[10:11]
	v_mul_f16_e32 v38, s30, v32
	v_mul_f16_e32 v39, s30, v24
	s_clause 0x3
	global_store_b16 v[12:13], v36, off
	global_store_b16 v[12:13], v37, off offset:32
	global_store_b16 v[12:13], v38, off offset:64
	global_store_b16 v[12:13], v39, off offset:96
	s_wait_xcnt 0x2
	v_add_nc_u64_e32 v[36:37], v[10:11], v[8:9]
	v_mul_f16_e32 v40, s30, v31
	v_mul_f16_e32 v41, s30, v23
	s_wait_xcnt 0x0
	v_add_nc_u64_e32 v[38:39], v[34:35], v[8:9]
	v_add_nc_u64_e32 v[34:35], s[16:17], v[34:35]
	v_mul_f16_e32 v42, s30, v30
	v_mul_f16_e32 v43, s30, v22
	s_clause 0x3
	global_store_b16 v[36:37], v40, off
	global_store_b16 v[36:37], v41, off offset:32
	global_store_b16 v[36:37], v42, off offset:64
	;; [unrolled: 1-line block ×3, first 2 shown]
	s_wait_xcnt 0x0
	v_mul_f16_e32 v36, s30, v29
	v_mul_f16_e32 v37, s30, v21
	;; [unrolled: 1-line block ×4, first 2 shown]
	v_add_nc_u64_e32 v[34:35], v[34:35], v[8:9]
	s_clause 0x3
	global_store_b16 v[38:39], v36, off
	global_store_b16 v[38:39], v37, off offset:32
	global_store_b16 v[38:39], v40, off offset:64
	;; [unrolled: 1-line block ×3, first 2 shown]
	s_wait_xcnt 0x3
	v_mul_f16_e32 v36, s30, v27
	s_wait_xcnt 0x2
	v_mul_f16_e32 v37, s30, v19
	;; [unrolled: 2-line block ×3, first 2 shown]
	v_mul_f16_e32 v39, s30, v18
	s_clause 0x3
	global_store_b16 v[34:35], v36, off
	global_store_b16 v[34:35], v37, off offset:32
	global_store_b16 v[34:35], v38, off offset:64
	;; [unrolled: 1-line block ×3, first 2 shown]
	s_cbranch_execnz .LBB342_2
	s_branch .LBB342_10
.LBB342_9:                              ;   in Loop: Header=BB342_3 Depth=1
.LBB342_10:                             ;   in Loop: Header=BB342_3 Depth=1
	s_mul_u64 s[20:21], s[8:9], s[2:3]
	s_wait_xcnt 0x0
	v_lshl_add_u64 v[34:35], s[20:21], 1, v[2:3]
	s_delay_alu instid0(VALU_DEP_1) | instskip(SKIP_3) | instid1(VALU_DEP_1)
	v_add_nc_u64_e32 v[36:37], v[34:35], v[8:9]
	global_load_u16 v38, v[36:37], off
	s_wait_loadcnt 0x0
	v_mul_f16_e32 v38, s33, v38
	v_fmac_f16_e32 v38, s30, v33
	global_store_b16 v[12:13], v38, off
	global_load_u16 v33, v[36:37], off offset:32
	s_wait_loadcnt 0x0
	v_mul_f16_e32 v33, s33, v33
	s_delay_alu instid0(VALU_DEP_1) | instskip(SKIP_4) | instid1(VALU_DEP_1)
	v_fmac_f16_e32 v33, s30, v25
	global_store_b16 v[12:13], v33, off offset:32
	global_load_u16 v25, v[36:37], off offset:64
	s_wait_loadcnt 0x0
	v_mul_f16_e32 v25, s33, v25
	v_fmac_f16_e32 v25, s30, v32
	s_wait_xcnt 0x1
	v_add_nc_u64_e32 v[32:33], s[18:19], v[34:35]
	global_store_b16 v[12:13], v25, off offset:64
	global_load_u16 v25, v[36:37], off offset:96
	v_add_nc_u64_e32 v[34:35], v[32:33], v[8:9]
	s_wait_loadcnt 0x0
	v_mul_f16_e32 v25, s33, v25
	s_delay_alu instid0(VALU_DEP_1)
	v_fmac_f16_e32 v25, s30, v24
	global_store_b16 v[12:13], v25, off offset:96
	global_load_u16 v12, v[34:35], off
	s_wait_loadcnt 0x0
	v_mul_f16_e32 v24, s33, v12
	v_add_nc_u64_e32 v[12:13], v[10:11], v[8:9]
	v_add_nc_u64_e32 v[10:11], s[16:17], v[10:11]
	s_delay_alu instid0(VALU_DEP_3) | instskip(SKIP_4) | instid1(VALU_DEP_1)
	v_fmac_f16_e32 v24, s30, v31
	global_store_b16 v[12:13], v24, off
	global_load_u16 v24, v[34:35], off offset:32
	s_wait_loadcnt 0x0
	v_mul_f16_e32 v24, s33, v24
	v_fmac_f16_e32 v24, s30, v23
	global_store_b16 v[12:13], v24, off offset:32
	global_load_u16 v23, v[34:35], off offset:64
	s_wait_xcnt 0x1
	v_add_nc_u64_e32 v[24:25], s[18:19], v[32:33]
	s_wait_loadcnt 0x0
	v_mul_f16_e32 v23, s33, v23
	s_delay_alu instid0(VALU_DEP_1) | instskip(NEXT) | instid1(VALU_DEP_3)
	v_fmac_f16_e32 v23, s30, v30
	v_add_nc_u64_e32 v[30:31], v[24:25], v[8:9]
	global_store_b16 v[12:13], v23, off offset:64
	global_load_u16 v23, v[34:35], off offset:96
	s_wait_loadcnt 0x0
	v_mul_f16_e32 v23, s33, v23
	s_delay_alu instid0(VALU_DEP_1)
	v_fmac_f16_e32 v23, s30, v22
	global_store_b16 v[12:13], v23, off offset:96
	global_load_u16 v12, v[30:31], off
	s_wait_loadcnt 0x0
	v_mul_f16_e32 v22, s33, v12
	v_add_nc_u64_e32 v[12:13], v[10:11], v[8:9]
	v_add_nc_u64_e32 v[10:11], s[16:17], v[10:11]
	s_delay_alu instid0(VALU_DEP_3) | instskip(NEXT) | instid1(VALU_DEP_2)
	v_fmac_f16_e32 v22, s30, v29
	v_add_nc_u64_e32 v[10:11], v[10:11], v[8:9]
	global_store_b16 v[12:13], v22, off
	global_load_u16 v22, v[30:31], off offset:32
	s_wait_loadcnt 0x0
	v_mul_f16_e32 v22, s33, v22
	s_delay_alu instid0(VALU_DEP_1) | instskip(SKIP_4) | instid1(VALU_DEP_1)
	v_fmac_f16_e32 v22, s30, v21
	global_store_b16 v[12:13], v22, off offset:32
	global_load_u16 v21, v[30:31], off offset:64
	s_wait_xcnt 0x1
	v_add_nc_u64_e32 v[22:23], s[18:19], v[24:25]
	v_add_nc_u64_e32 v[22:23], v[22:23], v[8:9]
	s_wait_loadcnt 0x0
	v_mul_f16_e32 v21, s33, v21
	s_delay_alu instid0(VALU_DEP_1) | instskip(SKIP_4) | instid1(VALU_DEP_1)
	v_fmac_f16_e32 v21, s30, v28
	global_store_b16 v[12:13], v21, off offset:64
	global_load_u16 v21, v[30:31], off offset:96
	s_wait_loadcnt 0x0
	v_mul_f16_e32 v21, s33, v21
	v_fmac_f16_e32 v21, s30, v20
	global_store_b16 v[12:13], v21, off offset:96
	global_load_u16 v12, v[22:23], off
	s_wait_loadcnt 0x0
	v_mul_f16_e32 v12, s33, v12
	s_delay_alu instid0(VALU_DEP_1) | instskip(SKIP_4) | instid1(VALU_DEP_1)
	v_fmac_f16_e32 v12, s30, v27
	global_store_b16 v[10:11], v12, off
	global_load_u16 v12, v[22:23], off offset:32
	s_wait_loadcnt 0x0
	v_mul_f16_e32 v12, s33, v12
	v_fmac_f16_e32 v12, s30, v19
	global_store_b16 v[10:11], v12, off offset:32
	global_load_u16 v12, v[22:23], off offset:64
	s_wait_loadcnt 0x0
	v_mul_f16_e32 v12, s33, v12
	s_delay_alu instid0(VALU_DEP_1) | instskip(SKIP_4) | instid1(VALU_DEP_1)
	v_fmac_f16_e32 v12, s30, v26
	global_store_b16 v[10:11], v12, off offset:64
	global_load_u16 v12, v[22:23], off offset:96
	s_wait_loadcnt 0x0
	v_mul_f16_e32 v12, s33, v12
	v_fmac_f16_e32 v12, s30, v18
	global_store_b16 v[10:11], v12, off offset:96
	s_branch .LBB342_2
.LBB342_11:
	s_endpgm
	.section	.rodata,"a",@progbits
	.p2align	6, 0x0
	.amdhsa_kernel _ZN12_GLOBAL__N_127rocblas_gemm_batched_kernelIDF16_Li16ELi16ELi64ELi64ELi4ELi64ELi4ELi4ELi64ELc78ELc67EKDF16_S1_DF16_EEvlllT_PT11_llS4_llS2_PT12_llPT13_lli
		.amdhsa_group_segment_fixed_size 1024
		.amdhsa_private_segment_fixed_size 0
		.amdhsa_kernarg_size 140
		.amdhsa_user_sgpr_count 2
		.amdhsa_user_sgpr_dispatch_ptr 0
		.amdhsa_user_sgpr_queue_ptr 0
		.amdhsa_user_sgpr_kernarg_segment_ptr 1
		.amdhsa_user_sgpr_dispatch_id 0
		.amdhsa_user_sgpr_kernarg_preload_length 0
		.amdhsa_user_sgpr_kernarg_preload_offset 0
		.amdhsa_user_sgpr_private_segment_size 0
		.amdhsa_wavefront_size32 1
		.amdhsa_uses_dynamic_stack 0
		.amdhsa_enable_private_segment 0
		.amdhsa_system_sgpr_workgroup_id_x 1
		.amdhsa_system_sgpr_workgroup_id_y 1
		.amdhsa_system_sgpr_workgroup_id_z 1
		.amdhsa_system_sgpr_workgroup_info 0
		.amdhsa_system_vgpr_workitem_id 1
		.amdhsa_next_free_vgpr 50
		.amdhsa_next_free_sgpr 38
		.amdhsa_named_barrier_count 0
		.amdhsa_reserve_vcc 1
		.amdhsa_float_round_mode_32 0
		.amdhsa_float_round_mode_16_64 0
		.amdhsa_float_denorm_mode_32 3
		.amdhsa_float_denorm_mode_16_64 3
		.amdhsa_fp16_overflow 0
		.amdhsa_memory_ordered 1
		.amdhsa_forward_progress 1
		.amdhsa_inst_pref_size 19
		.amdhsa_round_robin_scheduling 0
		.amdhsa_exception_fp_ieee_invalid_op 0
		.amdhsa_exception_fp_denorm_src 0
		.amdhsa_exception_fp_ieee_div_zero 0
		.amdhsa_exception_fp_ieee_overflow 0
		.amdhsa_exception_fp_ieee_underflow 0
		.amdhsa_exception_fp_ieee_inexact 0
		.amdhsa_exception_int_div_zero 0
	.end_amdhsa_kernel
	.section	.text._ZN12_GLOBAL__N_127rocblas_gemm_batched_kernelIDF16_Li16ELi16ELi64ELi64ELi4ELi64ELi4ELi4ELi64ELc78ELc67EKDF16_S1_DF16_EEvlllT_PT11_llS4_llS2_PT12_llPT13_lli,"axG",@progbits,_ZN12_GLOBAL__N_127rocblas_gemm_batched_kernelIDF16_Li16ELi16ELi64ELi64ELi4ELi64ELi4ELi4ELi64ELc78ELc67EKDF16_S1_DF16_EEvlllT_PT11_llS4_llS2_PT12_llPT13_lli,comdat
.Lfunc_end342:
	.size	_ZN12_GLOBAL__N_127rocblas_gemm_batched_kernelIDF16_Li16ELi16ELi64ELi64ELi4ELi64ELi4ELi4ELi64ELc78ELc67EKDF16_S1_DF16_EEvlllT_PT11_llS4_llS2_PT12_llPT13_lli, .Lfunc_end342-_ZN12_GLOBAL__N_127rocblas_gemm_batched_kernelIDF16_Li16ELi16ELi64ELi64ELi4ELi64ELi4ELi4ELi64ELc78ELc67EKDF16_S1_DF16_EEvlllT_PT11_llS4_llS2_PT12_llPT13_lli
                                        ; -- End function
	.set _ZN12_GLOBAL__N_127rocblas_gemm_batched_kernelIDF16_Li16ELi16ELi64ELi64ELi4ELi64ELi4ELi4ELi64ELc78ELc67EKDF16_S1_DF16_EEvlllT_PT11_llS4_llS2_PT12_llPT13_lli.num_vgpr, 50
	.set _ZN12_GLOBAL__N_127rocblas_gemm_batched_kernelIDF16_Li16ELi16ELi64ELi64ELi4ELi64ELi4ELi4ELi64ELc78ELc67EKDF16_S1_DF16_EEvlllT_PT11_llS4_llS2_PT12_llPT13_lli.num_agpr, 0
	.set _ZN12_GLOBAL__N_127rocblas_gemm_batched_kernelIDF16_Li16ELi16ELi64ELi64ELi4ELi64ELi4ELi4ELi64ELc78ELc67EKDF16_S1_DF16_EEvlllT_PT11_llS4_llS2_PT12_llPT13_lli.numbered_sgpr, 38
	.set _ZN12_GLOBAL__N_127rocblas_gemm_batched_kernelIDF16_Li16ELi16ELi64ELi64ELi4ELi64ELi4ELi4ELi64ELc78ELc67EKDF16_S1_DF16_EEvlllT_PT11_llS4_llS2_PT12_llPT13_lli.num_named_barrier, 0
	.set _ZN12_GLOBAL__N_127rocblas_gemm_batched_kernelIDF16_Li16ELi16ELi64ELi64ELi4ELi64ELi4ELi4ELi64ELc78ELc67EKDF16_S1_DF16_EEvlllT_PT11_llS4_llS2_PT12_llPT13_lli.private_seg_size, 0
	.set _ZN12_GLOBAL__N_127rocblas_gemm_batched_kernelIDF16_Li16ELi16ELi64ELi64ELi4ELi64ELi4ELi4ELi64ELc78ELc67EKDF16_S1_DF16_EEvlllT_PT11_llS4_llS2_PT12_llPT13_lli.uses_vcc, 1
	.set _ZN12_GLOBAL__N_127rocblas_gemm_batched_kernelIDF16_Li16ELi16ELi64ELi64ELi4ELi64ELi4ELi4ELi64ELc78ELc67EKDF16_S1_DF16_EEvlllT_PT11_llS4_llS2_PT12_llPT13_lli.uses_flat_scratch, 0
	.set _ZN12_GLOBAL__N_127rocblas_gemm_batched_kernelIDF16_Li16ELi16ELi64ELi64ELi4ELi64ELi4ELi4ELi64ELc78ELc67EKDF16_S1_DF16_EEvlllT_PT11_llS4_llS2_PT12_llPT13_lli.has_dyn_sized_stack, 0
	.set _ZN12_GLOBAL__N_127rocblas_gemm_batched_kernelIDF16_Li16ELi16ELi64ELi64ELi4ELi64ELi4ELi4ELi64ELc78ELc67EKDF16_S1_DF16_EEvlllT_PT11_llS4_llS2_PT12_llPT13_lli.has_recursion, 0
	.set _ZN12_GLOBAL__N_127rocblas_gemm_batched_kernelIDF16_Li16ELi16ELi64ELi64ELi4ELi64ELi4ELi4ELi64ELc78ELc67EKDF16_S1_DF16_EEvlllT_PT11_llS4_llS2_PT12_llPT13_lli.has_indirect_call, 0
	.section	.AMDGPU.csdata,"",@progbits
; Kernel info:
; codeLenInByte = 2348
; TotalNumSgprs: 40
; NumVgprs: 50
; ScratchSize: 0
; MemoryBound: 0
; FloatMode: 240
; IeeeMode: 1
; LDSByteSize: 1024 bytes/workgroup (compile time only)
; SGPRBlocks: 0
; VGPRBlocks: 3
; NumSGPRsForWavesPerEU: 40
; NumVGPRsForWavesPerEU: 50
; NamedBarCnt: 0
; Occupancy: 16
; WaveLimiterHint : 0
; COMPUTE_PGM_RSRC2:SCRATCH_EN: 0
; COMPUTE_PGM_RSRC2:USER_SGPR: 2
; COMPUTE_PGM_RSRC2:TRAP_HANDLER: 0
; COMPUTE_PGM_RSRC2:TGID_X_EN: 1
; COMPUTE_PGM_RSRC2:TGID_Y_EN: 1
; COMPUTE_PGM_RSRC2:TGID_Z_EN: 1
; COMPUTE_PGM_RSRC2:TIDIG_COMP_CNT: 1
	.section	.text._ZN12_GLOBAL__N_127rocblas_gemm_batched_kernelIDF16_Li16ELi16ELi64ELi64ELi4ELi64ELi4ELi4ELi64ELc84ELc67EKDF16_S1_DF16_EEvlllT_PT11_llS4_llS2_PT12_llPT13_lli,"axG",@progbits,_ZN12_GLOBAL__N_127rocblas_gemm_batched_kernelIDF16_Li16ELi16ELi64ELi64ELi4ELi64ELi4ELi4ELi64ELc84ELc67EKDF16_S1_DF16_EEvlllT_PT11_llS4_llS2_PT12_llPT13_lli,comdat
	.globl	_ZN12_GLOBAL__N_127rocblas_gemm_batched_kernelIDF16_Li16ELi16ELi64ELi64ELi4ELi64ELi4ELi4ELi64ELc84ELc67EKDF16_S1_DF16_EEvlllT_PT11_llS4_llS2_PT12_llPT13_lli ; -- Begin function _ZN12_GLOBAL__N_127rocblas_gemm_batched_kernelIDF16_Li16ELi16ELi64ELi64ELi4ELi64ELi4ELi4ELi64ELc84ELc67EKDF16_S1_DF16_EEvlllT_PT11_llS4_llS2_PT12_llPT13_lli
	.p2align	8
	.type	_ZN12_GLOBAL__N_127rocblas_gemm_batched_kernelIDF16_Li16ELi16ELi64ELi64ELi4ELi64ELi4ELi4ELi64ELc84ELc67EKDF16_S1_DF16_EEvlllT_PT11_llS4_llS2_PT12_llPT13_lli,@function
_ZN12_GLOBAL__N_127rocblas_gemm_batched_kernelIDF16_Li16ELi16ELi64ELi64ELi4ELi64ELi4ELi4ELi64ELc84ELc67EKDF16_S1_DF16_EEvlllT_PT11_llS4_llS2_PT12_llPT13_lli: ; @_ZN12_GLOBAL__N_127rocblas_gemm_batched_kernelIDF16_Li16ELi16ELi64ELi64ELi4ELi64ELi4ELi4ELi64ELc84ELc67EKDF16_S1_DF16_EEvlllT_PT11_llS4_llS2_PT12_llPT13_lli
; %bb.0:
	s_load_b32 s31, s[0:1], 0x88
	s_bfe_u32 s2, ttmp6, 0x40014
	s_lshr_b32 s3, ttmp7, 16
	s_add_co_i32 s2, s2, 1
	s_bfe_u32 s4, ttmp6, 0x40008
	s_mul_i32 s2, s3, s2
	s_getreg_b32 s20, hwreg(HW_REG_IB_STS2, 6, 4)
	s_add_co_i32 s4, s4, s2
	s_cmp_eq_u32 s20, 0
	s_cselect_b32 s2, s3, s4
	s_mov_b32 s3, 0
	s_wait_kmcnt 0x0
	s_cmp_ge_i32 s2, s31
	s_cbranch_scc1 .LBB343_11
; %bb.1:
	s_bfe_u32 s21, ttmp6, 0x4000c
	s_bfe_u32 s23, ttmp6, 0x40010
	v_bfe_u32 v4, v0, 10, 10
	v_and_b32_e32 v2, 0x3ff, v0
	s_add_co_i32 s21, s21, 1
	s_and_b32 s28, ttmp7, 0xffff
	s_add_co_i32 s23, s23, 1
	s_clause 0x2
	s_load_b256 s[12:19], s[0:1], 0x20
	s_load_b128 s[24:27], s[0:1], 0x40
	s_load_b256 s[4:11], s[0:1], 0x58
	s_and_b32 s22, ttmp6, 15
	s_mul_i32 s21, ttmp9, s21
	s_mul_i32 s23, s28, s23
	s_bfe_u32 s29, ttmp6, 0x40004
	v_lshl_add_u32 v1, v4, 4, v2
	s_add_co_i32 s22, s22, s21
	s_add_co_i32 s29, s29, s23
	s_cmp_eq_u32 s20, 0
	s_delay_alu instid0(VALU_DEP_1)
	v_dual_mov_b32 v5, 0 :: v_dual_bitop2_b32 v3, 63, v1 bitop3:0x40
	s_cselect_b32 s20, ttmp9, s22
	s_cselect_b32 s22, s28, s29
	s_ashr_i32 s21, s20, 31
	s_lshl_b32 s34, s22, 6
	s_lshl_b64 s[36:37], s[20:21], 6
	s_load_b128 s[20:23], s[0:1], 0x78
	s_mov_b32 s35, s3
	v_dual_mov_b32 v9, s37 :: v_dual_bitop2_b32 v8, s36, v3 bitop3:0x54
	v_add_nc_u64_e32 v[6:7], s[34:35], v[4:5]
	v_dual_lshrrev_b32 v10, 2, v1 :: v_dual_bitop2_b32 v14, 3, v0 bitop3:0x40
	v_mov_b32_e32 v11, v5
	s_wait_kmcnt 0x0
	v_mul_u64_e32 v[8:9], s[14:15], v[8:9]
	s_clause 0x1
	s_load_b32 s33, s[0:1], 0x50
	s_load_b96 s[28:30], s[0:1], 0x10
	v_mul_u64_e32 v[12:13], s[6:7], v[6:7]
	v_lshlrev_b32_e32 v15, 1, v14
	v_mad_nc_u64_u32 v[18:19], s24, v14, v[10:11]
	v_lshrrev_b32_e32 v11, 6, v1
	v_lshl_add_u32 v17, v4, 3, 0x200
	v_lshlrev_b32_e32 v16, 1, v2
	v_mul_u64_e32 v[0:1], s[20:21], v[6:7]
	v_lshlrev_b32_e32 v6, 1, v3
	v_lshl_or_b32 v7, v10, 3, v15
	v_mov_b32_e32 v3, v5
	v_mad_u32 v19, s25, v14, v19
	v_lshlrev_b32_e32 v4, 1, v11
	v_lshl_or_b32 v14, v11, 7, v6
	v_add_nc_u32_e32 v15, 0x200, v7
	v_add_nc_u64_e32 v[10:11], s[36:37], v[2:3]
	s_wait_kmcnt 0x0
	s_cmp_eq_f16 s33, 0
	v_cmp_gt_i64_e64 s0, s[28:29], 0
	s_cselect_b32 s1, -1, 0
	s_lshl_b64 s[14:15], s[20:21], 4
	v_add_nc_u64_e32 v[6:7], s[34:35], v[18:19]
	s_lshl_b64 s[20:21], s[6:7], 4
	s_lshl_b64 s[6:7], s[24:25], 3
	;; [unrolled: 1-line block ×3, first 2 shown]
	v_lshl_add_u64 v[8:9], v[8:9], 1, v[4:5]
	s_delay_alu instid0(VALU_DEP_2) | instskip(SKIP_2) | instid1(VALU_DEP_4)
	v_lshl_add_u64 v[4:5], v[6:7], 1, s[18:19]
	v_lshl_add_u64 v[2:3], v[12:13], 1, s[4:5]
	v_cndmask_b32_e64 v12, 0, 1, s0
	v_add_nc_u64_e32 v[6:7], s[12:13], v[8:9]
	v_lshlrev_b64_e32 v[8:9], 1, v[10:11]
	s_lshl_b64 s[4:5], s[26:27], 1
	s_lshl_b64 s[12:13], s[16:17], 1
	v_cmp_ne_u32_e64 s0, 1, v12
	s_lshl_b64 s[16:17], s[20:21], 1
	s_branch .LBB343_3
.LBB343_2:                              ;   in Loop: Header=BB343_3 Depth=1
	s_add_co_i32 s2, s2, 0x10000
	s_delay_alu instid0(SALU_CYCLE_1)
	s_cmp_lt_i32 s2, s31
	s_cbranch_scc0 .LBB343_11
.LBB343_3:                              ; =>This Loop Header: Depth=1
                                        ;     Child Loop BB343_5 Depth 2
	s_and_b32 vcc_lo, exec_lo, s0
	s_cbranch_vccnz .LBB343_6
; %bb.4:                                ;   in Loop: Header=BB343_3 Depth=1
	s_wait_xcnt 0x0
	v_mad_nc_u64_u32 v[10:11], s4, s2, v[4:5]
	v_mad_nc_u64_u32 v[12:13], s12, s2, v[6:7]
	v_dual_mov_b32 v18, 0 :: v_dual_mov_b32 v19, 0
	v_dual_mov_b32 v20, 0 :: v_dual_mov_b32 v21, 0
	;; [unrolled: 1-line block ×4, first 2 shown]
	s_mov_b64 s[18:19], 0
	v_mad_u32 v11, s5, s2, v11
	v_mad_u32 v13, s13, s2, v13
.LBB343_5:                              ;   Parent Loop BB343_3 Depth=1
                                        ; =>  This Inner Loop Header: Depth=2
	global_load_u16 v26, v[12:13], off
	global_load_u16 v27, v[10:11], off
	s_add_nc_u64 s[18:19], s[18:19], 4
	s_wait_xcnt 0x0
	v_add_nc_u64_e32 v[10:11], s[6:7], v[10:11]
	v_cmp_lt_i64_e64 s20, s[18:19], s[28:29]
	v_add_nc_u64_e32 v[12:13], 8, v[12:13]
	s_wait_loadcnt 0x1
	ds_store_b16 v14, v26
	s_wait_loadcnt 0x0
	ds_store_b16 v15, v27
	s_wait_dscnt 0x0
	s_barrier_signal -1
	s_barrier_wait -1
	ds_load_u16 v34, v16
	ds_load_u16 v35, v16 offset:32
	ds_load_u16 v36, v16 offset:64
	;; [unrolled: 1-line block ×15, first 2 shown]
	ds_load_2addr_b64 v[26:29], v17 offset1:16
	ds_load_2addr_b64 v[30:33], v17 offset0:32 offset1:48
	s_and_b32 vcc_lo, exec_lo, s20
	s_wait_dscnt 0x0
	s_barrier_signal -1
	v_perm_b32 v34, v34, v35, 0x5040100
	s_barrier_wait -1
	v_perm_b32 v36, v36, v37, 0x5040100
	v_perm_b32 v35, v38, v39, 0x5040100
	;; [unrolled: 1-line block ×7, first 2 shown]
	v_pk_fma_f16 v25, v34, v26, v25 op_sel_hi:[1,0,1]
	v_pk_fma_f16 v24, v36, v26, v24 op_sel_hi:[1,0,1]
	;; [unrolled: 1-line block ×8, first 2 shown]
	v_pk_fma_f16 v25, v35, v26, v25 op_sel:[0,1,0]
	v_pk_fma_f16 v24, v37, v26, v24 op_sel:[0,1,0]
	;; [unrolled: 1-line block ×8, first 2 shown]
	v_pk_fma_f16 v25, v38, v27, v25 op_sel_hi:[1,0,1]
	v_pk_fma_f16 v24, v40, v27, v24 op_sel_hi:[1,0,1]
	;; [unrolled: 1-line block ×8, first 2 shown]
	v_pk_fma_f16 v25, v39, v27, v25 op_sel:[0,1,0]
	v_pk_fma_f16 v24, v41, v27, v24 op_sel:[0,1,0]
	;; [unrolled: 1-line block ×8, first 2 shown]
	s_cbranch_vccnz .LBB343_5
	s_branch .LBB343_7
.LBB343_6:                              ;   in Loop: Header=BB343_3 Depth=1
	v_dual_mov_b32 v25, 0 :: v_dual_mov_b32 v24, 0
	s_wait_xcnt 0x1
	v_dual_mov_b32 v23, 0 :: v_dual_mov_b32 v22, 0
	v_dual_mov_b32 v21, 0 :: v_dual_mov_b32 v20, 0
	;; [unrolled: 1-line block ×3, first 2 shown]
.LBB343_7:                              ;   in Loop: Header=BB343_3 Depth=1
	s_mul_u64 s[18:19], s[22:23], s[2:3]
	v_dual_lshrrev_b32 v33, 16, v25 :: v_dual_lshrrev_b32 v32, 16, v24
	s_lshl_b64 s[18:19], s[18:19], 1
	v_dual_lshrrev_b32 v31, 16, v23 :: v_dual_lshrrev_b32 v30, 16, v22
	s_add_nc_u64 s[18:19], s[10:11], s[18:19]
	v_dual_lshrrev_b32 v29, 16, v21 :: v_dual_lshrrev_b32 v28, 16, v20
	s_wait_xcnt 0x0
	v_lshl_add_u64 v[10:11], v[0:1], 1, s[18:19]
	v_dual_lshrrev_b32 v27, 16, v19 :: v_dual_lshrrev_b32 v26, 16, v18
	s_and_not1_b32 vcc_lo, exec_lo, s1
	s_delay_alu instid0(VALU_DEP_2)
	v_add_nc_u64_e32 v[12:13], v[10:11], v[8:9]
	v_add_nc_u64_e32 v[10:11], s[14:15], v[10:11]
	s_cbranch_vccnz .LBB343_9
; %bb.8:                                ;   in Loop: Header=BB343_3 Depth=1
	v_mul_f16_e32 v36, s30, v33
	v_mul_f16_e32 v37, s30, v25
	s_delay_alu instid0(VALU_DEP_3)
	v_add_nc_u64_e32 v[34:35], s[14:15], v[10:11]
	v_mul_f16_e32 v38, s30, v32
	v_mul_f16_e32 v39, s30, v24
	s_clause 0x3
	global_store_b16 v[12:13], v36, off
	global_store_b16 v[12:13], v37, off offset:32
	global_store_b16 v[12:13], v38, off offset:64
	;; [unrolled: 1-line block ×3, first 2 shown]
	s_wait_xcnt 0x2
	v_add_nc_u64_e32 v[36:37], v[10:11], v[8:9]
	v_mul_f16_e32 v40, s30, v31
	v_mul_f16_e32 v41, s30, v23
	s_wait_xcnt 0x0
	v_add_nc_u64_e32 v[38:39], v[34:35], v[8:9]
	v_add_nc_u64_e32 v[34:35], s[14:15], v[34:35]
	v_mul_f16_e32 v42, s30, v30
	v_mul_f16_e32 v43, s30, v22
	s_clause 0x3
	global_store_b16 v[36:37], v40, off
	global_store_b16 v[36:37], v41, off offset:32
	global_store_b16 v[36:37], v42, off offset:64
	global_store_b16 v[36:37], v43, off offset:96
	s_wait_xcnt 0x0
	v_mul_f16_e32 v36, s30, v29
	v_mul_f16_e32 v37, s30, v21
	v_mul_f16_e32 v40, s30, v28
	v_mul_f16_e32 v41, s30, v20
	v_add_nc_u64_e32 v[34:35], v[34:35], v[8:9]
	s_clause 0x3
	global_store_b16 v[38:39], v36, off
	global_store_b16 v[38:39], v37, off offset:32
	global_store_b16 v[38:39], v40, off offset:64
	;; [unrolled: 1-line block ×3, first 2 shown]
	s_wait_xcnt 0x3
	v_mul_f16_e32 v36, s30, v27
	s_wait_xcnt 0x2
	v_mul_f16_e32 v37, s30, v19
	;; [unrolled: 2-line block ×3, first 2 shown]
	v_mul_f16_e32 v39, s30, v18
	s_clause 0x3
	global_store_b16 v[34:35], v36, off
	global_store_b16 v[34:35], v37, off offset:32
	global_store_b16 v[34:35], v38, off offset:64
	;; [unrolled: 1-line block ×3, first 2 shown]
	s_cbranch_execnz .LBB343_2
	s_branch .LBB343_10
.LBB343_9:                              ;   in Loop: Header=BB343_3 Depth=1
.LBB343_10:                             ;   in Loop: Header=BB343_3 Depth=1
	s_mul_u64 s[18:19], s[8:9], s[2:3]
	s_wait_xcnt 0x0
	v_lshl_add_u64 v[34:35], s[18:19], 1, v[2:3]
	s_delay_alu instid0(VALU_DEP_1) | instskip(SKIP_3) | instid1(VALU_DEP_1)
	v_add_nc_u64_e32 v[36:37], v[34:35], v[8:9]
	global_load_u16 v38, v[36:37], off
	s_wait_loadcnt 0x0
	v_mul_f16_e32 v38, s33, v38
	v_fmac_f16_e32 v38, s30, v33
	global_store_b16 v[12:13], v38, off
	global_load_u16 v33, v[36:37], off offset:32
	s_wait_loadcnt 0x0
	v_mul_f16_e32 v33, s33, v33
	s_delay_alu instid0(VALU_DEP_1) | instskip(SKIP_4) | instid1(VALU_DEP_1)
	v_fmac_f16_e32 v33, s30, v25
	global_store_b16 v[12:13], v33, off offset:32
	global_load_u16 v25, v[36:37], off offset:64
	s_wait_loadcnt 0x0
	v_mul_f16_e32 v25, s33, v25
	v_fmac_f16_e32 v25, s30, v32
	s_wait_xcnt 0x1
	v_add_nc_u64_e32 v[32:33], s[16:17], v[34:35]
	global_store_b16 v[12:13], v25, off offset:64
	global_load_u16 v25, v[36:37], off offset:96
	v_add_nc_u64_e32 v[34:35], v[32:33], v[8:9]
	s_wait_loadcnt 0x0
	v_mul_f16_e32 v25, s33, v25
	s_delay_alu instid0(VALU_DEP_1)
	v_fmac_f16_e32 v25, s30, v24
	global_store_b16 v[12:13], v25, off offset:96
	global_load_u16 v12, v[34:35], off
	s_wait_loadcnt 0x0
	v_mul_f16_e32 v24, s33, v12
	v_add_nc_u64_e32 v[12:13], v[10:11], v[8:9]
	v_add_nc_u64_e32 v[10:11], s[14:15], v[10:11]
	s_delay_alu instid0(VALU_DEP_3) | instskip(SKIP_4) | instid1(VALU_DEP_1)
	v_fmac_f16_e32 v24, s30, v31
	global_store_b16 v[12:13], v24, off
	global_load_u16 v24, v[34:35], off offset:32
	s_wait_loadcnt 0x0
	v_mul_f16_e32 v24, s33, v24
	v_fmac_f16_e32 v24, s30, v23
	global_store_b16 v[12:13], v24, off offset:32
	global_load_u16 v23, v[34:35], off offset:64
	s_wait_xcnt 0x1
	v_add_nc_u64_e32 v[24:25], s[16:17], v[32:33]
	s_wait_loadcnt 0x0
	v_mul_f16_e32 v23, s33, v23
	s_delay_alu instid0(VALU_DEP_1) | instskip(NEXT) | instid1(VALU_DEP_3)
	v_fmac_f16_e32 v23, s30, v30
	v_add_nc_u64_e32 v[30:31], v[24:25], v[8:9]
	global_store_b16 v[12:13], v23, off offset:64
	global_load_u16 v23, v[34:35], off offset:96
	s_wait_loadcnt 0x0
	v_mul_f16_e32 v23, s33, v23
	s_delay_alu instid0(VALU_DEP_1)
	v_fmac_f16_e32 v23, s30, v22
	global_store_b16 v[12:13], v23, off offset:96
	global_load_u16 v12, v[30:31], off
	s_wait_loadcnt 0x0
	v_mul_f16_e32 v22, s33, v12
	v_add_nc_u64_e32 v[12:13], v[10:11], v[8:9]
	v_add_nc_u64_e32 v[10:11], s[14:15], v[10:11]
	s_delay_alu instid0(VALU_DEP_3) | instskip(NEXT) | instid1(VALU_DEP_2)
	v_fmac_f16_e32 v22, s30, v29
	v_add_nc_u64_e32 v[10:11], v[10:11], v[8:9]
	global_store_b16 v[12:13], v22, off
	global_load_u16 v22, v[30:31], off offset:32
	s_wait_loadcnt 0x0
	v_mul_f16_e32 v22, s33, v22
	s_delay_alu instid0(VALU_DEP_1) | instskip(SKIP_4) | instid1(VALU_DEP_1)
	v_fmac_f16_e32 v22, s30, v21
	global_store_b16 v[12:13], v22, off offset:32
	global_load_u16 v21, v[30:31], off offset:64
	s_wait_xcnt 0x1
	v_add_nc_u64_e32 v[22:23], s[16:17], v[24:25]
	v_add_nc_u64_e32 v[22:23], v[22:23], v[8:9]
	s_wait_loadcnt 0x0
	v_mul_f16_e32 v21, s33, v21
	s_delay_alu instid0(VALU_DEP_1) | instskip(SKIP_4) | instid1(VALU_DEP_1)
	v_fmac_f16_e32 v21, s30, v28
	global_store_b16 v[12:13], v21, off offset:64
	global_load_u16 v21, v[30:31], off offset:96
	s_wait_loadcnt 0x0
	v_mul_f16_e32 v21, s33, v21
	v_fmac_f16_e32 v21, s30, v20
	global_store_b16 v[12:13], v21, off offset:96
	global_load_u16 v12, v[22:23], off
	s_wait_loadcnt 0x0
	v_mul_f16_e32 v12, s33, v12
	s_delay_alu instid0(VALU_DEP_1) | instskip(SKIP_4) | instid1(VALU_DEP_1)
	v_fmac_f16_e32 v12, s30, v27
	global_store_b16 v[10:11], v12, off
	global_load_u16 v12, v[22:23], off offset:32
	s_wait_loadcnt 0x0
	v_mul_f16_e32 v12, s33, v12
	v_fmac_f16_e32 v12, s30, v19
	global_store_b16 v[10:11], v12, off offset:32
	global_load_u16 v12, v[22:23], off offset:64
	s_wait_loadcnt 0x0
	v_mul_f16_e32 v12, s33, v12
	s_delay_alu instid0(VALU_DEP_1) | instskip(SKIP_4) | instid1(VALU_DEP_1)
	v_fmac_f16_e32 v12, s30, v26
	global_store_b16 v[10:11], v12, off offset:64
	global_load_u16 v12, v[22:23], off offset:96
	s_wait_loadcnt 0x0
	v_mul_f16_e32 v12, s33, v12
	v_fmac_f16_e32 v12, s30, v18
	global_store_b16 v[10:11], v12, off offset:96
	s_branch .LBB343_2
.LBB343_11:
	s_endpgm
	.section	.rodata,"a",@progbits
	.p2align	6, 0x0
	.amdhsa_kernel _ZN12_GLOBAL__N_127rocblas_gemm_batched_kernelIDF16_Li16ELi16ELi64ELi64ELi4ELi64ELi4ELi4ELi64ELc84ELc67EKDF16_S1_DF16_EEvlllT_PT11_llS4_llS2_PT12_llPT13_lli
		.amdhsa_group_segment_fixed_size 1024
		.amdhsa_private_segment_fixed_size 0
		.amdhsa_kernarg_size 140
		.amdhsa_user_sgpr_count 2
		.amdhsa_user_sgpr_dispatch_ptr 0
		.amdhsa_user_sgpr_queue_ptr 0
		.amdhsa_user_sgpr_kernarg_segment_ptr 1
		.amdhsa_user_sgpr_dispatch_id 0
		.amdhsa_user_sgpr_kernarg_preload_length 0
		.amdhsa_user_sgpr_kernarg_preload_offset 0
		.amdhsa_user_sgpr_private_segment_size 0
		.amdhsa_wavefront_size32 1
		.amdhsa_uses_dynamic_stack 0
		.amdhsa_enable_private_segment 0
		.amdhsa_system_sgpr_workgroup_id_x 1
		.amdhsa_system_sgpr_workgroup_id_y 1
		.amdhsa_system_sgpr_workgroup_id_z 1
		.amdhsa_system_sgpr_workgroup_info 0
		.amdhsa_system_vgpr_workitem_id 1
		.amdhsa_next_free_vgpr 50
		.amdhsa_next_free_sgpr 38
		.amdhsa_named_barrier_count 0
		.amdhsa_reserve_vcc 1
		.amdhsa_float_round_mode_32 0
		.amdhsa_float_round_mode_16_64 0
		.amdhsa_float_denorm_mode_32 3
		.amdhsa_float_denorm_mode_16_64 3
		.amdhsa_fp16_overflow 0
		.amdhsa_memory_ordered 1
		.amdhsa_forward_progress 1
		.amdhsa_inst_pref_size 19
		.amdhsa_round_robin_scheduling 0
		.amdhsa_exception_fp_ieee_invalid_op 0
		.amdhsa_exception_fp_denorm_src 0
		.amdhsa_exception_fp_ieee_div_zero 0
		.amdhsa_exception_fp_ieee_overflow 0
		.amdhsa_exception_fp_ieee_underflow 0
		.amdhsa_exception_fp_ieee_inexact 0
		.amdhsa_exception_int_div_zero 0
	.end_amdhsa_kernel
	.section	.text._ZN12_GLOBAL__N_127rocblas_gemm_batched_kernelIDF16_Li16ELi16ELi64ELi64ELi4ELi64ELi4ELi4ELi64ELc84ELc67EKDF16_S1_DF16_EEvlllT_PT11_llS4_llS2_PT12_llPT13_lli,"axG",@progbits,_ZN12_GLOBAL__N_127rocblas_gemm_batched_kernelIDF16_Li16ELi16ELi64ELi64ELi4ELi64ELi4ELi4ELi64ELc84ELc67EKDF16_S1_DF16_EEvlllT_PT11_llS4_llS2_PT12_llPT13_lli,comdat
.Lfunc_end343:
	.size	_ZN12_GLOBAL__N_127rocblas_gemm_batched_kernelIDF16_Li16ELi16ELi64ELi64ELi4ELi64ELi4ELi4ELi64ELc84ELc67EKDF16_S1_DF16_EEvlllT_PT11_llS4_llS2_PT12_llPT13_lli, .Lfunc_end343-_ZN12_GLOBAL__N_127rocblas_gemm_batched_kernelIDF16_Li16ELi16ELi64ELi64ELi4ELi64ELi4ELi4ELi64ELc84ELc67EKDF16_S1_DF16_EEvlllT_PT11_llS4_llS2_PT12_llPT13_lli
                                        ; -- End function
	.set _ZN12_GLOBAL__N_127rocblas_gemm_batched_kernelIDF16_Li16ELi16ELi64ELi64ELi4ELi64ELi4ELi4ELi64ELc84ELc67EKDF16_S1_DF16_EEvlllT_PT11_llS4_llS2_PT12_llPT13_lli.num_vgpr, 50
	.set _ZN12_GLOBAL__N_127rocblas_gemm_batched_kernelIDF16_Li16ELi16ELi64ELi64ELi4ELi64ELi4ELi4ELi64ELc84ELc67EKDF16_S1_DF16_EEvlllT_PT11_llS4_llS2_PT12_llPT13_lli.num_agpr, 0
	.set _ZN12_GLOBAL__N_127rocblas_gemm_batched_kernelIDF16_Li16ELi16ELi64ELi64ELi4ELi64ELi4ELi4ELi64ELc84ELc67EKDF16_S1_DF16_EEvlllT_PT11_llS4_llS2_PT12_llPT13_lli.numbered_sgpr, 38
	.set _ZN12_GLOBAL__N_127rocblas_gemm_batched_kernelIDF16_Li16ELi16ELi64ELi64ELi4ELi64ELi4ELi4ELi64ELc84ELc67EKDF16_S1_DF16_EEvlllT_PT11_llS4_llS2_PT12_llPT13_lli.num_named_barrier, 0
	.set _ZN12_GLOBAL__N_127rocblas_gemm_batched_kernelIDF16_Li16ELi16ELi64ELi64ELi4ELi64ELi4ELi4ELi64ELc84ELc67EKDF16_S1_DF16_EEvlllT_PT11_llS4_llS2_PT12_llPT13_lli.private_seg_size, 0
	.set _ZN12_GLOBAL__N_127rocblas_gemm_batched_kernelIDF16_Li16ELi16ELi64ELi64ELi4ELi64ELi4ELi4ELi64ELc84ELc67EKDF16_S1_DF16_EEvlllT_PT11_llS4_llS2_PT12_llPT13_lli.uses_vcc, 1
	.set _ZN12_GLOBAL__N_127rocblas_gemm_batched_kernelIDF16_Li16ELi16ELi64ELi64ELi4ELi64ELi4ELi4ELi64ELc84ELc67EKDF16_S1_DF16_EEvlllT_PT11_llS4_llS2_PT12_llPT13_lli.uses_flat_scratch, 0
	.set _ZN12_GLOBAL__N_127rocblas_gemm_batched_kernelIDF16_Li16ELi16ELi64ELi64ELi4ELi64ELi4ELi4ELi64ELc84ELc67EKDF16_S1_DF16_EEvlllT_PT11_llS4_llS2_PT12_llPT13_lli.has_dyn_sized_stack, 0
	.set _ZN12_GLOBAL__N_127rocblas_gemm_batched_kernelIDF16_Li16ELi16ELi64ELi64ELi4ELi64ELi4ELi4ELi64ELc84ELc67EKDF16_S1_DF16_EEvlllT_PT11_llS4_llS2_PT12_llPT13_lli.has_recursion, 0
	.set _ZN12_GLOBAL__N_127rocblas_gemm_batched_kernelIDF16_Li16ELi16ELi64ELi64ELi4ELi64ELi4ELi4ELi64ELc84ELc67EKDF16_S1_DF16_EEvlllT_PT11_llS4_llS2_PT12_llPT13_lli.has_indirect_call, 0
	.section	.AMDGPU.csdata,"",@progbits
; Kernel info:
; codeLenInByte = 2352
; TotalNumSgprs: 40
; NumVgprs: 50
; ScratchSize: 0
; MemoryBound: 0
; FloatMode: 240
; IeeeMode: 1
; LDSByteSize: 1024 bytes/workgroup (compile time only)
; SGPRBlocks: 0
; VGPRBlocks: 3
; NumSGPRsForWavesPerEU: 40
; NumVGPRsForWavesPerEU: 50
; NamedBarCnt: 0
; Occupancy: 16
; WaveLimiterHint : 0
; COMPUTE_PGM_RSRC2:SCRATCH_EN: 0
; COMPUTE_PGM_RSRC2:USER_SGPR: 2
; COMPUTE_PGM_RSRC2:TRAP_HANDLER: 0
; COMPUTE_PGM_RSRC2:TGID_X_EN: 1
; COMPUTE_PGM_RSRC2:TGID_Y_EN: 1
; COMPUTE_PGM_RSRC2:TGID_Z_EN: 1
; COMPUTE_PGM_RSRC2:TIDIG_COMP_CNT: 1
	.section	.text._ZN12_GLOBAL__N_127rocblas_gemm_batched_kernelIDF16_Li16ELi16ELi32ELi32ELi8ELi32ELi8ELi8ELi32ELc78ELc78EKDF16_S1_DF16_EEvlllT_PT11_llS4_llS2_PT12_llPT13_lli,"axG",@progbits,_ZN12_GLOBAL__N_127rocblas_gemm_batched_kernelIDF16_Li16ELi16ELi32ELi32ELi8ELi32ELi8ELi8ELi32ELc78ELc78EKDF16_S1_DF16_EEvlllT_PT11_llS4_llS2_PT12_llPT13_lli,comdat
	.globl	_ZN12_GLOBAL__N_127rocblas_gemm_batched_kernelIDF16_Li16ELi16ELi32ELi32ELi8ELi32ELi8ELi8ELi32ELc78ELc78EKDF16_S1_DF16_EEvlllT_PT11_llS4_llS2_PT12_llPT13_lli ; -- Begin function _ZN12_GLOBAL__N_127rocblas_gemm_batched_kernelIDF16_Li16ELi16ELi32ELi32ELi8ELi32ELi8ELi8ELi32ELc78ELc78EKDF16_S1_DF16_EEvlllT_PT11_llS4_llS2_PT12_llPT13_lli
	.p2align	8
	.type	_ZN12_GLOBAL__N_127rocblas_gemm_batched_kernelIDF16_Li16ELi16ELi32ELi32ELi8ELi32ELi8ELi8ELi32ELc78ELc78EKDF16_S1_DF16_EEvlllT_PT11_llS4_llS2_PT12_llPT13_lli,@function
_ZN12_GLOBAL__N_127rocblas_gemm_batched_kernelIDF16_Li16ELi16ELi32ELi32ELi8ELi32ELi8ELi8ELi32ELc78ELc78EKDF16_S1_DF16_EEvlllT_PT11_llS4_llS2_PT12_llPT13_lli: ; @_ZN12_GLOBAL__N_127rocblas_gemm_batched_kernelIDF16_Li16ELi16ELi32ELi32ELi8ELi32ELi8ELi8ELi32ELc78ELc78EKDF16_S1_DF16_EEvlllT_PT11_llS4_llS2_PT12_llPT13_lli
; %bb.0:
	s_load_b32 s31, s[0:1], 0x88
	s_bfe_u32 s2, ttmp6, 0x40014
	s_lshr_b32 s3, ttmp7, 16
	s_add_co_i32 s2, s2, 1
	s_bfe_u32 s4, ttmp6, 0x40008
	s_mul_i32 s2, s3, s2
	s_getreg_b32 s20, hwreg(HW_REG_IB_STS2, 6, 4)
	s_add_co_i32 s4, s4, s2
	s_cmp_eq_u32 s20, 0
	s_cselect_b32 s2, s3, s4
	s_mov_b32 s3, 0
	s_wait_kmcnt 0x0
	s_cmp_ge_i32 s2, s31
	s_cbranch_scc1 .LBB344_11
; %bb.1:
	s_bfe_u32 s22, ttmp6, 0x4000c
	s_bfe_u32 s28, ttmp6, 0x40010
	s_and_b32 s23, ttmp7, 0xffff
	s_add_co_i32 s22, s22, 1
	s_add_co_i32 s28, s28, 1
	s_and_b32 s21, ttmp6, 15
	s_mul_i32 s22, ttmp9, s22
	s_mul_i32 s28, s23, s28
	s_bfe_u32 s29, ttmp6, 0x40004
	s_add_co_i32 s21, s21, s22
	s_add_co_i32 s29, s29, s28
	s_cmp_eq_u32 s20, 0
	s_clause 0x2
	s_load_b256 s[12:19], s[0:1], 0x20
	s_load_b128 s[24:27], s[0:1], 0x40
	s_load_b256 s[4:11], s[0:1], 0x58
	s_cselect_b32 s20, s23, s29
	s_cselect_b32 s28, ttmp9, s21
	s_lshl_b32 s34, s20, 5
	s_load_b128 s[20:23], s[0:1], 0x78
	v_bfe_u32 v2, v0, 10, 10
	v_mov_b32_e32 v3, 0
	s_mov_b32 s35, s3
	v_and_b32_e32 v4, 0x3ff, v0
	s_ashr_i32 s29, s28, 31
	v_lshlrev_b32_e32 v15, 4, v2
	v_add_nc_u64_e32 v[10:11], s[34:35], v[2:3]
	v_lshlrev_b32_e32 v2, 1, v0
	s_load_b32 s33, s[0:1], 0x50
	v_dual_mov_b32 v7, v3 :: v_dual_mov_b32 v5, v3
	s_wait_kmcnt 0x0
	s_delay_alu instid0(VALU_DEP_3) | instskip(SKIP_4) | instid1(VALU_DEP_2)
	v_mul_u64_e32 v[12:13], s[6:7], v[10:11]
	v_mul_u64_e32 v[0:1], s[20:21], v[10:11]
	v_mov_b32_e32 v11, v3
	v_dual_add_nc_u32 v14, v15, v4 :: v_dual_bitop2_b32 v2, 14, v2 bitop3:0x40
	v_add_nc_u32_e32 v15, 0x200, v15
	v_dual_lshrrev_b32 v6, 3, v14 :: v_dual_lshrrev_b32 v20, 5, v14
	v_dual_lshlrev_b32 v14, 1, v4 :: v_dual_bitop2_b32 v10, 31, v14 bitop3:0x40
	s_delay_alu instid0(VALU_DEP_2) | instskip(SKIP_1) | instid1(VALU_DEP_3)
	v_add_nc_u64_e32 v[8:9], s[34:35], v[6:7]
	v_lshl_or_b32 v22, v6, 4, v2
	v_lshlrev_b32_e32 v21, 1, v10
	s_delay_alu instid0(VALU_DEP_3)
	v_mul_u64_e32 v[8:9], s[24:25], v[8:9]
	s_lshl_b64 s[24:25], s[28:29], 5
	s_load_b96 s[28:30], s[0:1], 0x10
	v_mad_nc_u64_u32 v[16:17], s14, v20, s[24:25]
	s_cmp_eq_f16 s33, 0
	v_add_nc_u64_e32 v[18:19], s[24:25], v[4:5]
	s_delay_alu instid0(VALU_DEP_2) | instskip(SKIP_2) | instid1(VALU_DEP_2)
	v_mad_u32 v17, s15, v20, v17
	s_wait_kmcnt 0x0
	v_cmp_gt_i64_e64 s0, s[28:29], 0
	v_add_nc_u64_e32 v[4:5], v[16:17], v[10:11]
	v_lshl_or_b32 v16, v20, 6, v21
	v_add_nc_u32_e32 v17, 0x200, v22
	s_delay_alu instid0(VALU_DEP_4)
	v_cndmask_b32_e64 v23, 0, 1, s0
	s_cselect_b32 s0, -1, 0
	s_lshl_b64 s[20:21], s[20:21], 4
	v_lshl_add_u64 v[6:7], v[8:9], 1, v[2:3]
	v_cndmask_b32_e64 v10, 0, 1, s0
	v_lshlrev_b64_e32 v[8:9], 1, v[18:19]
	v_lshl_add_u64 v[2:3], v[4:5], 1, s[12:13]
	v_lshl_add_u64 v[4:5], v[12:13], 1, s[4:5]
	v_add_nc_u64_e32 v[6:7], s[18:19], v[6:7]
	v_cmp_ne_u32_e64 s0, 1, v23
	v_cmp_ne_u32_e64 s1, 1, v10
	s_lshl_b64 s[6:7], s[6:7], 4
	s_lshl_b64 s[4:5], s[26:27], 1
	;; [unrolled: 1-line block ×4, first 2 shown]
	s_branch .LBB344_3
.LBB344_2:                              ;   in Loop: Header=BB344_3 Depth=1
	s_add_co_i32 s2, s2, 0x10000
	s_delay_alu instid0(SALU_CYCLE_1)
	s_cmp_lt_i32 s2, s31
	s_cbranch_scc0 .LBB344_11
.LBB344_3:                              ; =>This Loop Header: Depth=1
                                        ;     Child Loop BB344_5 Depth 2
	s_and_b32 vcc_lo, exec_lo, s0
	s_cbranch_vccnz .LBB344_6
; %bb.4:                                ;   in Loop: Header=BB344_3 Depth=1
	s_wait_xcnt 0x0
	v_mad_nc_u64_u32 v[10:11], s4, s2, v[6:7]
	v_mad_nc_u64_u32 v[12:13], s12, s2, v[2:3]
	v_dual_mov_b32 v18, 0 :: v_dual_mov_b32 v19, 0
	s_mov_b64 s[16:17], 0
	s_delay_alu instid0(VALU_DEP_3) | instskip(NEXT) | instid1(VALU_DEP_3)
	v_mad_u32 v11, s5, s2, v11
	v_mad_u32 v13, s13, s2, v13
.LBB344_5:                              ;   Parent Loop BB344_3 Depth=1
                                        ; =>  This Inner Loop Header: Depth=2
	global_load_u16 v20, v[12:13], off
	global_load_u16 v21, v[10:11], off
	s_add_nc_u64 s[16:17], s[16:17], 8
	s_wait_xcnt 0x0
	v_add_nc_u64_e32 v[10:11], 16, v[10:11]
	v_cmp_lt_i64_e64 s18, s[16:17], s[28:29]
	v_add_nc_u64_e32 v[12:13], s[14:15], v[12:13]
	s_wait_loadcnt 0x1
	ds_store_b16 v16, v20
	s_wait_loadcnt 0x0
	ds_store_b16 v17, v21
	s_wait_dscnt 0x0
	s_barrier_signal -1
	s_barrier_wait -1
	ds_load_b128 v[20:23], v15
	ds_load_b128 v[24:27], v15 offset:256
	ds_load_u16 v28, v14
	ds_load_u16 v29, v14 offset:32
	ds_load_u16 v30, v14 offset:64
	;; [unrolled: 1-line block ×15, first 2 shown]
	s_and_b32 vcc_lo, exec_lo, s18
	s_wait_dscnt 0x0
	s_barrier_signal -1
	s_barrier_wait -1
	v_perm_b32 v28, v28, v29, 0x5040100
	v_perm_b32 v29, v30, v31, 0x5040100
	;; [unrolled: 1-line block ×3, first 2 shown]
	s_delay_alu instid0(VALU_DEP_3) | instskip(SKIP_3) | instid1(VALU_DEP_4)
	v_pk_fma_f16 v19, v28, v20, v19 op_sel_hi:[1,0,1]
	v_pk_fma_f16 v18, v28, v24, v18 op_sel_hi:[1,0,1]
	v_perm_b32 v31, v34, v35, 0x5040100
	v_perm_b32 v32, v36, v37, 0x5040100
	v_pk_fma_f16 v19, v29, v20, v19 op_sel:[0,1,0]
	s_delay_alu instid0(VALU_DEP_4)
	v_pk_fma_f16 v18, v29, v24, v18 op_sel:[0,1,0]
	v_perm_b32 v33, v38, v39, 0x5040100
	v_perm_b32 v34, v40, v41, 0x5040100
	;; [unrolled: 1-line block ×3, first 2 shown]
	v_pk_fma_f16 v19, v30, v21, v19 op_sel_hi:[1,0,1]
	v_pk_fma_f16 v18, v30, v25, v18 op_sel_hi:[1,0,1]
	s_delay_alu instid0(VALU_DEP_2) | instskip(NEXT) | instid1(VALU_DEP_2)
	v_pk_fma_f16 v19, v31, v21, v19 op_sel:[0,1,0]
	v_pk_fma_f16 v18, v31, v25, v18 op_sel:[0,1,0]
	s_delay_alu instid0(VALU_DEP_2) | instskip(NEXT) | instid1(VALU_DEP_2)
	v_pk_fma_f16 v19, v32, v22, v19 op_sel_hi:[1,0,1]
	v_pk_fma_f16 v18, v32, v26, v18 op_sel_hi:[1,0,1]
	s_delay_alu instid0(VALU_DEP_2) | instskip(NEXT) | instid1(VALU_DEP_2)
	v_pk_fma_f16 v19, v33, v22, v19 op_sel:[0,1,0]
	v_pk_fma_f16 v18, v33, v26, v18 op_sel:[0,1,0]
	s_delay_alu instid0(VALU_DEP_2) | instskip(NEXT) | instid1(VALU_DEP_2)
	v_pk_fma_f16 v19, v34, v23, v19 op_sel_hi:[1,0,1]
	v_pk_fma_f16 v18, v34, v27, v18 op_sel_hi:[1,0,1]
	s_delay_alu instid0(VALU_DEP_2) | instskip(NEXT) | instid1(VALU_DEP_2)
	v_pk_fma_f16 v19, v20, v23, v19 op_sel:[0,1,0]
	v_pk_fma_f16 v18, v20, v27, v18 op_sel:[0,1,0]
	s_cbranch_vccnz .LBB344_5
	s_branch .LBB344_7
.LBB344_6:                              ;   in Loop: Header=BB344_3 Depth=1
	v_dual_mov_b32 v19, 0 :: v_dual_mov_b32 v18, 0
.LBB344_7:                              ;   in Loop: Header=BB344_3 Depth=1
	s_mul_u64 s[16:17], s[22:23], s[2:3]
	s_delay_alu instid0(VALU_DEP_1)
	v_dual_lshrrev_b32 v21, 16, v19 :: v_dual_lshrrev_b32 v20, 16, v18
	s_lshl_b64 s[16:17], s[16:17], 1
	s_and_b32 vcc_lo, exec_lo, s1
	s_add_nc_u64 s[16:17], s[10:11], s[16:17]
	s_wait_xcnt 0x0
	v_lshl_add_u64 v[10:11], v[0:1], 1, s[16:17]
	s_delay_alu instid0(VALU_DEP_1)
	v_add_nc_u64_e32 v[12:13], v[10:11], v[8:9]
	v_lshl_add_u64 v[10:11], s[20:21], 1, v[10:11]
	s_cbranch_vccnz .LBB344_9
; %bb.8:                                ;   in Loop: Header=BB344_3 Depth=1
	s_delay_alu instid0(VALU_DEP_1)
	v_add_nc_u64_e32 v[22:23], v[10:11], v[8:9]
	v_mul_f16_e32 v24, s30, v21
	v_mul_f16_e32 v26, s30, v20
	;; [unrolled: 1-line block ×4, first 2 shown]
	s_clause 0x3
	global_store_b16 v[12:13], v24, off
	global_store_b16 v[12:13], v25, off offset:32
	global_store_b16 v[22:23], v26, off
	global_store_b16 v[22:23], v27, off offset:32
	s_cbranch_execnz .LBB344_2
	s_branch .LBB344_10
.LBB344_9:                              ;   in Loop: Header=BB344_3 Depth=1
.LBB344_10:                             ;   in Loop: Header=BB344_3 Depth=1
	s_mul_u64 s[16:17], s[8:9], s[2:3]
	s_delay_alu instid0(VALU_DEP_1) | instskip(SKIP_2) | instid1(VALU_DEP_1)
	v_add_nc_u64_e32 v[10:11], v[10:11], v[8:9]
	s_wait_xcnt 0x0
	v_lshl_add_u64 v[22:23], s[16:17], 1, v[4:5]
	v_add_nc_u64_e32 v[24:25], v[22:23], v[8:9]
	v_lshl_add_u64 v[22:23], s[6:7], 1, v[22:23]
	s_delay_alu instid0(VALU_DEP_1) | instskip(SKIP_3) | instid1(VALU_DEP_1)
	v_add_nc_u64_e32 v[22:23], v[22:23], v[8:9]
	global_load_u16 v26, v[24:25], off
	s_wait_loadcnt 0x0
	v_mul_f16_e32 v26, s33, v26
	v_fmac_f16_e32 v26, s30, v21
	global_store_b16 v[12:13], v26, off
	global_load_u16 v21, v[24:25], off offset:32
	s_wait_loadcnt 0x0
	v_mul_f16_e32 v21, s33, v21
	s_delay_alu instid0(VALU_DEP_1) | instskip(SKIP_4) | instid1(VALU_DEP_1)
	v_fmac_f16_e32 v21, s30, v19
	global_store_b16 v[12:13], v21, off offset:32
	global_load_u16 v12, v[22:23], off
	s_wait_loadcnt 0x0
	v_mul_f16_e32 v12, s33, v12
	v_fmac_f16_e32 v12, s30, v20
	global_store_b16 v[10:11], v12, off
	global_load_u16 v12, v[22:23], off offset:32
	s_wait_loadcnt 0x0
	v_mul_f16_e32 v12, s33, v12
	s_delay_alu instid0(VALU_DEP_1)
	v_fmac_f16_e32 v12, s30, v18
	global_store_b16 v[10:11], v12, off offset:32
	s_branch .LBB344_2
.LBB344_11:
	s_endpgm
	.section	.rodata,"a",@progbits
	.p2align	6, 0x0
	.amdhsa_kernel _ZN12_GLOBAL__N_127rocblas_gemm_batched_kernelIDF16_Li16ELi16ELi32ELi32ELi8ELi32ELi8ELi8ELi32ELc78ELc78EKDF16_S1_DF16_EEvlllT_PT11_llS4_llS2_PT12_llPT13_lli
		.amdhsa_group_segment_fixed_size 1024
		.amdhsa_private_segment_fixed_size 0
		.amdhsa_kernarg_size 140
		.amdhsa_user_sgpr_count 2
		.amdhsa_user_sgpr_dispatch_ptr 0
		.amdhsa_user_sgpr_queue_ptr 0
		.amdhsa_user_sgpr_kernarg_segment_ptr 1
		.amdhsa_user_sgpr_dispatch_id 0
		.amdhsa_user_sgpr_kernarg_preload_length 0
		.amdhsa_user_sgpr_kernarg_preload_offset 0
		.amdhsa_user_sgpr_private_segment_size 0
		.amdhsa_wavefront_size32 1
		.amdhsa_uses_dynamic_stack 0
		.amdhsa_enable_private_segment 0
		.amdhsa_system_sgpr_workgroup_id_x 1
		.amdhsa_system_sgpr_workgroup_id_y 1
		.amdhsa_system_sgpr_workgroup_id_z 1
		.amdhsa_system_sgpr_workgroup_info 0
		.amdhsa_system_vgpr_workitem_id 1
		.amdhsa_next_free_vgpr 44
		.amdhsa_next_free_sgpr 36
		.amdhsa_named_barrier_count 0
		.amdhsa_reserve_vcc 1
		.amdhsa_float_round_mode_32 0
		.amdhsa_float_round_mode_16_64 0
		.amdhsa_float_denorm_mode_32 3
		.amdhsa_float_denorm_mode_16_64 3
		.amdhsa_fp16_overflow 0
		.amdhsa_memory_ordered 1
		.amdhsa_forward_progress 1
		.amdhsa_inst_pref_size 12
		.amdhsa_round_robin_scheduling 0
		.amdhsa_exception_fp_ieee_invalid_op 0
		.amdhsa_exception_fp_denorm_src 0
		.amdhsa_exception_fp_ieee_div_zero 0
		.amdhsa_exception_fp_ieee_overflow 0
		.amdhsa_exception_fp_ieee_underflow 0
		.amdhsa_exception_fp_ieee_inexact 0
		.amdhsa_exception_int_div_zero 0
	.end_amdhsa_kernel
	.section	.text._ZN12_GLOBAL__N_127rocblas_gemm_batched_kernelIDF16_Li16ELi16ELi32ELi32ELi8ELi32ELi8ELi8ELi32ELc78ELc78EKDF16_S1_DF16_EEvlllT_PT11_llS4_llS2_PT12_llPT13_lli,"axG",@progbits,_ZN12_GLOBAL__N_127rocblas_gemm_batched_kernelIDF16_Li16ELi16ELi32ELi32ELi8ELi32ELi8ELi8ELi32ELc78ELc78EKDF16_S1_DF16_EEvlllT_PT11_llS4_llS2_PT12_llPT13_lli,comdat
.Lfunc_end344:
	.size	_ZN12_GLOBAL__N_127rocblas_gemm_batched_kernelIDF16_Li16ELi16ELi32ELi32ELi8ELi32ELi8ELi8ELi32ELc78ELc78EKDF16_S1_DF16_EEvlllT_PT11_llS4_llS2_PT12_llPT13_lli, .Lfunc_end344-_ZN12_GLOBAL__N_127rocblas_gemm_batched_kernelIDF16_Li16ELi16ELi32ELi32ELi8ELi32ELi8ELi8ELi32ELc78ELc78EKDF16_S1_DF16_EEvlllT_PT11_llS4_llS2_PT12_llPT13_lli
                                        ; -- End function
	.set _ZN12_GLOBAL__N_127rocblas_gemm_batched_kernelIDF16_Li16ELi16ELi32ELi32ELi8ELi32ELi8ELi8ELi32ELc78ELc78EKDF16_S1_DF16_EEvlllT_PT11_llS4_llS2_PT12_llPT13_lli.num_vgpr, 44
	.set _ZN12_GLOBAL__N_127rocblas_gemm_batched_kernelIDF16_Li16ELi16ELi32ELi32ELi8ELi32ELi8ELi8ELi32ELc78ELc78EKDF16_S1_DF16_EEvlllT_PT11_llS4_llS2_PT12_llPT13_lli.num_agpr, 0
	.set _ZN12_GLOBAL__N_127rocblas_gemm_batched_kernelIDF16_Li16ELi16ELi32ELi32ELi8ELi32ELi8ELi8ELi32ELc78ELc78EKDF16_S1_DF16_EEvlllT_PT11_llS4_llS2_PT12_llPT13_lli.numbered_sgpr, 36
	.set _ZN12_GLOBAL__N_127rocblas_gemm_batched_kernelIDF16_Li16ELi16ELi32ELi32ELi8ELi32ELi8ELi8ELi32ELc78ELc78EKDF16_S1_DF16_EEvlllT_PT11_llS4_llS2_PT12_llPT13_lli.num_named_barrier, 0
	.set _ZN12_GLOBAL__N_127rocblas_gemm_batched_kernelIDF16_Li16ELi16ELi32ELi32ELi8ELi32ELi8ELi8ELi32ELc78ELc78EKDF16_S1_DF16_EEvlllT_PT11_llS4_llS2_PT12_llPT13_lli.private_seg_size, 0
	.set _ZN12_GLOBAL__N_127rocblas_gemm_batched_kernelIDF16_Li16ELi16ELi32ELi32ELi8ELi32ELi8ELi8ELi32ELc78ELc78EKDF16_S1_DF16_EEvlllT_PT11_llS4_llS2_PT12_llPT13_lli.uses_vcc, 1
	.set _ZN12_GLOBAL__N_127rocblas_gemm_batched_kernelIDF16_Li16ELi16ELi32ELi32ELi8ELi32ELi8ELi8ELi32ELc78ELc78EKDF16_S1_DF16_EEvlllT_PT11_llS4_llS2_PT12_llPT13_lli.uses_flat_scratch, 0
	.set _ZN12_GLOBAL__N_127rocblas_gemm_batched_kernelIDF16_Li16ELi16ELi32ELi32ELi8ELi32ELi8ELi8ELi32ELc78ELc78EKDF16_S1_DF16_EEvlllT_PT11_llS4_llS2_PT12_llPT13_lli.has_dyn_sized_stack, 0
	.set _ZN12_GLOBAL__N_127rocblas_gemm_batched_kernelIDF16_Li16ELi16ELi32ELi32ELi8ELi32ELi8ELi8ELi32ELc78ELc78EKDF16_S1_DF16_EEvlllT_PT11_llS4_llS2_PT12_llPT13_lli.has_recursion, 0
	.set _ZN12_GLOBAL__N_127rocblas_gemm_batched_kernelIDF16_Li16ELi16ELi32ELi32ELi8ELi32ELi8ELi8ELi32ELc78ELc78EKDF16_S1_DF16_EEvlllT_PT11_llS4_llS2_PT12_llPT13_lli.has_indirect_call, 0
	.section	.AMDGPU.csdata,"",@progbits
; Kernel info:
; codeLenInByte = 1444
; TotalNumSgprs: 38
; NumVgprs: 44
; ScratchSize: 0
; MemoryBound: 0
; FloatMode: 240
; IeeeMode: 1
; LDSByteSize: 1024 bytes/workgroup (compile time only)
; SGPRBlocks: 0
; VGPRBlocks: 2
; NumSGPRsForWavesPerEU: 38
; NumVGPRsForWavesPerEU: 44
; NamedBarCnt: 0
; Occupancy: 16
; WaveLimiterHint : 0
; COMPUTE_PGM_RSRC2:SCRATCH_EN: 0
; COMPUTE_PGM_RSRC2:USER_SGPR: 2
; COMPUTE_PGM_RSRC2:TRAP_HANDLER: 0
; COMPUTE_PGM_RSRC2:TGID_X_EN: 1
; COMPUTE_PGM_RSRC2:TGID_Y_EN: 1
; COMPUTE_PGM_RSRC2:TGID_Z_EN: 1
; COMPUTE_PGM_RSRC2:TIDIG_COMP_CNT: 1
	.section	.text._ZN12_GLOBAL__N_127rocblas_gemm_batched_kernelIDF16_Li16ELi16ELi32ELi32ELi8ELi32ELi8ELi8ELi32ELc84ELc78EKDF16_S1_DF16_EEvlllT_PT11_llS4_llS2_PT12_llPT13_lli,"axG",@progbits,_ZN12_GLOBAL__N_127rocblas_gemm_batched_kernelIDF16_Li16ELi16ELi32ELi32ELi8ELi32ELi8ELi8ELi32ELc84ELc78EKDF16_S1_DF16_EEvlllT_PT11_llS4_llS2_PT12_llPT13_lli,comdat
	.globl	_ZN12_GLOBAL__N_127rocblas_gemm_batched_kernelIDF16_Li16ELi16ELi32ELi32ELi8ELi32ELi8ELi8ELi32ELc84ELc78EKDF16_S1_DF16_EEvlllT_PT11_llS4_llS2_PT12_llPT13_lli ; -- Begin function _ZN12_GLOBAL__N_127rocblas_gemm_batched_kernelIDF16_Li16ELi16ELi32ELi32ELi8ELi32ELi8ELi8ELi32ELc84ELc78EKDF16_S1_DF16_EEvlllT_PT11_llS4_llS2_PT12_llPT13_lli
	.p2align	8
	.type	_ZN12_GLOBAL__N_127rocblas_gemm_batched_kernelIDF16_Li16ELi16ELi32ELi32ELi8ELi32ELi8ELi8ELi32ELc84ELc78EKDF16_S1_DF16_EEvlllT_PT11_llS4_llS2_PT12_llPT13_lli,@function
_ZN12_GLOBAL__N_127rocblas_gemm_batched_kernelIDF16_Li16ELi16ELi32ELi32ELi8ELi32ELi8ELi8ELi32ELc84ELc78EKDF16_S1_DF16_EEvlllT_PT11_llS4_llS2_PT12_llPT13_lli: ; @_ZN12_GLOBAL__N_127rocblas_gemm_batched_kernelIDF16_Li16ELi16ELi32ELi32ELi8ELi32ELi8ELi8ELi32ELc84ELc78EKDF16_S1_DF16_EEvlllT_PT11_llS4_llS2_PT12_llPT13_lli
; %bb.0:
	s_load_b32 s31, s[0:1], 0x88
	s_bfe_u32 s2, ttmp6, 0x40014
	s_lshr_b32 s3, ttmp7, 16
	s_add_co_i32 s2, s2, 1
	s_bfe_u32 s4, ttmp6, 0x40008
	s_mul_i32 s2, s3, s2
	s_getreg_b32 s28, hwreg(HW_REG_IB_STS2, 6, 4)
	s_add_co_i32 s4, s4, s2
	s_cmp_eq_u32 s28, 0
	s_cselect_b32 s2, s3, s4
	s_mov_b32 s3, 0
	s_wait_kmcnt 0x0
	s_cmp_ge_i32 s2, s31
	s_cbranch_scc1 .LBB345_11
; %bb.1:
	s_bfe_u32 s30, ttmp6, 0x4000c
	s_bfe_u32 s34, ttmp6, 0x40010
	s_and_b32 s33, ttmp7, 0xffff
	s_add_co_i32 s30, s30, 1
	s_add_co_i32 s34, s34, 1
	v_bfe_u32 v2, v0, 10, 10
	s_and_b32 s29, ttmp6, 15
	s_mul_i32 s30, ttmp9, s30
	s_mul_i32 s34, s33, s34
	s_bfe_u32 s35, ttmp6, 0x40004
	s_add_co_i32 s29, s29, s30
	s_add_co_i32 s35, s35, s34
	s_cmp_eq_u32 s28, 0
	v_and_b32_e32 v4, 0x3ff, v0
	v_dual_lshlrev_b32 v15, 4, v2 :: v_dual_mov_b32 v3, 0
	s_cselect_b32 s28, ttmp9, s29
	s_cselect_b32 s30, s33, s35
	s_ashr_i32 s29, s28, 31
	s_clause 0x1
	s_load_b256 s[12:19], s[0:1], 0x20
	s_load_b128 s[24:27], s[0:1], 0x40
	s_lshl_b64 s[36:37], s[28:29], 5
	v_add_nc_u32_e32 v16, v15, v4
	s_clause 0x1
	s_load_b128 s[20:23], s[0:1], 0x78
	s_load_b256 s[4:11], s[0:1], 0x58
	v_dual_mov_b32 v7, v3 :: v_dual_mov_b32 v11, s37
	s_lshl_b32 s34, s30, 5
	v_and_b32_e32 v17, 31, v16
	s_mov_b32 s35, s3
	s_clause 0x1
	s_load_b32 s33, s[0:1], 0x50
	s_load_b96 s[28:30], s[0:1], 0x10
	v_add_nc_u64_e32 v[12:13], s[34:35], v[2:3]
	v_dual_lshrrev_b32 v6, 3, v16 :: v_dual_bitop2_b32 v10, s36, v17 bitop3:0x54
	v_dual_mov_b32 v5, v3 :: v_dual_lshlrev_b32 v2, 1, v0
	v_dual_lshrrev_b32 v16, 5, v16 :: v_dual_lshlrev_b32 v17, 1, v17
	s_delay_alu instid0(VALU_DEP_3)
	v_add_nc_u64_e32 v[8:9], s[34:35], v[6:7]
	s_wait_kmcnt 0x0
	v_mul_u64_e32 v[10:11], s[14:15], v[10:11]
	v_add_nc_u64_e32 v[20:21], s[36:37], v[4:5]
	v_lshlrev_b32_e32 v14, 1, v4
	v_mul_u64_e32 v[0:1], s[20:21], v[12:13]
	v_mul_u64_e32 v[18:19], s[6:7], v[12:13]
	v_mov_b32_e32 v13, v3
	v_mul_u64_e32 v[8:9], s[24:25], v[8:9]
	v_dual_lshlrev_b32 v2, 1, v16 :: v_dual_bitop2_b32 v12, 14, v2 bitop3:0x40
	v_add_nc_u32_e32 v15, 0x200, v15
	s_cmp_eq_f16 s33, 0
	v_cmp_gt_i64_e64 s0, s[28:29], 0
	s_delay_alu instid0(VALU_DEP_3) | instskip(SKIP_1) | instid1(VALU_DEP_2)
	v_lshl_or_b32 v22, v6, 4, v12
	v_lshl_or_b32 v16, v16, 6, v17
	v_add_nc_u32_e32 v17, 0x200, v22
	s_delay_alu instid0(VALU_DEP_4) | instskip(SKIP_3) | instid1(VALU_DEP_2)
	v_cndmask_b32_e64 v23, 0, 1, s0
	s_cselect_b32 s0, -1, 0
	s_lshl_b64 s[14:15], s[20:21], 4
	v_cndmask_b32_e64 v24, 0, 1, s0
	v_cmp_ne_u32_e64 s0, 1, v23
	s_delay_alu instid0(VALU_DEP_2) | instskip(SKIP_2) | instid1(VALU_DEP_2)
	v_cmp_ne_u32_e64 s1, 1, v24
	v_lshl_add_u64 v[4:5], v[10:11], 1, v[2:3]
	v_lshl_add_u64 v[2:3], v[18:19], 1, s[4:5]
	v_add_nc_u64_e32 v[4:5], s[12:13], v[4:5]
	v_lshl_add_u64 v[6:7], v[8:9], 1, v[12:13]
	v_lshlrev_b64_e32 v[8:9], 1, v[20:21]
	s_lshl_b64 s[4:5], s[6:7], 4
	s_lshl_b64 s[6:7], s[26:27], 1
	;; [unrolled: 1-line block ×3, first 2 shown]
	v_add_nc_u64_e32 v[6:7], s[18:19], v[6:7]
	s_branch .LBB345_3
.LBB345_2:                              ;   in Loop: Header=BB345_3 Depth=1
	s_add_co_i32 s2, s2, 0x10000
	s_delay_alu instid0(SALU_CYCLE_1)
	s_cmp_lt_i32 s2, s31
	s_cbranch_scc0 .LBB345_11
.LBB345_3:                              ; =>This Loop Header: Depth=1
                                        ;     Child Loop BB345_5 Depth 2
	s_and_b32 vcc_lo, exec_lo, s0
	s_cbranch_vccnz .LBB345_6
; %bb.4:                                ;   in Loop: Header=BB345_3 Depth=1
	s_wait_xcnt 0x0
	s_delay_alu instid0(VALU_DEP_1) | instskip(SKIP_3) | instid1(VALU_DEP_3)
	v_mad_nc_u64_u32 v[10:11], s6, s2, v[6:7]
	v_mad_nc_u64_u32 v[12:13], s12, s2, v[4:5]
	v_dual_mov_b32 v18, 0 :: v_dual_mov_b32 v19, 0
	s_mov_b64 s[16:17], 0
	v_mad_u32 v11, s7, s2, v11
	s_delay_alu instid0(VALU_DEP_3)
	v_mad_u32 v13, s13, s2, v13
.LBB345_5:                              ;   Parent Loop BB345_3 Depth=1
                                        ; =>  This Inner Loop Header: Depth=2
	global_load_u16 v20, v[12:13], off
	global_load_u16 v21, v[10:11], off
	s_add_nc_u64 s[16:17], s[16:17], 8
	s_wait_xcnt 0x0
	v_add_nc_u64_e32 v[10:11], 16, v[10:11]
	v_cmp_lt_i64_e64 s18, s[16:17], s[28:29]
	v_add_nc_u64_e32 v[12:13], 16, v[12:13]
	s_wait_loadcnt 0x1
	ds_store_b16 v16, v20
	s_wait_loadcnt 0x0
	ds_store_b16 v17, v21
	s_wait_dscnt 0x0
	s_barrier_signal -1
	s_barrier_wait -1
	ds_load_b128 v[20:23], v15
	ds_load_b128 v[24:27], v15 offset:256
	ds_load_u16 v28, v14
	ds_load_u16 v29, v14 offset:32
	ds_load_u16 v30, v14 offset:64
	;; [unrolled: 1-line block ×15, first 2 shown]
	s_and_b32 vcc_lo, exec_lo, s18
	s_wait_dscnt 0x0
	s_barrier_signal -1
	s_barrier_wait -1
	v_perm_b32 v28, v28, v29, 0x5040100
	v_perm_b32 v29, v30, v31, 0x5040100
	;; [unrolled: 1-line block ×3, first 2 shown]
	s_delay_alu instid0(VALU_DEP_3) | instskip(SKIP_3) | instid1(VALU_DEP_4)
	v_pk_fma_f16 v19, v28, v20, v19 op_sel_hi:[1,0,1]
	v_pk_fma_f16 v18, v28, v24, v18 op_sel_hi:[1,0,1]
	v_perm_b32 v31, v34, v35, 0x5040100
	v_perm_b32 v32, v36, v37, 0x5040100
	v_pk_fma_f16 v19, v29, v20, v19 op_sel:[0,1,0]
	s_delay_alu instid0(VALU_DEP_4)
	v_pk_fma_f16 v18, v29, v24, v18 op_sel:[0,1,0]
	v_perm_b32 v33, v38, v39, 0x5040100
	v_perm_b32 v34, v40, v41, 0x5040100
	;; [unrolled: 1-line block ×3, first 2 shown]
	v_pk_fma_f16 v19, v30, v21, v19 op_sel_hi:[1,0,1]
	v_pk_fma_f16 v18, v30, v25, v18 op_sel_hi:[1,0,1]
	s_delay_alu instid0(VALU_DEP_2) | instskip(NEXT) | instid1(VALU_DEP_2)
	v_pk_fma_f16 v19, v31, v21, v19 op_sel:[0,1,0]
	v_pk_fma_f16 v18, v31, v25, v18 op_sel:[0,1,0]
	s_delay_alu instid0(VALU_DEP_2) | instskip(NEXT) | instid1(VALU_DEP_2)
	v_pk_fma_f16 v19, v32, v22, v19 op_sel_hi:[1,0,1]
	v_pk_fma_f16 v18, v32, v26, v18 op_sel_hi:[1,0,1]
	s_delay_alu instid0(VALU_DEP_2) | instskip(NEXT) | instid1(VALU_DEP_2)
	v_pk_fma_f16 v19, v33, v22, v19 op_sel:[0,1,0]
	v_pk_fma_f16 v18, v33, v26, v18 op_sel:[0,1,0]
	s_delay_alu instid0(VALU_DEP_2) | instskip(NEXT) | instid1(VALU_DEP_2)
	v_pk_fma_f16 v19, v34, v23, v19 op_sel_hi:[1,0,1]
	v_pk_fma_f16 v18, v34, v27, v18 op_sel_hi:[1,0,1]
	s_delay_alu instid0(VALU_DEP_2) | instskip(NEXT) | instid1(VALU_DEP_2)
	v_pk_fma_f16 v19, v20, v23, v19 op_sel:[0,1,0]
	v_pk_fma_f16 v18, v20, v27, v18 op_sel:[0,1,0]
	s_cbranch_vccnz .LBB345_5
	s_branch .LBB345_7
.LBB345_6:                              ;   in Loop: Header=BB345_3 Depth=1
	v_dual_mov_b32 v19, 0 :: v_dual_mov_b32 v18, 0
.LBB345_7:                              ;   in Loop: Header=BB345_3 Depth=1
	s_mul_u64 s[16:17], s[22:23], s[2:3]
	s_delay_alu instid0(VALU_DEP_1)
	v_dual_lshrrev_b32 v21, 16, v19 :: v_dual_lshrrev_b32 v20, 16, v18
	s_lshl_b64 s[16:17], s[16:17], 1
	s_and_b32 vcc_lo, exec_lo, s1
	s_add_nc_u64 s[16:17], s[10:11], s[16:17]
	s_wait_xcnt 0x0
	v_lshl_add_u64 v[10:11], v[0:1], 1, s[16:17]
	s_delay_alu instid0(VALU_DEP_1)
	v_add_nc_u64_e32 v[12:13], v[10:11], v[8:9]
	v_lshl_add_u64 v[10:11], s[14:15], 1, v[10:11]
	s_cbranch_vccnz .LBB345_9
; %bb.8:                                ;   in Loop: Header=BB345_3 Depth=1
	s_delay_alu instid0(VALU_DEP_1)
	v_add_nc_u64_e32 v[22:23], v[10:11], v[8:9]
	v_mul_f16_e32 v24, s30, v21
	v_mul_f16_e32 v26, s30, v20
	;; [unrolled: 1-line block ×4, first 2 shown]
	s_clause 0x3
	global_store_b16 v[12:13], v24, off
	global_store_b16 v[12:13], v25, off offset:32
	global_store_b16 v[22:23], v26, off
	global_store_b16 v[22:23], v27, off offset:32
	s_cbranch_execnz .LBB345_2
	s_branch .LBB345_10
.LBB345_9:                              ;   in Loop: Header=BB345_3 Depth=1
.LBB345_10:                             ;   in Loop: Header=BB345_3 Depth=1
	s_mul_u64 s[16:17], s[8:9], s[2:3]
	s_delay_alu instid0(VALU_DEP_1) | instskip(SKIP_2) | instid1(VALU_DEP_1)
	v_add_nc_u64_e32 v[10:11], v[10:11], v[8:9]
	s_wait_xcnt 0x0
	v_lshl_add_u64 v[22:23], s[16:17], 1, v[2:3]
	v_add_nc_u64_e32 v[24:25], v[22:23], v[8:9]
	v_lshl_add_u64 v[22:23], s[4:5], 1, v[22:23]
	s_delay_alu instid0(VALU_DEP_1) | instskip(SKIP_3) | instid1(VALU_DEP_1)
	v_add_nc_u64_e32 v[22:23], v[22:23], v[8:9]
	global_load_u16 v26, v[24:25], off
	s_wait_loadcnt 0x0
	v_mul_f16_e32 v26, s33, v26
	v_fmac_f16_e32 v26, s30, v21
	global_store_b16 v[12:13], v26, off
	global_load_u16 v21, v[24:25], off offset:32
	s_wait_loadcnt 0x0
	v_mul_f16_e32 v21, s33, v21
	s_delay_alu instid0(VALU_DEP_1) | instskip(SKIP_4) | instid1(VALU_DEP_1)
	v_fmac_f16_e32 v21, s30, v19
	global_store_b16 v[12:13], v21, off offset:32
	global_load_u16 v12, v[22:23], off
	s_wait_loadcnt 0x0
	v_mul_f16_e32 v12, s33, v12
	v_fmac_f16_e32 v12, s30, v20
	global_store_b16 v[10:11], v12, off
	global_load_u16 v12, v[22:23], off offset:32
	s_wait_loadcnt 0x0
	v_mul_f16_e32 v12, s33, v12
	s_delay_alu instid0(VALU_DEP_1)
	v_fmac_f16_e32 v12, s30, v18
	global_store_b16 v[10:11], v12, off offset:32
	s_branch .LBB345_2
.LBB345_11:
	s_endpgm
	.section	.rodata,"a",@progbits
	.p2align	6, 0x0
	.amdhsa_kernel _ZN12_GLOBAL__N_127rocblas_gemm_batched_kernelIDF16_Li16ELi16ELi32ELi32ELi8ELi32ELi8ELi8ELi32ELc84ELc78EKDF16_S1_DF16_EEvlllT_PT11_llS4_llS2_PT12_llPT13_lli
		.amdhsa_group_segment_fixed_size 1024
		.amdhsa_private_segment_fixed_size 0
		.amdhsa_kernarg_size 140
		.amdhsa_user_sgpr_count 2
		.amdhsa_user_sgpr_dispatch_ptr 0
		.amdhsa_user_sgpr_queue_ptr 0
		.amdhsa_user_sgpr_kernarg_segment_ptr 1
		.amdhsa_user_sgpr_dispatch_id 0
		.amdhsa_user_sgpr_kernarg_preload_length 0
		.amdhsa_user_sgpr_kernarg_preload_offset 0
		.amdhsa_user_sgpr_private_segment_size 0
		.amdhsa_wavefront_size32 1
		.amdhsa_uses_dynamic_stack 0
		.amdhsa_enable_private_segment 0
		.amdhsa_system_sgpr_workgroup_id_x 1
		.amdhsa_system_sgpr_workgroup_id_y 1
		.amdhsa_system_sgpr_workgroup_id_z 1
		.amdhsa_system_sgpr_workgroup_info 0
		.amdhsa_system_vgpr_workitem_id 1
		.amdhsa_next_free_vgpr 44
		.amdhsa_next_free_sgpr 38
		.amdhsa_named_barrier_count 0
		.amdhsa_reserve_vcc 1
		.amdhsa_float_round_mode_32 0
		.amdhsa_float_round_mode_16_64 0
		.amdhsa_float_denorm_mode_32 3
		.amdhsa_float_denorm_mode_16_64 3
		.amdhsa_fp16_overflow 0
		.amdhsa_memory_ordered 1
		.amdhsa_forward_progress 1
		.amdhsa_inst_pref_size 12
		.amdhsa_round_robin_scheduling 0
		.amdhsa_exception_fp_ieee_invalid_op 0
		.amdhsa_exception_fp_denorm_src 0
		.amdhsa_exception_fp_ieee_div_zero 0
		.amdhsa_exception_fp_ieee_overflow 0
		.amdhsa_exception_fp_ieee_underflow 0
		.amdhsa_exception_fp_ieee_inexact 0
		.amdhsa_exception_int_div_zero 0
	.end_amdhsa_kernel
	.section	.text._ZN12_GLOBAL__N_127rocblas_gemm_batched_kernelIDF16_Li16ELi16ELi32ELi32ELi8ELi32ELi8ELi8ELi32ELc84ELc78EKDF16_S1_DF16_EEvlllT_PT11_llS4_llS2_PT12_llPT13_lli,"axG",@progbits,_ZN12_GLOBAL__N_127rocblas_gemm_batched_kernelIDF16_Li16ELi16ELi32ELi32ELi8ELi32ELi8ELi8ELi32ELc84ELc78EKDF16_S1_DF16_EEvlllT_PT11_llS4_llS2_PT12_llPT13_lli,comdat
.Lfunc_end345:
	.size	_ZN12_GLOBAL__N_127rocblas_gemm_batched_kernelIDF16_Li16ELi16ELi32ELi32ELi8ELi32ELi8ELi8ELi32ELc84ELc78EKDF16_S1_DF16_EEvlllT_PT11_llS4_llS2_PT12_llPT13_lli, .Lfunc_end345-_ZN12_GLOBAL__N_127rocblas_gemm_batched_kernelIDF16_Li16ELi16ELi32ELi32ELi8ELi32ELi8ELi8ELi32ELc84ELc78EKDF16_S1_DF16_EEvlllT_PT11_llS4_llS2_PT12_llPT13_lli
                                        ; -- End function
	.set _ZN12_GLOBAL__N_127rocblas_gemm_batched_kernelIDF16_Li16ELi16ELi32ELi32ELi8ELi32ELi8ELi8ELi32ELc84ELc78EKDF16_S1_DF16_EEvlllT_PT11_llS4_llS2_PT12_llPT13_lli.num_vgpr, 44
	.set _ZN12_GLOBAL__N_127rocblas_gemm_batched_kernelIDF16_Li16ELi16ELi32ELi32ELi8ELi32ELi8ELi8ELi32ELc84ELc78EKDF16_S1_DF16_EEvlllT_PT11_llS4_llS2_PT12_llPT13_lli.num_agpr, 0
	.set _ZN12_GLOBAL__N_127rocblas_gemm_batched_kernelIDF16_Li16ELi16ELi32ELi32ELi8ELi32ELi8ELi8ELi32ELc84ELc78EKDF16_S1_DF16_EEvlllT_PT11_llS4_llS2_PT12_llPT13_lli.numbered_sgpr, 38
	.set _ZN12_GLOBAL__N_127rocblas_gemm_batched_kernelIDF16_Li16ELi16ELi32ELi32ELi8ELi32ELi8ELi8ELi32ELc84ELc78EKDF16_S1_DF16_EEvlllT_PT11_llS4_llS2_PT12_llPT13_lli.num_named_barrier, 0
	.set _ZN12_GLOBAL__N_127rocblas_gemm_batched_kernelIDF16_Li16ELi16ELi32ELi32ELi8ELi32ELi8ELi8ELi32ELc84ELc78EKDF16_S1_DF16_EEvlllT_PT11_llS4_llS2_PT12_llPT13_lli.private_seg_size, 0
	.set _ZN12_GLOBAL__N_127rocblas_gemm_batched_kernelIDF16_Li16ELi16ELi32ELi32ELi8ELi32ELi8ELi8ELi32ELc84ELc78EKDF16_S1_DF16_EEvlllT_PT11_llS4_llS2_PT12_llPT13_lli.uses_vcc, 1
	.set _ZN12_GLOBAL__N_127rocblas_gemm_batched_kernelIDF16_Li16ELi16ELi32ELi32ELi8ELi32ELi8ELi8ELi32ELc84ELc78EKDF16_S1_DF16_EEvlllT_PT11_llS4_llS2_PT12_llPT13_lli.uses_flat_scratch, 0
	.set _ZN12_GLOBAL__N_127rocblas_gemm_batched_kernelIDF16_Li16ELi16ELi32ELi32ELi8ELi32ELi8ELi8ELi32ELc84ELc78EKDF16_S1_DF16_EEvlllT_PT11_llS4_llS2_PT12_llPT13_lli.has_dyn_sized_stack, 0
	.set _ZN12_GLOBAL__N_127rocblas_gemm_batched_kernelIDF16_Li16ELi16ELi32ELi32ELi8ELi32ELi8ELi8ELi32ELc84ELc78EKDF16_S1_DF16_EEvlllT_PT11_llS4_llS2_PT12_llPT13_lli.has_recursion, 0
	.set _ZN12_GLOBAL__N_127rocblas_gemm_batched_kernelIDF16_Li16ELi16ELi32ELi32ELi8ELi32ELi8ELi8ELi32ELc84ELc78EKDF16_S1_DF16_EEvlllT_PT11_llS4_llS2_PT12_llPT13_lli.has_indirect_call, 0
	.section	.AMDGPU.csdata,"",@progbits
; Kernel info:
; codeLenInByte = 1448
; TotalNumSgprs: 40
; NumVgprs: 44
; ScratchSize: 0
; MemoryBound: 0
; FloatMode: 240
; IeeeMode: 1
; LDSByteSize: 1024 bytes/workgroup (compile time only)
; SGPRBlocks: 0
; VGPRBlocks: 2
; NumSGPRsForWavesPerEU: 40
; NumVGPRsForWavesPerEU: 44
; NamedBarCnt: 0
; Occupancy: 16
; WaveLimiterHint : 0
; COMPUTE_PGM_RSRC2:SCRATCH_EN: 0
; COMPUTE_PGM_RSRC2:USER_SGPR: 2
; COMPUTE_PGM_RSRC2:TRAP_HANDLER: 0
; COMPUTE_PGM_RSRC2:TGID_X_EN: 1
; COMPUTE_PGM_RSRC2:TGID_Y_EN: 1
; COMPUTE_PGM_RSRC2:TGID_Z_EN: 1
; COMPUTE_PGM_RSRC2:TIDIG_COMP_CNT: 1
	.section	.text._ZN12_GLOBAL__N_127rocblas_gemm_batched_kernelIDF16_Li16ELi16ELi32ELi32ELi8ELi32ELi8ELi8ELi32ELc78ELc84EKDF16_S1_DF16_EEvlllT_PT11_llS4_llS2_PT12_llPT13_lli,"axG",@progbits,_ZN12_GLOBAL__N_127rocblas_gemm_batched_kernelIDF16_Li16ELi16ELi32ELi32ELi8ELi32ELi8ELi8ELi32ELc78ELc84EKDF16_S1_DF16_EEvlllT_PT11_llS4_llS2_PT12_llPT13_lli,comdat
	.globl	_ZN12_GLOBAL__N_127rocblas_gemm_batched_kernelIDF16_Li16ELi16ELi32ELi32ELi8ELi32ELi8ELi8ELi32ELc78ELc84EKDF16_S1_DF16_EEvlllT_PT11_llS4_llS2_PT12_llPT13_lli ; -- Begin function _ZN12_GLOBAL__N_127rocblas_gemm_batched_kernelIDF16_Li16ELi16ELi32ELi32ELi8ELi32ELi8ELi8ELi32ELc78ELc84EKDF16_S1_DF16_EEvlllT_PT11_llS4_llS2_PT12_llPT13_lli
	.p2align	8
	.type	_ZN12_GLOBAL__N_127rocblas_gemm_batched_kernelIDF16_Li16ELi16ELi32ELi32ELi8ELi32ELi8ELi8ELi32ELc78ELc84EKDF16_S1_DF16_EEvlllT_PT11_llS4_llS2_PT12_llPT13_lli,@function
_ZN12_GLOBAL__N_127rocblas_gemm_batched_kernelIDF16_Li16ELi16ELi32ELi32ELi8ELi32ELi8ELi8ELi32ELc78ELc84EKDF16_S1_DF16_EEvlllT_PT11_llS4_llS2_PT12_llPT13_lli: ; @_ZN12_GLOBAL__N_127rocblas_gemm_batched_kernelIDF16_Li16ELi16ELi32ELi32ELi8ELi32ELi8ELi8ELi32ELc78ELc84EKDF16_S1_DF16_EEvlllT_PT11_llS4_llS2_PT12_llPT13_lli
; %bb.0:
	s_load_b32 s31, s[0:1], 0x88
	s_bfe_u32 s2, ttmp6, 0x40014
	s_lshr_b32 s3, ttmp7, 16
	s_add_co_i32 s2, s2, 1
	s_bfe_u32 s4, ttmp6, 0x40008
	s_mul_i32 s2, s3, s2
	s_getreg_b32 s20, hwreg(HW_REG_IB_STS2, 6, 4)
	s_add_co_i32 s4, s4, s2
	s_cmp_eq_u32 s20, 0
	s_cselect_b32 s2, s3, s4
	s_mov_b32 s3, 0
	s_wait_kmcnt 0x0
	s_cmp_ge_i32 s2, s31
	s_cbranch_scc1 .LBB346_11
; %bb.1:
	s_bfe_u32 s21, ttmp6, 0x4000c
	s_bfe_u32 s23, ttmp6, 0x40010
	s_clause 0x2
	s_load_b256 s[12:19], s[0:1], 0x20
	s_load_b128 s[24:27], s[0:1], 0x40
	s_load_b256 s[4:11], s[0:1], 0x58
	s_add_co_i32 s21, s21, 1
	s_and_b32 s28, ttmp7, 0xffff
	s_add_co_i32 s23, s23, 1
	s_and_b32 s22, ttmp6, 15
	s_mul_i32 s21, ttmp9, s21
	s_mul_i32 s23, s28, s23
	s_bfe_u32 s29, ttmp6, 0x40004
	s_add_co_i32 s22, s22, s21
	s_add_co_i32 s29, s29, s23
	s_cmp_eq_u32 s20, 0
	v_bfe_u32 v2, v0, 10, 10
	v_mov_b32_e32 v3, 0
	s_cselect_b32 s20, s28, s29
	s_cselect_b32 s28, ttmp9, s22
	s_lshl_b32 s34, s20, 5
	s_load_b128 s[20:23], s[0:1], 0x78
	s_mov_b32 s35, s3
	v_and_b32_e32 v4, 0x3ff, v0
	v_lshlrev_b32_e32 v17, 4, v2
	v_add_nc_u64_e32 v[6:7], s[34:35], v[2:3]
	v_mov_b32_e32 v9, v3
	s_ashr_i32 s29, s28, 31
	s_load_b32 s33, s[0:1], 0x50
	v_add_nc_u32_e32 v1, v17, v4
	v_and_b32_e32 v14, 7, v0
	s_lshl_b64 s[36:37], s[28:29], 5
	s_wait_kmcnt 0x0
	v_mul_u64_e32 v[10:11], s[6:7], v[6:7]
	s_load_b96 s[28:30], s[0:1], 0x10
	v_dual_lshrrev_b32 v8, 3, v1 :: v_dual_lshrrev_b32 v15, 5, v1
	v_dual_mov_b32 v5, v3 :: v_dual_bitop2_b32 v2, 31, v1 bitop3:0x40
	v_lshlrev_b32_e32 v16, 1, v4
	s_delay_alu instid0(VALU_DEP_3) | instskip(NEXT) | instid1(VALU_DEP_4)
	v_mad_nc_u64_u32 v[12:13], s24, v14, v[8:9]
	v_mad_nc_u64_u32 v[18:19], s14, v15, s[36:37]
	v_mul_u64_e32 v[0:1], s[20:21], v[6:7]
	v_lshlrev_b32_e32 v6, 1, v14
	v_lshlrev_b32_e32 v7, 1, v2
	v_add_nc_u32_e32 v17, 0x200, v17
	s_delay_alu instid0(VALU_DEP_3)
	v_lshl_or_b32 v6, v8, 4, v6
	s_cmp_eq_f16 s33, 0
	v_mad_u32 v13, s25, v14, v13
	v_mad_u32 v19, s15, v15, v19
	v_lshl_or_b32 v14, v15, 6, v7
	s_wait_kmcnt 0x0
	v_cmp_gt_i64_e64 s0, s[28:29], 0
	v_add_nc_u32_e32 v15, 0x200, v6
	v_add_nc_u64_e32 v[6:7], s[36:37], v[4:5]
	s_cselect_b32 s1, -1, 0
	s_lshl_b64 s[20:21], s[20:21], 4
	s_lshl_b64 s[6:7], s[6:7], 4
	;; [unrolled: 1-line block ×4, first 2 shown]
	v_add_nc_u64_e32 v[4:5], s[34:35], v[12:13]
	v_add_nc_u64_e32 v[8:9], v[18:19], v[2:3]
	v_lshlrev_b64_e32 v[6:7], 1, v[6:7]
	v_lshl_add_u64 v[2:3], v[10:11], 1, s[4:5]
	v_cndmask_b32_e64 v10, 0, 1, s0
	s_lshl_b64 s[4:5], s[26:27], 1
	v_lshl_add_u64 v[4:5], v[4:5], 1, s[18:19]
	v_lshl_add_u64 v[8:9], v[8:9], 1, s[12:13]
	s_delay_alu instid0(VALU_DEP_3)
	v_cmp_ne_u32_e64 s0, 1, v10
	s_lshl_b64 s[12:13], s[24:25], 4
	s_branch .LBB346_3
.LBB346_2:                              ;   in Loop: Header=BB346_3 Depth=1
	s_add_co_i32 s2, s2, 0x10000
	s_delay_alu instid0(SALU_CYCLE_1)
	s_cmp_lt_i32 s2, s31
	s_cbranch_scc0 .LBB346_11
.LBB346_3:                              ; =>This Loop Header: Depth=1
                                        ;     Child Loop BB346_5 Depth 2
	s_and_b32 vcc_lo, exec_lo, s0
	s_cbranch_vccnz .LBB346_6
; %bb.4:                                ;   in Loop: Header=BB346_3 Depth=1
	s_wait_xcnt 0x0
	v_mad_nc_u64_u32 v[10:11], s4, s2, v[4:5]
	v_mad_nc_u64_u32 v[12:13], s16, s2, v[8:9]
	v_dual_mov_b32 v18, 0 :: v_dual_mov_b32 v19, 0
	s_mov_b64 s[18:19], 0
	s_delay_alu instid0(VALU_DEP_3) | instskip(NEXT) | instid1(VALU_DEP_3)
	v_mad_u32 v11, s5, s2, v11
	v_mad_u32 v13, s17, s2, v13
.LBB346_5:                              ;   Parent Loop BB346_3 Depth=1
                                        ; =>  This Inner Loop Header: Depth=2
	global_load_u16 v20, v[12:13], off
	global_load_u16 v21, v[10:11], off
	s_add_nc_u64 s[18:19], s[18:19], 8
	s_wait_xcnt 0x0
	v_add_nc_u64_e32 v[10:11], s[12:13], v[10:11]
	v_cmp_lt_i64_e64 s24, s[18:19], s[28:29]
	v_add_nc_u64_e32 v[12:13], s[14:15], v[12:13]
	s_wait_loadcnt 0x1
	ds_store_b16 v14, v20
	s_wait_loadcnt 0x0
	ds_store_b16 v15, v21
	s_wait_dscnt 0x0
	s_barrier_signal -1
	s_barrier_wait -1
	ds_load_b128 v[20:23], v17
	ds_load_b128 v[24:27], v17 offset:256
	ds_load_u16 v28, v16
	ds_load_u16 v29, v16 offset:32
	ds_load_u16 v30, v16 offset:64
	;; [unrolled: 1-line block ×15, first 2 shown]
	s_and_b32 vcc_lo, exec_lo, s24
	s_wait_dscnt 0x0
	s_barrier_signal -1
	s_barrier_wait -1
	v_perm_b32 v28, v28, v29, 0x5040100
	v_perm_b32 v29, v30, v31, 0x5040100
	;; [unrolled: 1-line block ×3, first 2 shown]
	s_delay_alu instid0(VALU_DEP_3) | instskip(SKIP_3) | instid1(VALU_DEP_4)
	v_pk_fma_f16 v19, v28, v20, v19 op_sel_hi:[1,0,1]
	v_pk_fma_f16 v18, v28, v24, v18 op_sel_hi:[1,0,1]
	v_perm_b32 v31, v34, v35, 0x5040100
	v_perm_b32 v32, v36, v37, 0x5040100
	v_pk_fma_f16 v19, v29, v20, v19 op_sel:[0,1,0]
	s_delay_alu instid0(VALU_DEP_4)
	v_pk_fma_f16 v18, v29, v24, v18 op_sel:[0,1,0]
	v_perm_b32 v33, v38, v39, 0x5040100
	v_perm_b32 v34, v40, v41, 0x5040100
	;; [unrolled: 1-line block ×3, first 2 shown]
	v_pk_fma_f16 v19, v30, v21, v19 op_sel_hi:[1,0,1]
	v_pk_fma_f16 v18, v30, v25, v18 op_sel_hi:[1,0,1]
	s_delay_alu instid0(VALU_DEP_2) | instskip(NEXT) | instid1(VALU_DEP_2)
	v_pk_fma_f16 v19, v31, v21, v19 op_sel:[0,1,0]
	v_pk_fma_f16 v18, v31, v25, v18 op_sel:[0,1,0]
	s_delay_alu instid0(VALU_DEP_2) | instskip(NEXT) | instid1(VALU_DEP_2)
	v_pk_fma_f16 v19, v32, v22, v19 op_sel_hi:[1,0,1]
	v_pk_fma_f16 v18, v32, v26, v18 op_sel_hi:[1,0,1]
	s_delay_alu instid0(VALU_DEP_2) | instskip(NEXT) | instid1(VALU_DEP_2)
	v_pk_fma_f16 v19, v33, v22, v19 op_sel:[0,1,0]
	v_pk_fma_f16 v18, v33, v26, v18 op_sel:[0,1,0]
	s_delay_alu instid0(VALU_DEP_2) | instskip(NEXT) | instid1(VALU_DEP_2)
	v_pk_fma_f16 v19, v34, v23, v19 op_sel_hi:[1,0,1]
	v_pk_fma_f16 v18, v34, v27, v18 op_sel_hi:[1,0,1]
	s_delay_alu instid0(VALU_DEP_2) | instskip(NEXT) | instid1(VALU_DEP_2)
	v_pk_fma_f16 v19, v20, v23, v19 op_sel:[0,1,0]
	v_pk_fma_f16 v18, v20, v27, v18 op_sel:[0,1,0]
	s_cbranch_vccnz .LBB346_5
	s_branch .LBB346_7
.LBB346_6:                              ;   in Loop: Header=BB346_3 Depth=1
	v_dual_mov_b32 v19, 0 :: v_dual_mov_b32 v18, 0
.LBB346_7:                              ;   in Loop: Header=BB346_3 Depth=1
	s_mul_u64 s[18:19], s[22:23], s[2:3]
	s_delay_alu instid0(VALU_DEP_1)
	v_dual_lshrrev_b32 v21, 16, v19 :: v_dual_lshrrev_b32 v20, 16, v18
	s_lshl_b64 s[18:19], s[18:19], 1
	s_and_not1_b32 vcc_lo, exec_lo, s1
	s_add_nc_u64 s[18:19], s[10:11], s[18:19]
	s_wait_xcnt 0x0
	v_lshl_add_u64 v[10:11], v[0:1], 1, s[18:19]
	s_delay_alu instid0(VALU_DEP_1)
	v_add_nc_u64_e32 v[12:13], v[10:11], v[6:7]
	v_lshl_add_u64 v[10:11], s[20:21], 1, v[10:11]
	s_cbranch_vccnz .LBB346_9
; %bb.8:                                ;   in Loop: Header=BB346_3 Depth=1
	s_delay_alu instid0(VALU_DEP_1)
	v_add_nc_u64_e32 v[22:23], v[10:11], v[6:7]
	v_mul_f16_e32 v24, s30, v21
	v_mul_f16_e32 v26, s30, v20
	;; [unrolled: 1-line block ×4, first 2 shown]
	s_clause 0x3
	global_store_b16 v[12:13], v24, off
	global_store_b16 v[12:13], v25, off offset:32
	global_store_b16 v[22:23], v26, off
	global_store_b16 v[22:23], v27, off offset:32
	s_cbranch_execnz .LBB346_2
	s_branch .LBB346_10
.LBB346_9:                              ;   in Loop: Header=BB346_3 Depth=1
.LBB346_10:                             ;   in Loop: Header=BB346_3 Depth=1
	s_mul_u64 s[18:19], s[8:9], s[2:3]
	s_delay_alu instid0(VALU_DEP_1) | instskip(SKIP_2) | instid1(VALU_DEP_1)
	v_add_nc_u64_e32 v[10:11], v[10:11], v[6:7]
	s_wait_xcnt 0x0
	v_lshl_add_u64 v[22:23], s[18:19], 1, v[2:3]
	v_add_nc_u64_e32 v[24:25], v[22:23], v[6:7]
	v_lshl_add_u64 v[22:23], s[6:7], 1, v[22:23]
	s_delay_alu instid0(VALU_DEP_1) | instskip(SKIP_3) | instid1(VALU_DEP_1)
	v_add_nc_u64_e32 v[22:23], v[22:23], v[6:7]
	global_load_u16 v26, v[24:25], off
	s_wait_loadcnt 0x0
	v_mul_f16_e32 v26, s33, v26
	v_fmac_f16_e32 v26, s30, v21
	global_store_b16 v[12:13], v26, off
	global_load_u16 v21, v[24:25], off offset:32
	s_wait_loadcnt 0x0
	v_mul_f16_e32 v21, s33, v21
	s_delay_alu instid0(VALU_DEP_1) | instskip(SKIP_4) | instid1(VALU_DEP_1)
	v_fmac_f16_e32 v21, s30, v19
	global_store_b16 v[12:13], v21, off offset:32
	global_load_u16 v12, v[22:23], off
	s_wait_loadcnt 0x0
	v_mul_f16_e32 v12, s33, v12
	v_fmac_f16_e32 v12, s30, v20
	global_store_b16 v[10:11], v12, off
	global_load_u16 v12, v[22:23], off offset:32
	s_wait_loadcnt 0x0
	v_mul_f16_e32 v12, s33, v12
	s_delay_alu instid0(VALU_DEP_1)
	v_fmac_f16_e32 v12, s30, v18
	global_store_b16 v[10:11], v12, off offset:32
	s_branch .LBB346_2
.LBB346_11:
	s_endpgm
	.section	.rodata,"a",@progbits
	.p2align	6, 0x0
	.amdhsa_kernel _ZN12_GLOBAL__N_127rocblas_gemm_batched_kernelIDF16_Li16ELi16ELi32ELi32ELi8ELi32ELi8ELi8ELi32ELc78ELc84EKDF16_S1_DF16_EEvlllT_PT11_llS4_llS2_PT12_llPT13_lli
		.amdhsa_group_segment_fixed_size 1024
		.amdhsa_private_segment_fixed_size 0
		.amdhsa_kernarg_size 140
		.amdhsa_user_sgpr_count 2
		.amdhsa_user_sgpr_dispatch_ptr 0
		.amdhsa_user_sgpr_queue_ptr 0
		.amdhsa_user_sgpr_kernarg_segment_ptr 1
		.amdhsa_user_sgpr_dispatch_id 0
		.amdhsa_user_sgpr_kernarg_preload_length 0
		.amdhsa_user_sgpr_kernarg_preload_offset 0
		.amdhsa_user_sgpr_private_segment_size 0
		.amdhsa_wavefront_size32 1
		.amdhsa_uses_dynamic_stack 0
		.amdhsa_enable_private_segment 0
		.amdhsa_system_sgpr_workgroup_id_x 1
		.amdhsa_system_sgpr_workgroup_id_y 1
		.amdhsa_system_sgpr_workgroup_id_z 1
		.amdhsa_system_sgpr_workgroup_info 0
		.amdhsa_system_vgpr_workitem_id 1
		.amdhsa_next_free_vgpr 44
		.amdhsa_next_free_sgpr 38
		.amdhsa_named_barrier_count 0
		.amdhsa_reserve_vcc 1
		.amdhsa_float_round_mode_32 0
		.amdhsa_float_round_mode_16_64 0
		.amdhsa_float_denorm_mode_32 3
		.amdhsa_float_denorm_mode_16_64 3
		.amdhsa_fp16_overflow 0
		.amdhsa_memory_ordered 1
		.amdhsa_forward_progress 1
		.amdhsa_inst_pref_size 12
		.amdhsa_round_robin_scheduling 0
		.amdhsa_exception_fp_ieee_invalid_op 0
		.amdhsa_exception_fp_denorm_src 0
		.amdhsa_exception_fp_ieee_div_zero 0
		.amdhsa_exception_fp_ieee_overflow 0
		.amdhsa_exception_fp_ieee_underflow 0
		.amdhsa_exception_fp_ieee_inexact 0
		.amdhsa_exception_int_div_zero 0
	.end_amdhsa_kernel
	.section	.text._ZN12_GLOBAL__N_127rocblas_gemm_batched_kernelIDF16_Li16ELi16ELi32ELi32ELi8ELi32ELi8ELi8ELi32ELc78ELc84EKDF16_S1_DF16_EEvlllT_PT11_llS4_llS2_PT12_llPT13_lli,"axG",@progbits,_ZN12_GLOBAL__N_127rocblas_gemm_batched_kernelIDF16_Li16ELi16ELi32ELi32ELi8ELi32ELi8ELi8ELi32ELc78ELc84EKDF16_S1_DF16_EEvlllT_PT11_llS4_llS2_PT12_llPT13_lli,comdat
.Lfunc_end346:
	.size	_ZN12_GLOBAL__N_127rocblas_gemm_batched_kernelIDF16_Li16ELi16ELi32ELi32ELi8ELi32ELi8ELi8ELi32ELc78ELc84EKDF16_S1_DF16_EEvlllT_PT11_llS4_llS2_PT12_llPT13_lli, .Lfunc_end346-_ZN12_GLOBAL__N_127rocblas_gemm_batched_kernelIDF16_Li16ELi16ELi32ELi32ELi8ELi32ELi8ELi8ELi32ELc78ELc84EKDF16_S1_DF16_EEvlllT_PT11_llS4_llS2_PT12_llPT13_lli
                                        ; -- End function
	.set _ZN12_GLOBAL__N_127rocblas_gemm_batched_kernelIDF16_Li16ELi16ELi32ELi32ELi8ELi32ELi8ELi8ELi32ELc78ELc84EKDF16_S1_DF16_EEvlllT_PT11_llS4_llS2_PT12_llPT13_lli.num_vgpr, 44
	.set _ZN12_GLOBAL__N_127rocblas_gemm_batched_kernelIDF16_Li16ELi16ELi32ELi32ELi8ELi32ELi8ELi8ELi32ELc78ELc84EKDF16_S1_DF16_EEvlllT_PT11_llS4_llS2_PT12_llPT13_lli.num_agpr, 0
	.set _ZN12_GLOBAL__N_127rocblas_gemm_batched_kernelIDF16_Li16ELi16ELi32ELi32ELi8ELi32ELi8ELi8ELi32ELc78ELc84EKDF16_S1_DF16_EEvlllT_PT11_llS4_llS2_PT12_llPT13_lli.numbered_sgpr, 38
	.set _ZN12_GLOBAL__N_127rocblas_gemm_batched_kernelIDF16_Li16ELi16ELi32ELi32ELi8ELi32ELi8ELi8ELi32ELc78ELc84EKDF16_S1_DF16_EEvlllT_PT11_llS4_llS2_PT12_llPT13_lli.num_named_barrier, 0
	.set _ZN12_GLOBAL__N_127rocblas_gemm_batched_kernelIDF16_Li16ELi16ELi32ELi32ELi8ELi32ELi8ELi8ELi32ELc78ELc84EKDF16_S1_DF16_EEvlllT_PT11_llS4_llS2_PT12_llPT13_lli.private_seg_size, 0
	.set _ZN12_GLOBAL__N_127rocblas_gemm_batched_kernelIDF16_Li16ELi16ELi32ELi32ELi8ELi32ELi8ELi8ELi32ELc78ELc84EKDF16_S1_DF16_EEvlllT_PT11_llS4_llS2_PT12_llPT13_lli.uses_vcc, 1
	.set _ZN12_GLOBAL__N_127rocblas_gemm_batched_kernelIDF16_Li16ELi16ELi32ELi32ELi8ELi32ELi8ELi8ELi32ELc78ELc84EKDF16_S1_DF16_EEvlllT_PT11_llS4_llS2_PT12_llPT13_lli.uses_flat_scratch, 0
	.set _ZN12_GLOBAL__N_127rocblas_gemm_batched_kernelIDF16_Li16ELi16ELi32ELi32ELi8ELi32ELi8ELi8ELi32ELc78ELc84EKDF16_S1_DF16_EEvlllT_PT11_llS4_llS2_PT12_llPT13_lli.has_dyn_sized_stack, 0
	.set _ZN12_GLOBAL__N_127rocblas_gemm_batched_kernelIDF16_Li16ELi16ELi32ELi32ELi8ELi32ELi8ELi8ELi32ELc78ELc84EKDF16_S1_DF16_EEvlllT_PT11_llS4_llS2_PT12_llPT13_lli.has_recursion, 0
	.set _ZN12_GLOBAL__N_127rocblas_gemm_batched_kernelIDF16_Li16ELi16ELi32ELi32ELi8ELi32ELi8ELi8ELi32ELc78ELc84EKDF16_S1_DF16_EEvlllT_PT11_llS4_llS2_PT12_llPT13_lli.has_indirect_call, 0
	.section	.AMDGPU.csdata,"",@progbits
; Kernel info:
; codeLenInByte = 1420
; TotalNumSgprs: 40
; NumVgprs: 44
; ScratchSize: 0
; MemoryBound: 0
; FloatMode: 240
; IeeeMode: 1
; LDSByteSize: 1024 bytes/workgroup (compile time only)
; SGPRBlocks: 0
; VGPRBlocks: 2
; NumSGPRsForWavesPerEU: 40
; NumVGPRsForWavesPerEU: 44
; NamedBarCnt: 0
; Occupancy: 16
; WaveLimiterHint : 0
; COMPUTE_PGM_RSRC2:SCRATCH_EN: 0
; COMPUTE_PGM_RSRC2:USER_SGPR: 2
; COMPUTE_PGM_RSRC2:TRAP_HANDLER: 0
; COMPUTE_PGM_RSRC2:TGID_X_EN: 1
; COMPUTE_PGM_RSRC2:TGID_Y_EN: 1
; COMPUTE_PGM_RSRC2:TGID_Z_EN: 1
; COMPUTE_PGM_RSRC2:TIDIG_COMP_CNT: 1
	.section	.text._ZN12_GLOBAL__N_127rocblas_gemm_batched_kernelIDF16_Li16ELi16ELi32ELi32ELi8ELi32ELi8ELi8ELi32ELc84ELc84EKDF16_S1_DF16_EEvlllT_PT11_llS4_llS2_PT12_llPT13_lli,"axG",@progbits,_ZN12_GLOBAL__N_127rocblas_gemm_batched_kernelIDF16_Li16ELi16ELi32ELi32ELi8ELi32ELi8ELi8ELi32ELc84ELc84EKDF16_S1_DF16_EEvlllT_PT11_llS4_llS2_PT12_llPT13_lli,comdat
	.globl	_ZN12_GLOBAL__N_127rocblas_gemm_batched_kernelIDF16_Li16ELi16ELi32ELi32ELi8ELi32ELi8ELi8ELi32ELc84ELc84EKDF16_S1_DF16_EEvlllT_PT11_llS4_llS2_PT12_llPT13_lli ; -- Begin function _ZN12_GLOBAL__N_127rocblas_gemm_batched_kernelIDF16_Li16ELi16ELi32ELi32ELi8ELi32ELi8ELi8ELi32ELc84ELc84EKDF16_S1_DF16_EEvlllT_PT11_llS4_llS2_PT12_llPT13_lli
	.p2align	8
	.type	_ZN12_GLOBAL__N_127rocblas_gemm_batched_kernelIDF16_Li16ELi16ELi32ELi32ELi8ELi32ELi8ELi8ELi32ELc84ELc84EKDF16_S1_DF16_EEvlllT_PT11_llS4_llS2_PT12_llPT13_lli,@function
_ZN12_GLOBAL__N_127rocblas_gemm_batched_kernelIDF16_Li16ELi16ELi32ELi32ELi8ELi32ELi8ELi8ELi32ELc84ELc84EKDF16_S1_DF16_EEvlllT_PT11_llS4_llS2_PT12_llPT13_lli: ; @_ZN12_GLOBAL__N_127rocblas_gemm_batched_kernelIDF16_Li16ELi16ELi32ELi32ELi8ELi32ELi8ELi8ELi32ELc84ELc84EKDF16_S1_DF16_EEvlllT_PT11_llS4_llS2_PT12_llPT13_lli
; %bb.0:
	s_load_b32 s31, s[0:1], 0x88
	s_bfe_u32 s2, ttmp6, 0x40014
	s_lshr_b32 s3, ttmp7, 16
	s_add_co_i32 s2, s2, 1
	s_bfe_u32 s4, ttmp6, 0x40008
	s_mul_i32 s2, s3, s2
	s_getreg_b32 s28, hwreg(HW_REG_IB_STS2, 6, 4)
	s_add_co_i32 s4, s4, s2
	s_cmp_eq_u32 s28, 0
	s_cselect_b32 s2, s3, s4
	s_mov_b32 s3, 0
	s_wait_kmcnt 0x0
	s_cmp_ge_i32 s2, s31
	s_cbranch_scc1 .LBB347_11
; %bb.1:
	s_bfe_u32 s29, ttmp6, 0x4000c
	s_bfe_u32 s33, ttmp6, 0x40010
	s_add_co_i32 s29, s29, 1
	s_and_b32 s34, ttmp7, 0xffff
	s_add_co_i32 s33, s33, 1
	v_bfe_u32 v2, v0, 10, 10
	s_and_b32 s30, ttmp6, 15
	s_mul_i32 s29, ttmp9, s29
	s_mul_i32 s33, s34, s33
	s_bfe_u32 s35, ttmp6, 0x40004
	s_add_co_i32 s30, s30, s29
	s_add_co_i32 s35, s35, s33
	s_cmp_eq_u32 s28, 0
	v_and_b32_e32 v4, 0x3ff, v0
	v_dual_lshlrev_b32 v15, 4, v2 :: v_dual_mov_b32 v3, 0
	s_cselect_b32 s28, ttmp9, s30
	s_clause 0x2
	s_load_b256 s[12:19], s[0:1], 0x20
	s_load_b128 s[24:27], s[0:1], 0x40
	s_load_b128 s[20:23], s[0:1], 0x78
	s_cselect_b32 s30, s34, s35
	s_ashr_i32 s29, s28, 31
	s_load_b256 s[4:11], s[0:1], 0x58
	s_lshl_b64 s[34:35], s[28:29], 5
	s_delay_alu instid0(SALU_CYCLE_1) | instskip(SKIP_3) | instid1(VALU_DEP_2)
	v_dual_mov_b32 v7, s35 :: v_dual_add_nc_u32 v18, v15, v4
	s_lshl_b32 s36, s30, 5
	s_mov_b32 s37, s3
	v_dual_mov_b32 v11, v3 :: v_dual_mov_b32 v5, v3
	v_and_b32_e32 v19, 31, v18
	v_add_nc_u64_e32 v[8:9], s[36:37], v[2:3]
	s_clause 0x1
	s_load_b32 s33, s[0:1], 0x50
	s_load_b96 s[28:30], s[0:1], 0x10
	v_lshlrev_b32_e32 v14, 1, v4
	v_add_nc_u32_e32 v15, 0x200, v15
	v_or_b32_e32 v6, s34, v19
	v_dual_lshrrev_b32 v10, 3, v18 :: v_dual_bitop2_b32 v2, 7, v0 bitop3:0x40
	v_dual_lshrrev_b32 v18, 5, v18 :: v_dual_lshlrev_b32 v19, 1, v19
	s_wait_kmcnt 0x0
	s_delay_alu instid0(VALU_DEP_3)
	v_mul_u64_e32 v[6:7], s[14:15], v[6:7]
	v_mul_u64_e32 v[0:1], s[20:21], v[8:9]
	v_mul_u64_e32 v[12:13], s[6:7], v[8:9]
	v_mad_nc_u64_u32 v[16:17], s24, v2, v[10:11]
	v_lshlrev_b32_e32 v11, 1, v2
	v_add_nc_u64_e32 v[8:9], s[34:35], v[4:5]
	s_delay_alu instid0(VALU_DEP_2)
	v_lshl_or_b32 v20, v10, 4, v11
	s_cmp_eq_f16 s33, 0
	v_cmp_gt_i64_e64 s0, s[28:29], 0
	v_mad_u32 v17, s25, v2, v17
	v_lshlrev_b32_e32 v2, 1, v18
	s_cselect_b32 s1, -1, 0
	s_lshl_b64 s[14:15], s[20:21], 4
	s_lshl_b64 s[6:7], s[6:7], 4
	v_cndmask_b32_e64 v21, 0, 1, s0
	s_lshl_b64 s[16:17], s[16:17], 1
	s_delay_alu instid0(VALU_DEP_1) | instskip(NEXT) | instid1(VALU_DEP_4)
	v_cmp_ne_u32_e64 s0, 1, v21
	v_add_nc_u64_e32 v[10:11], s[36:37], v[16:17]
	v_lshl_or_b32 v16, v18, 6, v19
	v_add_nc_u32_e32 v17, 0x200, v20
	v_lshl_add_u64 v[4:5], v[6:7], 1, v[2:3]
	v_lshlrev_b64_e32 v[6:7], 1, v[8:9]
	v_lshl_add_u64 v[2:3], v[12:13], 1, s[4:5]
	v_lshl_add_u64 v[8:9], v[10:11], 1, s[18:19]
	s_lshl_b64 s[4:5], s[26:27], 1
	v_add_nc_u64_e32 v[4:5], s[12:13], v[4:5]
	s_lshl_b64 s[12:13], s[24:25], 4
	s_branch .LBB347_3
.LBB347_2:                              ;   in Loop: Header=BB347_3 Depth=1
	s_add_co_i32 s2, s2, 0x10000
	s_delay_alu instid0(SALU_CYCLE_1)
	s_cmp_lt_i32 s2, s31
	s_cbranch_scc0 .LBB347_11
.LBB347_3:                              ; =>This Loop Header: Depth=1
                                        ;     Child Loop BB347_5 Depth 2
	s_and_b32 vcc_lo, exec_lo, s0
	s_cbranch_vccnz .LBB347_6
; %bb.4:                                ;   in Loop: Header=BB347_3 Depth=1
	s_wait_xcnt 0x0
	v_mad_nc_u64_u32 v[10:11], s4, s2, v[8:9]
	v_mad_nc_u64_u32 v[12:13], s16, s2, v[4:5]
	v_dual_mov_b32 v18, 0 :: v_dual_mov_b32 v19, 0
	s_mov_b64 s[18:19], 0
	s_delay_alu instid0(VALU_DEP_3) | instskip(NEXT) | instid1(VALU_DEP_3)
	v_mad_u32 v11, s5, s2, v11
	v_mad_u32 v13, s17, s2, v13
.LBB347_5:                              ;   Parent Loop BB347_3 Depth=1
                                        ; =>  This Inner Loop Header: Depth=2
	global_load_u16 v20, v[12:13], off
	global_load_u16 v21, v[10:11], off
	s_add_nc_u64 s[18:19], s[18:19], 8
	s_wait_xcnt 0x0
	v_add_nc_u64_e32 v[10:11], s[12:13], v[10:11]
	v_cmp_lt_i64_e64 s20, s[18:19], s[28:29]
	v_add_nc_u64_e32 v[12:13], 16, v[12:13]
	s_wait_loadcnt 0x1
	ds_store_b16 v16, v20
	s_wait_loadcnt 0x0
	ds_store_b16 v17, v21
	s_wait_dscnt 0x0
	s_barrier_signal -1
	s_barrier_wait -1
	ds_load_b128 v[20:23], v15
	ds_load_b128 v[24:27], v15 offset:256
	ds_load_u16 v28, v14
	ds_load_u16 v29, v14 offset:32
	ds_load_u16 v30, v14 offset:64
	;; [unrolled: 1-line block ×15, first 2 shown]
	s_and_b32 vcc_lo, exec_lo, s20
	s_wait_dscnt 0x0
	s_barrier_signal -1
	s_barrier_wait -1
	v_perm_b32 v28, v28, v29, 0x5040100
	v_perm_b32 v29, v30, v31, 0x5040100
	;; [unrolled: 1-line block ×3, first 2 shown]
	s_delay_alu instid0(VALU_DEP_3) | instskip(SKIP_3) | instid1(VALU_DEP_4)
	v_pk_fma_f16 v19, v28, v20, v19 op_sel_hi:[1,0,1]
	v_pk_fma_f16 v18, v28, v24, v18 op_sel_hi:[1,0,1]
	v_perm_b32 v31, v34, v35, 0x5040100
	v_perm_b32 v32, v36, v37, 0x5040100
	v_pk_fma_f16 v19, v29, v20, v19 op_sel:[0,1,0]
	s_delay_alu instid0(VALU_DEP_4)
	v_pk_fma_f16 v18, v29, v24, v18 op_sel:[0,1,0]
	v_perm_b32 v33, v38, v39, 0x5040100
	v_perm_b32 v34, v40, v41, 0x5040100
	;; [unrolled: 1-line block ×3, first 2 shown]
	v_pk_fma_f16 v19, v30, v21, v19 op_sel_hi:[1,0,1]
	v_pk_fma_f16 v18, v30, v25, v18 op_sel_hi:[1,0,1]
	s_delay_alu instid0(VALU_DEP_2) | instskip(NEXT) | instid1(VALU_DEP_2)
	v_pk_fma_f16 v19, v31, v21, v19 op_sel:[0,1,0]
	v_pk_fma_f16 v18, v31, v25, v18 op_sel:[0,1,0]
	s_delay_alu instid0(VALU_DEP_2) | instskip(NEXT) | instid1(VALU_DEP_2)
	v_pk_fma_f16 v19, v32, v22, v19 op_sel_hi:[1,0,1]
	v_pk_fma_f16 v18, v32, v26, v18 op_sel_hi:[1,0,1]
	s_delay_alu instid0(VALU_DEP_2) | instskip(NEXT) | instid1(VALU_DEP_2)
	v_pk_fma_f16 v19, v33, v22, v19 op_sel:[0,1,0]
	v_pk_fma_f16 v18, v33, v26, v18 op_sel:[0,1,0]
	s_delay_alu instid0(VALU_DEP_2) | instskip(NEXT) | instid1(VALU_DEP_2)
	v_pk_fma_f16 v19, v34, v23, v19 op_sel_hi:[1,0,1]
	v_pk_fma_f16 v18, v34, v27, v18 op_sel_hi:[1,0,1]
	s_delay_alu instid0(VALU_DEP_2) | instskip(NEXT) | instid1(VALU_DEP_2)
	v_pk_fma_f16 v19, v20, v23, v19 op_sel:[0,1,0]
	v_pk_fma_f16 v18, v20, v27, v18 op_sel:[0,1,0]
	s_cbranch_vccnz .LBB347_5
	s_branch .LBB347_7
.LBB347_6:                              ;   in Loop: Header=BB347_3 Depth=1
	v_dual_mov_b32 v19, 0 :: v_dual_mov_b32 v18, 0
.LBB347_7:                              ;   in Loop: Header=BB347_3 Depth=1
	s_mul_u64 s[18:19], s[22:23], s[2:3]
	s_delay_alu instid0(VALU_DEP_1)
	v_dual_lshrrev_b32 v21, 16, v19 :: v_dual_lshrrev_b32 v20, 16, v18
	s_lshl_b64 s[18:19], s[18:19], 1
	s_and_not1_b32 vcc_lo, exec_lo, s1
	s_add_nc_u64 s[18:19], s[10:11], s[18:19]
	s_wait_xcnt 0x0
	v_lshl_add_u64 v[10:11], v[0:1], 1, s[18:19]
	s_delay_alu instid0(VALU_DEP_1)
	v_add_nc_u64_e32 v[12:13], v[10:11], v[6:7]
	v_lshl_add_u64 v[10:11], s[14:15], 1, v[10:11]
	s_cbranch_vccnz .LBB347_9
; %bb.8:                                ;   in Loop: Header=BB347_3 Depth=1
	s_delay_alu instid0(VALU_DEP_1)
	v_add_nc_u64_e32 v[22:23], v[10:11], v[6:7]
	v_mul_f16_e32 v24, s30, v21
	v_mul_f16_e32 v26, s30, v20
	;; [unrolled: 1-line block ×4, first 2 shown]
	s_clause 0x3
	global_store_b16 v[12:13], v24, off
	global_store_b16 v[12:13], v25, off offset:32
	global_store_b16 v[22:23], v26, off
	global_store_b16 v[22:23], v27, off offset:32
	s_cbranch_execnz .LBB347_2
	s_branch .LBB347_10
.LBB347_9:                              ;   in Loop: Header=BB347_3 Depth=1
.LBB347_10:                             ;   in Loop: Header=BB347_3 Depth=1
	s_mul_u64 s[18:19], s[8:9], s[2:3]
	s_delay_alu instid0(VALU_DEP_1) | instskip(SKIP_2) | instid1(VALU_DEP_1)
	v_add_nc_u64_e32 v[10:11], v[10:11], v[6:7]
	s_wait_xcnt 0x0
	v_lshl_add_u64 v[22:23], s[18:19], 1, v[2:3]
	v_add_nc_u64_e32 v[24:25], v[22:23], v[6:7]
	v_lshl_add_u64 v[22:23], s[6:7], 1, v[22:23]
	s_delay_alu instid0(VALU_DEP_1) | instskip(SKIP_3) | instid1(VALU_DEP_1)
	v_add_nc_u64_e32 v[22:23], v[22:23], v[6:7]
	global_load_u16 v26, v[24:25], off
	s_wait_loadcnt 0x0
	v_mul_f16_e32 v26, s33, v26
	v_fmac_f16_e32 v26, s30, v21
	global_store_b16 v[12:13], v26, off
	global_load_u16 v21, v[24:25], off offset:32
	s_wait_loadcnt 0x0
	v_mul_f16_e32 v21, s33, v21
	s_delay_alu instid0(VALU_DEP_1) | instskip(SKIP_4) | instid1(VALU_DEP_1)
	v_fmac_f16_e32 v21, s30, v19
	global_store_b16 v[12:13], v21, off offset:32
	global_load_u16 v12, v[22:23], off
	s_wait_loadcnt 0x0
	v_mul_f16_e32 v12, s33, v12
	v_fmac_f16_e32 v12, s30, v20
	global_store_b16 v[10:11], v12, off
	global_load_u16 v12, v[22:23], off offset:32
	s_wait_loadcnt 0x0
	v_mul_f16_e32 v12, s33, v12
	s_delay_alu instid0(VALU_DEP_1)
	v_fmac_f16_e32 v12, s30, v18
	global_store_b16 v[10:11], v12, off offset:32
	s_branch .LBB347_2
.LBB347_11:
	s_endpgm
	.section	.rodata,"a",@progbits
	.p2align	6, 0x0
	.amdhsa_kernel _ZN12_GLOBAL__N_127rocblas_gemm_batched_kernelIDF16_Li16ELi16ELi32ELi32ELi8ELi32ELi8ELi8ELi32ELc84ELc84EKDF16_S1_DF16_EEvlllT_PT11_llS4_llS2_PT12_llPT13_lli
		.amdhsa_group_segment_fixed_size 1024
		.amdhsa_private_segment_fixed_size 0
		.amdhsa_kernarg_size 140
		.amdhsa_user_sgpr_count 2
		.amdhsa_user_sgpr_dispatch_ptr 0
		.amdhsa_user_sgpr_queue_ptr 0
		.amdhsa_user_sgpr_kernarg_segment_ptr 1
		.amdhsa_user_sgpr_dispatch_id 0
		.amdhsa_user_sgpr_kernarg_preload_length 0
		.amdhsa_user_sgpr_kernarg_preload_offset 0
		.amdhsa_user_sgpr_private_segment_size 0
		.amdhsa_wavefront_size32 1
		.amdhsa_uses_dynamic_stack 0
		.amdhsa_enable_private_segment 0
		.amdhsa_system_sgpr_workgroup_id_x 1
		.amdhsa_system_sgpr_workgroup_id_y 1
		.amdhsa_system_sgpr_workgroup_id_z 1
		.amdhsa_system_sgpr_workgroup_info 0
		.amdhsa_system_vgpr_workitem_id 1
		.amdhsa_next_free_vgpr 44
		.amdhsa_next_free_sgpr 38
		.amdhsa_named_barrier_count 0
		.amdhsa_reserve_vcc 1
		.amdhsa_float_round_mode_32 0
		.amdhsa_float_round_mode_16_64 0
		.amdhsa_float_denorm_mode_32 3
		.amdhsa_float_denorm_mode_16_64 3
		.amdhsa_fp16_overflow 0
		.amdhsa_memory_ordered 1
		.amdhsa_forward_progress 1
		.amdhsa_inst_pref_size 12
		.amdhsa_round_robin_scheduling 0
		.amdhsa_exception_fp_ieee_invalid_op 0
		.amdhsa_exception_fp_denorm_src 0
		.amdhsa_exception_fp_ieee_div_zero 0
		.amdhsa_exception_fp_ieee_overflow 0
		.amdhsa_exception_fp_ieee_underflow 0
		.amdhsa_exception_fp_ieee_inexact 0
		.amdhsa_exception_int_div_zero 0
	.end_amdhsa_kernel
	.section	.text._ZN12_GLOBAL__N_127rocblas_gemm_batched_kernelIDF16_Li16ELi16ELi32ELi32ELi8ELi32ELi8ELi8ELi32ELc84ELc84EKDF16_S1_DF16_EEvlllT_PT11_llS4_llS2_PT12_llPT13_lli,"axG",@progbits,_ZN12_GLOBAL__N_127rocblas_gemm_batched_kernelIDF16_Li16ELi16ELi32ELi32ELi8ELi32ELi8ELi8ELi32ELc84ELc84EKDF16_S1_DF16_EEvlllT_PT11_llS4_llS2_PT12_llPT13_lli,comdat
.Lfunc_end347:
	.size	_ZN12_GLOBAL__N_127rocblas_gemm_batched_kernelIDF16_Li16ELi16ELi32ELi32ELi8ELi32ELi8ELi8ELi32ELc84ELc84EKDF16_S1_DF16_EEvlllT_PT11_llS4_llS2_PT12_llPT13_lli, .Lfunc_end347-_ZN12_GLOBAL__N_127rocblas_gemm_batched_kernelIDF16_Li16ELi16ELi32ELi32ELi8ELi32ELi8ELi8ELi32ELc84ELc84EKDF16_S1_DF16_EEvlllT_PT11_llS4_llS2_PT12_llPT13_lli
                                        ; -- End function
	.set _ZN12_GLOBAL__N_127rocblas_gemm_batched_kernelIDF16_Li16ELi16ELi32ELi32ELi8ELi32ELi8ELi8ELi32ELc84ELc84EKDF16_S1_DF16_EEvlllT_PT11_llS4_llS2_PT12_llPT13_lli.num_vgpr, 44
	.set _ZN12_GLOBAL__N_127rocblas_gemm_batched_kernelIDF16_Li16ELi16ELi32ELi32ELi8ELi32ELi8ELi8ELi32ELc84ELc84EKDF16_S1_DF16_EEvlllT_PT11_llS4_llS2_PT12_llPT13_lli.num_agpr, 0
	.set _ZN12_GLOBAL__N_127rocblas_gemm_batched_kernelIDF16_Li16ELi16ELi32ELi32ELi8ELi32ELi8ELi8ELi32ELc84ELc84EKDF16_S1_DF16_EEvlllT_PT11_llS4_llS2_PT12_llPT13_lli.numbered_sgpr, 38
	.set _ZN12_GLOBAL__N_127rocblas_gemm_batched_kernelIDF16_Li16ELi16ELi32ELi32ELi8ELi32ELi8ELi8ELi32ELc84ELc84EKDF16_S1_DF16_EEvlllT_PT11_llS4_llS2_PT12_llPT13_lli.num_named_barrier, 0
	.set _ZN12_GLOBAL__N_127rocblas_gemm_batched_kernelIDF16_Li16ELi16ELi32ELi32ELi8ELi32ELi8ELi8ELi32ELc84ELc84EKDF16_S1_DF16_EEvlllT_PT11_llS4_llS2_PT12_llPT13_lli.private_seg_size, 0
	.set _ZN12_GLOBAL__N_127rocblas_gemm_batched_kernelIDF16_Li16ELi16ELi32ELi32ELi8ELi32ELi8ELi8ELi32ELc84ELc84EKDF16_S1_DF16_EEvlllT_PT11_llS4_llS2_PT12_llPT13_lli.uses_vcc, 1
	.set _ZN12_GLOBAL__N_127rocblas_gemm_batched_kernelIDF16_Li16ELi16ELi32ELi32ELi8ELi32ELi8ELi8ELi32ELc84ELc84EKDF16_S1_DF16_EEvlllT_PT11_llS4_llS2_PT12_llPT13_lli.uses_flat_scratch, 0
	.set _ZN12_GLOBAL__N_127rocblas_gemm_batched_kernelIDF16_Li16ELi16ELi32ELi32ELi8ELi32ELi8ELi8ELi32ELc84ELc84EKDF16_S1_DF16_EEvlllT_PT11_llS4_llS2_PT12_llPT13_lli.has_dyn_sized_stack, 0
	.set _ZN12_GLOBAL__N_127rocblas_gemm_batched_kernelIDF16_Li16ELi16ELi32ELi32ELi8ELi32ELi8ELi8ELi32ELc84ELc84EKDF16_S1_DF16_EEvlllT_PT11_llS4_llS2_PT12_llPT13_lli.has_recursion, 0
	.set _ZN12_GLOBAL__N_127rocblas_gemm_batched_kernelIDF16_Li16ELi16ELi32ELi32ELi8ELi32ELi8ELi8ELi32ELc84ELc84EKDF16_S1_DF16_EEvlllT_PT11_llS4_llS2_PT12_llPT13_lli.has_indirect_call, 0
	.section	.AMDGPU.csdata,"",@progbits
; Kernel info:
; codeLenInByte = 1428
; TotalNumSgprs: 40
; NumVgprs: 44
; ScratchSize: 0
; MemoryBound: 0
; FloatMode: 240
; IeeeMode: 1
; LDSByteSize: 1024 bytes/workgroup (compile time only)
; SGPRBlocks: 0
; VGPRBlocks: 2
; NumSGPRsForWavesPerEU: 40
; NumVGPRsForWavesPerEU: 44
; NamedBarCnt: 0
; Occupancy: 16
; WaveLimiterHint : 0
; COMPUTE_PGM_RSRC2:SCRATCH_EN: 0
; COMPUTE_PGM_RSRC2:USER_SGPR: 2
; COMPUTE_PGM_RSRC2:TRAP_HANDLER: 0
; COMPUTE_PGM_RSRC2:TGID_X_EN: 1
; COMPUTE_PGM_RSRC2:TGID_Y_EN: 1
; COMPUTE_PGM_RSRC2:TGID_Z_EN: 1
; COMPUTE_PGM_RSRC2:TIDIG_COMP_CNT: 1
	.section	.text._ZN12_GLOBAL__N_127rocblas_gemm_batched_kernelIDF16_Li16ELi16ELi32ELi32ELi8ELi32ELi8ELi8ELi32ELc67ELc67EKDF16_S1_DF16_EEvlllT_PT11_llS4_llS2_PT12_llPT13_lli,"axG",@progbits,_ZN12_GLOBAL__N_127rocblas_gemm_batched_kernelIDF16_Li16ELi16ELi32ELi32ELi8ELi32ELi8ELi8ELi32ELc67ELc67EKDF16_S1_DF16_EEvlllT_PT11_llS4_llS2_PT12_llPT13_lli,comdat
	.globl	_ZN12_GLOBAL__N_127rocblas_gemm_batched_kernelIDF16_Li16ELi16ELi32ELi32ELi8ELi32ELi8ELi8ELi32ELc67ELc67EKDF16_S1_DF16_EEvlllT_PT11_llS4_llS2_PT12_llPT13_lli ; -- Begin function _ZN12_GLOBAL__N_127rocblas_gemm_batched_kernelIDF16_Li16ELi16ELi32ELi32ELi8ELi32ELi8ELi8ELi32ELc67ELc67EKDF16_S1_DF16_EEvlllT_PT11_llS4_llS2_PT12_llPT13_lli
	.p2align	8
	.type	_ZN12_GLOBAL__N_127rocblas_gemm_batched_kernelIDF16_Li16ELi16ELi32ELi32ELi8ELi32ELi8ELi8ELi32ELc67ELc67EKDF16_S1_DF16_EEvlllT_PT11_llS4_llS2_PT12_llPT13_lli,@function
_ZN12_GLOBAL__N_127rocblas_gemm_batched_kernelIDF16_Li16ELi16ELi32ELi32ELi8ELi32ELi8ELi8ELi32ELc67ELc67EKDF16_S1_DF16_EEvlllT_PT11_llS4_llS2_PT12_llPT13_lli: ; @_ZN12_GLOBAL__N_127rocblas_gemm_batched_kernelIDF16_Li16ELi16ELi32ELi32ELi8ELi32ELi8ELi8ELi32ELc67ELc67EKDF16_S1_DF16_EEvlllT_PT11_llS4_llS2_PT12_llPT13_lli
; %bb.0:
	s_load_b32 s31, s[0:1], 0x88
	s_bfe_u32 s2, ttmp6, 0x40014
	s_lshr_b32 s3, ttmp7, 16
	s_add_co_i32 s2, s2, 1
	s_bfe_u32 s4, ttmp6, 0x40008
	s_mul_i32 s2, s3, s2
	s_getreg_b32 s28, hwreg(HW_REG_IB_STS2, 6, 4)
	s_add_co_i32 s4, s4, s2
	s_cmp_eq_u32 s28, 0
	s_cselect_b32 s2, s3, s4
	s_mov_b32 s3, 0
	s_wait_kmcnt 0x0
	s_cmp_ge_i32 s2, s31
	s_cbranch_scc1 .LBB348_11
; %bb.1:
	s_bfe_u32 s29, ttmp6, 0x4000c
	s_bfe_u32 s33, ttmp6, 0x40010
	s_add_co_i32 s29, s29, 1
	s_and_b32 s34, ttmp7, 0xffff
	s_add_co_i32 s33, s33, 1
	v_bfe_u32 v2, v0, 10, 10
	s_and_b32 s30, ttmp6, 15
	s_mul_i32 s29, ttmp9, s29
	s_mul_i32 s33, s34, s33
	s_bfe_u32 s35, ttmp6, 0x40004
	s_add_co_i32 s30, s30, s29
	s_add_co_i32 s35, s35, s33
	s_cmp_eq_u32 s28, 0
	v_and_b32_e32 v4, 0x3ff, v0
	v_dual_lshlrev_b32 v15, 4, v2 :: v_dual_mov_b32 v3, 0
	s_cselect_b32 s28, ttmp9, s30
	s_clause 0x2
	s_load_b256 s[12:19], s[0:1], 0x20
	s_load_b128 s[24:27], s[0:1], 0x40
	s_load_b128 s[20:23], s[0:1], 0x78
	s_cselect_b32 s30, s34, s35
	s_ashr_i32 s29, s28, 31
	s_load_b256 s[4:11], s[0:1], 0x58
	s_lshl_b64 s[34:35], s[28:29], 5
	s_delay_alu instid0(SALU_CYCLE_1) | instskip(SKIP_3) | instid1(VALU_DEP_2)
	v_dual_mov_b32 v7, s35 :: v_dual_add_nc_u32 v18, v15, v4
	s_lshl_b32 s36, s30, 5
	s_mov_b32 s37, s3
	v_dual_mov_b32 v11, v3 :: v_dual_mov_b32 v5, v3
	v_and_b32_e32 v19, 31, v18
	v_add_nc_u64_e32 v[8:9], s[36:37], v[2:3]
	s_clause 0x1
	s_load_b32 s33, s[0:1], 0x50
	s_load_b96 s[28:30], s[0:1], 0x10
	v_lshlrev_b32_e32 v14, 1, v4
	v_add_nc_u32_e32 v15, 0x200, v15
	v_or_b32_e32 v6, s34, v19
	v_dual_lshrrev_b32 v10, 3, v18 :: v_dual_bitop2_b32 v2, 7, v0 bitop3:0x40
	v_dual_lshrrev_b32 v18, 5, v18 :: v_dual_lshlrev_b32 v19, 1, v19
	s_wait_kmcnt 0x0
	s_delay_alu instid0(VALU_DEP_3)
	v_mul_u64_e32 v[6:7], s[14:15], v[6:7]
	v_mul_u64_e32 v[0:1], s[20:21], v[8:9]
	;; [unrolled: 1-line block ×3, first 2 shown]
	v_mad_nc_u64_u32 v[16:17], s24, v2, v[10:11]
	v_lshlrev_b32_e32 v11, 1, v2
	v_add_nc_u64_e32 v[8:9], s[34:35], v[4:5]
	s_delay_alu instid0(VALU_DEP_2)
	v_lshl_or_b32 v20, v10, 4, v11
	s_cmp_eq_f16 s33, 0
	v_cmp_gt_i64_e64 s0, s[28:29], 0
	v_mad_u32 v17, s25, v2, v17
	v_lshlrev_b32_e32 v2, 1, v18
	s_cselect_b32 s1, -1, 0
	s_lshl_b64 s[14:15], s[20:21], 4
	s_lshl_b64 s[6:7], s[6:7], 4
	v_cndmask_b32_e64 v21, 0, 1, s0
	s_lshl_b64 s[16:17], s[16:17], 1
	s_delay_alu instid0(VALU_DEP_1) | instskip(NEXT) | instid1(VALU_DEP_4)
	v_cmp_ne_u32_e64 s0, 1, v21
	v_add_nc_u64_e32 v[10:11], s[36:37], v[16:17]
	v_lshl_or_b32 v16, v18, 6, v19
	v_add_nc_u32_e32 v17, 0x200, v20
	v_lshl_add_u64 v[4:5], v[6:7], 1, v[2:3]
	v_lshlrev_b64_e32 v[6:7], 1, v[8:9]
	v_lshl_add_u64 v[2:3], v[12:13], 1, s[4:5]
	v_lshl_add_u64 v[8:9], v[10:11], 1, s[18:19]
	s_lshl_b64 s[4:5], s[26:27], 1
	v_add_nc_u64_e32 v[4:5], s[12:13], v[4:5]
	s_lshl_b64 s[12:13], s[24:25], 4
	s_branch .LBB348_3
.LBB348_2:                              ;   in Loop: Header=BB348_3 Depth=1
	s_add_co_i32 s2, s2, 0x10000
	s_delay_alu instid0(SALU_CYCLE_1)
	s_cmp_lt_i32 s2, s31
	s_cbranch_scc0 .LBB348_11
.LBB348_3:                              ; =>This Loop Header: Depth=1
                                        ;     Child Loop BB348_5 Depth 2
	s_and_b32 vcc_lo, exec_lo, s0
	s_cbranch_vccnz .LBB348_6
; %bb.4:                                ;   in Loop: Header=BB348_3 Depth=1
	s_wait_xcnt 0x0
	v_mad_nc_u64_u32 v[10:11], s4, s2, v[8:9]
	v_mad_nc_u64_u32 v[12:13], s16, s2, v[4:5]
	v_dual_mov_b32 v18, 0 :: v_dual_mov_b32 v19, 0
	s_mov_b64 s[18:19], 0
	s_delay_alu instid0(VALU_DEP_3) | instskip(NEXT) | instid1(VALU_DEP_3)
	v_mad_u32 v11, s5, s2, v11
	v_mad_u32 v13, s17, s2, v13
.LBB348_5:                              ;   Parent Loop BB348_3 Depth=1
                                        ; =>  This Inner Loop Header: Depth=2
	global_load_u16 v20, v[12:13], off
	global_load_u16 v21, v[10:11], off
	s_add_nc_u64 s[18:19], s[18:19], 8
	s_wait_xcnt 0x0
	v_add_nc_u64_e32 v[10:11], s[12:13], v[10:11]
	v_cmp_lt_i64_e64 s20, s[18:19], s[28:29]
	v_add_nc_u64_e32 v[12:13], 16, v[12:13]
	s_wait_loadcnt 0x1
	ds_store_b16 v16, v20
	s_wait_loadcnt 0x0
	ds_store_b16 v17, v21
	s_wait_dscnt 0x0
	s_barrier_signal -1
	s_barrier_wait -1
	ds_load_b128 v[20:23], v15
	ds_load_b128 v[24:27], v15 offset:256
	ds_load_u16 v28, v14
	ds_load_u16 v29, v14 offset:32
	ds_load_u16 v30, v14 offset:64
	;; [unrolled: 1-line block ×15, first 2 shown]
	s_and_b32 vcc_lo, exec_lo, s20
	s_wait_dscnt 0x0
	s_barrier_signal -1
	s_barrier_wait -1
	v_perm_b32 v28, v28, v29, 0x5040100
	v_perm_b32 v29, v30, v31, 0x5040100
	;; [unrolled: 1-line block ×3, first 2 shown]
	s_delay_alu instid0(VALU_DEP_3) | instskip(SKIP_3) | instid1(VALU_DEP_4)
	v_pk_fma_f16 v19, v28, v20, v19 op_sel_hi:[1,0,1]
	v_pk_fma_f16 v18, v28, v24, v18 op_sel_hi:[1,0,1]
	v_perm_b32 v31, v34, v35, 0x5040100
	v_perm_b32 v32, v36, v37, 0x5040100
	v_pk_fma_f16 v19, v29, v20, v19 op_sel:[0,1,0]
	s_delay_alu instid0(VALU_DEP_4)
	v_pk_fma_f16 v18, v29, v24, v18 op_sel:[0,1,0]
	v_perm_b32 v33, v38, v39, 0x5040100
	v_perm_b32 v34, v40, v41, 0x5040100
	;; [unrolled: 1-line block ×3, first 2 shown]
	v_pk_fma_f16 v19, v30, v21, v19 op_sel_hi:[1,0,1]
	v_pk_fma_f16 v18, v30, v25, v18 op_sel_hi:[1,0,1]
	s_delay_alu instid0(VALU_DEP_2) | instskip(NEXT) | instid1(VALU_DEP_2)
	v_pk_fma_f16 v19, v31, v21, v19 op_sel:[0,1,0]
	v_pk_fma_f16 v18, v31, v25, v18 op_sel:[0,1,0]
	s_delay_alu instid0(VALU_DEP_2) | instskip(NEXT) | instid1(VALU_DEP_2)
	v_pk_fma_f16 v19, v32, v22, v19 op_sel_hi:[1,0,1]
	v_pk_fma_f16 v18, v32, v26, v18 op_sel_hi:[1,0,1]
	s_delay_alu instid0(VALU_DEP_2) | instskip(NEXT) | instid1(VALU_DEP_2)
	v_pk_fma_f16 v19, v33, v22, v19 op_sel:[0,1,0]
	v_pk_fma_f16 v18, v33, v26, v18 op_sel:[0,1,0]
	s_delay_alu instid0(VALU_DEP_2) | instskip(NEXT) | instid1(VALU_DEP_2)
	v_pk_fma_f16 v19, v34, v23, v19 op_sel_hi:[1,0,1]
	v_pk_fma_f16 v18, v34, v27, v18 op_sel_hi:[1,0,1]
	s_delay_alu instid0(VALU_DEP_2) | instskip(NEXT) | instid1(VALU_DEP_2)
	v_pk_fma_f16 v19, v20, v23, v19 op_sel:[0,1,0]
	v_pk_fma_f16 v18, v20, v27, v18 op_sel:[0,1,0]
	s_cbranch_vccnz .LBB348_5
	s_branch .LBB348_7
.LBB348_6:                              ;   in Loop: Header=BB348_3 Depth=1
	v_dual_mov_b32 v19, 0 :: v_dual_mov_b32 v18, 0
.LBB348_7:                              ;   in Loop: Header=BB348_3 Depth=1
	s_mul_u64 s[18:19], s[22:23], s[2:3]
	s_delay_alu instid0(VALU_DEP_1)
	v_dual_lshrrev_b32 v21, 16, v19 :: v_dual_lshrrev_b32 v20, 16, v18
	s_lshl_b64 s[18:19], s[18:19], 1
	s_and_not1_b32 vcc_lo, exec_lo, s1
	s_add_nc_u64 s[18:19], s[10:11], s[18:19]
	s_wait_xcnt 0x0
	v_lshl_add_u64 v[10:11], v[0:1], 1, s[18:19]
	s_delay_alu instid0(VALU_DEP_1)
	v_add_nc_u64_e32 v[12:13], v[10:11], v[6:7]
	v_lshl_add_u64 v[10:11], s[14:15], 1, v[10:11]
	s_cbranch_vccnz .LBB348_9
; %bb.8:                                ;   in Loop: Header=BB348_3 Depth=1
	s_delay_alu instid0(VALU_DEP_1)
	v_add_nc_u64_e32 v[22:23], v[10:11], v[6:7]
	v_mul_f16_e32 v24, s30, v21
	v_mul_f16_e32 v26, s30, v20
	v_mul_f16_e32 v25, s30, v19
	v_mul_f16_e32 v27, s30, v18
	s_clause 0x3
	global_store_b16 v[12:13], v24, off
	global_store_b16 v[12:13], v25, off offset:32
	global_store_b16 v[22:23], v26, off
	global_store_b16 v[22:23], v27, off offset:32
	s_cbranch_execnz .LBB348_2
	s_branch .LBB348_10
.LBB348_9:                              ;   in Loop: Header=BB348_3 Depth=1
.LBB348_10:                             ;   in Loop: Header=BB348_3 Depth=1
	s_mul_u64 s[18:19], s[8:9], s[2:3]
	s_delay_alu instid0(VALU_DEP_1) | instskip(SKIP_2) | instid1(VALU_DEP_1)
	v_add_nc_u64_e32 v[10:11], v[10:11], v[6:7]
	s_wait_xcnt 0x0
	v_lshl_add_u64 v[22:23], s[18:19], 1, v[2:3]
	v_add_nc_u64_e32 v[24:25], v[22:23], v[6:7]
	v_lshl_add_u64 v[22:23], s[6:7], 1, v[22:23]
	s_delay_alu instid0(VALU_DEP_1) | instskip(SKIP_3) | instid1(VALU_DEP_1)
	v_add_nc_u64_e32 v[22:23], v[22:23], v[6:7]
	global_load_u16 v26, v[24:25], off
	s_wait_loadcnt 0x0
	v_mul_f16_e32 v26, s33, v26
	v_fmac_f16_e32 v26, s30, v21
	global_store_b16 v[12:13], v26, off
	global_load_u16 v21, v[24:25], off offset:32
	s_wait_loadcnt 0x0
	v_mul_f16_e32 v21, s33, v21
	s_delay_alu instid0(VALU_DEP_1) | instskip(SKIP_4) | instid1(VALU_DEP_1)
	v_fmac_f16_e32 v21, s30, v19
	global_store_b16 v[12:13], v21, off offset:32
	global_load_u16 v12, v[22:23], off
	s_wait_loadcnt 0x0
	v_mul_f16_e32 v12, s33, v12
	v_fmac_f16_e32 v12, s30, v20
	global_store_b16 v[10:11], v12, off
	global_load_u16 v12, v[22:23], off offset:32
	s_wait_loadcnt 0x0
	v_mul_f16_e32 v12, s33, v12
	s_delay_alu instid0(VALU_DEP_1)
	v_fmac_f16_e32 v12, s30, v18
	global_store_b16 v[10:11], v12, off offset:32
	s_branch .LBB348_2
.LBB348_11:
	s_endpgm
	.section	.rodata,"a",@progbits
	.p2align	6, 0x0
	.amdhsa_kernel _ZN12_GLOBAL__N_127rocblas_gemm_batched_kernelIDF16_Li16ELi16ELi32ELi32ELi8ELi32ELi8ELi8ELi32ELc67ELc67EKDF16_S1_DF16_EEvlllT_PT11_llS4_llS2_PT12_llPT13_lli
		.amdhsa_group_segment_fixed_size 1024
		.amdhsa_private_segment_fixed_size 0
		.amdhsa_kernarg_size 140
		.amdhsa_user_sgpr_count 2
		.amdhsa_user_sgpr_dispatch_ptr 0
		.amdhsa_user_sgpr_queue_ptr 0
		.amdhsa_user_sgpr_kernarg_segment_ptr 1
		.amdhsa_user_sgpr_dispatch_id 0
		.amdhsa_user_sgpr_kernarg_preload_length 0
		.amdhsa_user_sgpr_kernarg_preload_offset 0
		.amdhsa_user_sgpr_private_segment_size 0
		.amdhsa_wavefront_size32 1
		.amdhsa_uses_dynamic_stack 0
		.amdhsa_enable_private_segment 0
		.amdhsa_system_sgpr_workgroup_id_x 1
		.amdhsa_system_sgpr_workgroup_id_y 1
		.amdhsa_system_sgpr_workgroup_id_z 1
		.amdhsa_system_sgpr_workgroup_info 0
		.amdhsa_system_vgpr_workitem_id 1
		.amdhsa_next_free_vgpr 44
		.amdhsa_next_free_sgpr 38
		.amdhsa_named_barrier_count 0
		.amdhsa_reserve_vcc 1
		.amdhsa_float_round_mode_32 0
		.amdhsa_float_round_mode_16_64 0
		.amdhsa_float_denorm_mode_32 3
		.amdhsa_float_denorm_mode_16_64 3
		.amdhsa_fp16_overflow 0
		.amdhsa_memory_ordered 1
		.amdhsa_forward_progress 1
		.amdhsa_inst_pref_size 12
		.amdhsa_round_robin_scheduling 0
		.amdhsa_exception_fp_ieee_invalid_op 0
		.amdhsa_exception_fp_denorm_src 0
		.amdhsa_exception_fp_ieee_div_zero 0
		.amdhsa_exception_fp_ieee_overflow 0
		.amdhsa_exception_fp_ieee_underflow 0
		.amdhsa_exception_fp_ieee_inexact 0
		.amdhsa_exception_int_div_zero 0
	.end_amdhsa_kernel
	.section	.text._ZN12_GLOBAL__N_127rocblas_gemm_batched_kernelIDF16_Li16ELi16ELi32ELi32ELi8ELi32ELi8ELi8ELi32ELc67ELc67EKDF16_S1_DF16_EEvlllT_PT11_llS4_llS2_PT12_llPT13_lli,"axG",@progbits,_ZN12_GLOBAL__N_127rocblas_gemm_batched_kernelIDF16_Li16ELi16ELi32ELi32ELi8ELi32ELi8ELi8ELi32ELc67ELc67EKDF16_S1_DF16_EEvlllT_PT11_llS4_llS2_PT12_llPT13_lli,comdat
.Lfunc_end348:
	.size	_ZN12_GLOBAL__N_127rocblas_gemm_batched_kernelIDF16_Li16ELi16ELi32ELi32ELi8ELi32ELi8ELi8ELi32ELc67ELc67EKDF16_S1_DF16_EEvlllT_PT11_llS4_llS2_PT12_llPT13_lli, .Lfunc_end348-_ZN12_GLOBAL__N_127rocblas_gemm_batched_kernelIDF16_Li16ELi16ELi32ELi32ELi8ELi32ELi8ELi8ELi32ELc67ELc67EKDF16_S1_DF16_EEvlllT_PT11_llS4_llS2_PT12_llPT13_lli
                                        ; -- End function
	.set _ZN12_GLOBAL__N_127rocblas_gemm_batched_kernelIDF16_Li16ELi16ELi32ELi32ELi8ELi32ELi8ELi8ELi32ELc67ELc67EKDF16_S1_DF16_EEvlllT_PT11_llS4_llS2_PT12_llPT13_lli.num_vgpr, 44
	.set _ZN12_GLOBAL__N_127rocblas_gemm_batched_kernelIDF16_Li16ELi16ELi32ELi32ELi8ELi32ELi8ELi8ELi32ELc67ELc67EKDF16_S1_DF16_EEvlllT_PT11_llS4_llS2_PT12_llPT13_lli.num_agpr, 0
	.set _ZN12_GLOBAL__N_127rocblas_gemm_batched_kernelIDF16_Li16ELi16ELi32ELi32ELi8ELi32ELi8ELi8ELi32ELc67ELc67EKDF16_S1_DF16_EEvlllT_PT11_llS4_llS2_PT12_llPT13_lli.numbered_sgpr, 38
	.set _ZN12_GLOBAL__N_127rocblas_gemm_batched_kernelIDF16_Li16ELi16ELi32ELi32ELi8ELi32ELi8ELi8ELi32ELc67ELc67EKDF16_S1_DF16_EEvlllT_PT11_llS4_llS2_PT12_llPT13_lli.num_named_barrier, 0
	.set _ZN12_GLOBAL__N_127rocblas_gemm_batched_kernelIDF16_Li16ELi16ELi32ELi32ELi8ELi32ELi8ELi8ELi32ELc67ELc67EKDF16_S1_DF16_EEvlllT_PT11_llS4_llS2_PT12_llPT13_lli.private_seg_size, 0
	.set _ZN12_GLOBAL__N_127rocblas_gemm_batched_kernelIDF16_Li16ELi16ELi32ELi32ELi8ELi32ELi8ELi8ELi32ELc67ELc67EKDF16_S1_DF16_EEvlllT_PT11_llS4_llS2_PT12_llPT13_lli.uses_vcc, 1
	.set _ZN12_GLOBAL__N_127rocblas_gemm_batched_kernelIDF16_Li16ELi16ELi32ELi32ELi8ELi32ELi8ELi8ELi32ELc67ELc67EKDF16_S1_DF16_EEvlllT_PT11_llS4_llS2_PT12_llPT13_lli.uses_flat_scratch, 0
	.set _ZN12_GLOBAL__N_127rocblas_gemm_batched_kernelIDF16_Li16ELi16ELi32ELi32ELi8ELi32ELi8ELi8ELi32ELc67ELc67EKDF16_S1_DF16_EEvlllT_PT11_llS4_llS2_PT12_llPT13_lli.has_dyn_sized_stack, 0
	.set _ZN12_GLOBAL__N_127rocblas_gemm_batched_kernelIDF16_Li16ELi16ELi32ELi32ELi8ELi32ELi8ELi8ELi32ELc67ELc67EKDF16_S1_DF16_EEvlllT_PT11_llS4_llS2_PT12_llPT13_lli.has_recursion, 0
	.set _ZN12_GLOBAL__N_127rocblas_gemm_batched_kernelIDF16_Li16ELi16ELi32ELi32ELi8ELi32ELi8ELi8ELi32ELc67ELc67EKDF16_S1_DF16_EEvlllT_PT11_llS4_llS2_PT12_llPT13_lli.has_indirect_call, 0
	.section	.AMDGPU.csdata,"",@progbits
; Kernel info:
; codeLenInByte = 1428
; TotalNumSgprs: 40
; NumVgprs: 44
; ScratchSize: 0
; MemoryBound: 0
; FloatMode: 240
; IeeeMode: 1
; LDSByteSize: 1024 bytes/workgroup (compile time only)
; SGPRBlocks: 0
; VGPRBlocks: 2
; NumSGPRsForWavesPerEU: 40
; NumVGPRsForWavesPerEU: 44
; NamedBarCnt: 0
; Occupancy: 16
; WaveLimiterHint : 0
; COMPUTE_PGM_RSRC2:SCRATCH_EN: 0
; COMPUTE_PGM_RSRC2:USER_SGPR: 2
; COMPUTE_PGM_RSRC2:TRAP_HANDLER: 0
; COMPUTE_PGM_RSRC2:TGID_X_EN: 1
; COMPUTE_PGM_RSRC2:TGID_Y_EN: 1
; COMPUTE_PGM_RSRC2:TGID_Z_EN: 1
; COMPUTE_PGM_RSRC2:TIDIG_COMP_CNT: 1
	.section	.text._ZN12_GLOBAL__N_127rocblas_gemm_batched_kernelIDF16_Li16ELi16ELi32ELi32ELi8ELi32ELi8ELi8ELi32ELc67ELc78EKDF16_S1_DF16_EEvlllT_PT11_llS4_llS2_PT12_llPT13_lli,"axG",@progbits,_ZN12_GLOBAL__N_127rocblas_gemm_batched_kernelIDF16_Li16ELi16ELi32ELi32ELi8ELi32ELi8ELi8ELi32ELc67ELc78EKDF16_S1_DF16_EEvlllT_PT11_llS4_llS2_PT12_llPT13_lli,comdat
	.globl	_ZN12_GLOBAL__N_127rocblas_gemm_batched_kernelIDF16_Li16ELi16ELi32ELi32ELi8ELi32ELi8ELi8ELi32ELc67ELc78EKDF16_S1_DF16_EEvlllT_PT11_llS4_llS2_PT12_llPT13_lli ; -- Begin function _ZN12_GLOBAL__N_127rocblas_gemm_batched_kernelIDF16_Li16ELi16ELi32ELi32ELi8ELi32ELi8ELi8ELi32ELc67ELc78EKDF16_S1_DF16_EEvlllT_PT11_llS4_llS2_PT12_llPT13_lli
	.p2align	8
	.type	_ZN12_GLOBAL__N_127rocblas_gemm_batched_kernelIDF16_Li16ELi16ELi32ELi32ELi8ELi32ELi8ELi8ELi32ELc67ELc78EKDF16_S1_DF16_EEvlllT_PT11_llS4_llS2_PT12_llPT13_lli,@function
_ZN12_GLOBAL__N_127rocblas_gemm_batched_kernelIDF16_Li16ELi16ELi32ELi32ELi8ELi32ELi8ELi8ELi32ELc67ELc78EKDF16_S1_DF16_EEvlllT_PT11_llS4_llS2_PT12_llPT13_lli: ; @_ZN12_GLOBAL__N_127rocblas_gemm_batched_kernelIDF16_Li16ELi16ELi32ELi32ELi8ELi32ELi8ELi8ELi32ELc67ELc78EKDF16_S1_DF16_EEvlllT_PT11_llS4_llS2_PT12_llPT13_lli
; %bb.0:
	s_load_b32 s31, s[0:1], 0x88
	s_bfe_u32 s2, ttmp6, 0x40014
	s_lshr_b32 s3, ttmp7, 16
	s_add_co_i32 s2, s2, 1
	s_bfe_u32 s4, ttmp6, 0x40008
	s_mul_i32 s2, s3, s2
	s_getreg_b32 s28, hwreg(HW_REG_IB_STS2, 6, 4)
	s_add_co_i32 s4, s4, s2
	s_cmp_eq_u32 s28, 0
	s_cselect_b32 s2, s3, s4
	s_mov_b32 s3, 0
	s_wait_kmcnt 0x0
	s_cmp_ge_i32 s2, s31
	s_cbranch_scc1 .LBB349_11
; %bb.1:
	s_bfe_u32 s30, ttmp6, 0x4000c
	s_bfe_u32 s34, ttmp6, 0x40010
	s_and_b32 s33, ttmp7, 0xffff
	s_add_co_i32 s30, s30, 1
	s_add_co_i32 s34, s34, 1
	v_bfe_u32 v2, v0, 10, 10
	s_and_b32 s29, ttmp6, 15
	s_mul_i32 s30, ttmp9, s30
	s_mul_i32 s34, s33, s34
	s_bfe_u32 s35, ttmp6, 0x40004
	s_add_co_i32 s29, s29, s30
	s_add_co_i32 s35, s35, s34
	s_cmp_eq_u32 s28, 0
	v_and_b32_e32 v4, 0x3ff, v0
	v_dual_lshlrev_b32 v15, 4, v2 :: v_dual_mov_b32 v3, 0
	s_cselect_b32 s28, ttmp9, s29
	s_cselect_b32 s30, s33, s35
	s_ashr_i32 s29, s28, 31
	s_clause 0x1
	s_load_b256 s[12:19], s[0:1], 0x20
	s_load_b128 s[24:27], s[0:1], 0x40
	s_lshl_b64 s[36:37], s[28:29], 5
	v_add_nc_u32_e32 v16, v15, v4
	s_clause 0x1
	s_load_b128 s[20:23], s[0:1], 0x78
	s_load_b256 s[4:11], s[0:1], 0x58
	v_dual_mov_b32 v7, v3 :: v_dual_mov_b32 v11, s37
	s_lshl_b32 s34, s30, 5
	v_and_b32_e32 v17, 31, v16
	s_mov_b32 s35, s3
	s_clause 0x1
	s_load_b32 s33, s[0:1], 0x50
	s_load_b96 s[28:30], s[0:1], 0x10
	v_add_nc_u64_e32 v[12:13], s[34:35], v[2:3]
	v_dual_lshrrev_b32 v6, 3, v16 :: v_dual_bitop2_b32 v10, s36, v17 bitop3:0x54
	v_dual_mov_b32 v5, v3 :: v_dual_lshlrev_b32 v2, 1, v0
	v_dual_lshrrev_b32 v16, 5, v16 :: v_dual_lshlrev_b32 v17, 1, v17
	s_delay_alu instid0(VALU_DEP_3)
	v_add_nc_u64_e32 v[8:9], s[34:35], v[6:7]
	s_wait_kmcnt 0x0
	v_mul_u64_e32 v[10:11], s[14:15], v[10:11]
	v_add_nc_u64_e32 v[20:21], s[36:37], v[4:5]
	v_lshlrev_b32_e32 v14, 1, v4
	v_mul_u64_e32 v[0:1], s[20:21], v[12:13]
	v_mul_u64_e32 v[18:19], s[6:7], v[12:13]
	v_mov_b32_e32 v13, v3
	v_mul_u64_e32 v[8:9], s[24:25], v[8:9]
	v_dual_lshlrev_b32 v2, 1, v16 :: v_dual_bitop2_b32 v12, 14, v2 bitop3:0x40
	v_add_nc_u32_e32 v15, 0x200, v15
	s_cmp_eq_f16 s33, 0
	v_cmp_gt_i64_e64 s0, s[28:29], 0
	s_delay_alu instid0(VALU_DEP_3) | instskip(SKIP_1) | instid1(VALU_DEP_2)
	v_lshl_or_b32 v22, v6, 4, v12
	v_lshl_or_b32 v16, v16, 6, v17
	v_add_nc_u32_e32 v17, 0x200, v22
	s_delay_alu instid0(VALU_DEP_4) | instskip(SKIP_3) | instid1(VALU_DEP_2)
	v_cndmask_b32_e64 v23, 0, 1, s0
	s_cselect_b32 s0, -1, 0
	s_lshl_b64 s[14:15], s[20:21], 4
	v_cndmask_b32_e64 v24, 0, 1, s0
	v_cmp_ne_u32_e64 s0, 1, v23
	s_delay_alu instid0(VALU_DEP_2) | instskip(SKIP_2) | instid1(VALU_DEP_2)
	v_cmp_ne_u32_e64 s1, 1, v24
	v_lshl_add_u64 v[4:5], v[10:11], 1, v[2:3]
	v_lshl_add_u64 v[2:3], v[18:19], 1, s[4:5]
	v_add_nc_u64_e32 v[4:5], s[12:13], v[4:5]
	v_lshl_add_u64 v[6:7], v[8:9], 1, v[12:13]
	v_lshlrev_b64_e32 v[8:9], 1, v[20:21]
	s_lshl_b64 s[4:5], s[6:7], 4
	s_lshl_b64 s[6:7], s[26:27], 1
	;; [unrolled: 1-line block ×3, first 2 shown]
	v_add_nc_u64_e32 v[6:7], s[18:19], v[6:7]
	s_branch .LBB349_3
.LBB349_2:                              ;   in Loop: Header=BB349_3 Depth=1
	s_add_co_i32 s2, s2, 0x10000
	s_delay_alu instid0(SALU_CYCLE_1)
	s_cmp_lt_i32 s2, s31
	s_cbranch_scc0 .LBB349_11
.LBB349_3:                              ; =>This Loop Header: Depth=1
                                        ;     Child Loop BB349_5 Depth 2
	s_and_b32 vcc_lo, exec_lo, s0
	s_cbranch_vccnz .LBB349_6
; %bb.4:                                ;   in Loop: Header=BB349_3 Depth=1
	s_wait_xcnt 0x0
	s_delay_alu instid0(VALU_DEP_1) | instskip(SKIP_3) | instid1(VALU_DEP_3)
	v_mad_nc_u64_u32 v[10:11], s6, s2, v[6:7]
	v_mad_nc_u64_u32 v[12:13], s12, s2, v[4:5]
	v_dual_mov_b32 v18, 0 :: v_dual_mov_b32 v19, 0
	s_mov_b64 s[16:17], 0
	v_mad_u32 v11, s7, s2, v11
	s_delay_alu instid0(VALU_DEP_3)
	v_mad_u32 v13, s13, s2, v13
.LBB349_5:                              ;   Parent Loop BB349_3 Depth=1
                                        ; =>  This Inner Loop Header: Depth=2
	global_load_u16 v20, v[12:13], off
	global_load_u16 v21, v[10:11], off
	s_add_nc_u64 s[16:17], s[16:17], 8
	s_wait_xcnt 0x0
	v_add_nc_u64_e32 v[10:11], 16, v[10:11]
	v_cmp_lt_i64_e64 s18, s[16:17], s[28:29]
	v_add_nc_u64_e32 v[12:13], 16, v[12:13]
	s_wait_loadcnt 0x1
	ds_store_b16 v16, v20
	s_wait_loadcnt 0x0
	ds_store_b16 v17, v21
	s_wait_dscnt 0x0
	s_barrier_signal -1
	s_barrier_wait -1
	ds_load_b128 v[20:23], v15
	ds_load_b128 v[24:27], v15 offset:256
	ds_load_u16 v28, v14
	ds_load_u16 v29, v14 offset:32
	ds_load_u16 v30, v14 offset:64
	ds_load_u16 v31, v14 offset:96
	ds_load_u16 v32, v14 offset:128
	ds_load_u16 v33, v14 offset:160
	ds_load_u16 v34, v14 offset:192
	ds_load_u16 v35, v14 offset:224
	ds_load_u16 v36, v14 offset:256
	ds_load_u16 v37, v14 offset:288
	ds_load_u16 v38, v14 offset:320
	ds_load_u16 v39, v14 offset:352
	ds_load_u16 v40, v14 offset:384
	ds_load_u16 v41, v14 offset:416
	ds_load_u16 v42, v14 offset:448
	ds_load_u16 v43, v14 offset:480
	s_and_b32 vcc_lo, exec_lo, s18
	s_wait_dscnt 0x0
	s_barrier_signal -1
	s_barrier_wait -1
	v_perm_b32 v28, v28, v29, 0x5040100
	v_perm_b32 v29, v30, v31, 0x5040100
	;; [unrolled: 1-line block ×3, first 2 shown]
	s_delay_alu instid0(VALU_DEP_3) | instskip(SKIP_3) | instid1(VALU_DEP_4)
	v_pk_fma_f16 v19, v28, v20, v19 op_sel_hi:[1,0,1]
	v_pk_fma_f16 v18, v28, v24, v18 op_sel_hi:[1,0,1]
	v_perm_b32 v31, v34, v35, 0x5040100
	v_perm_b32 v32, v36, v37, 0x5040100
	v_pk_fma_f16 v19, v29, v20, v19 op_sel:[0,1,0]
	s_delay_alu instid0(VALU_DEP_4)
	v_pk_fma_f16 v18, v29, v24, v18 op_sel:[0,1,0]
	v_perm_b32 v33, v38, v39, 0x5040100
	v_perm_b32 v34, v40, v41, 0x5040100
	;; [unrolled: 1-line block ×3, first 2 shown]
	v_pk_fma_f16 v19, v30, v21, v19 op_sel_hi:[1,0,1]
	v_pk_fma_f16 v18, v30, v25, v18 op_sel_hi:[1,0,1]
	s_delay_alu instid0(VALU_DEP_2) | instskip(NEXT) | instid1(VALU_DEP_2)
	v_pk_fma_f16 v19, v31, v21, v19 op_sel:[0,1,0]
	v_pk_fma_f16 v18, v31, v25, v18 op_sel:[0,1,0]
	s_delay_alu instid0(VALU_DEP_2) | instskip(NEXT) | instid1(VALU_DEP_2)
	v_pk_fma_f16 v19, v32, v22, v19 op_sel_hi:[1,0,1]
	v_pk_fma_f16 v18, v32, v26, v18 op_sel_hi:[1,0,1]
	s_delay_alu instid0(VALU_DEP_2) | instskip(NEXT) | instid1(VALU_DEP_2)
	v_pk_fma_f16 v19, v33, v22, v19 op_sel:[0,1,0]
	v_pk_fma_f16 v18, v33, v26, v18 op_sel:[0,1,0]
	s_delay_alu instid0(VALU_DEP_2) | instskip(NEXT) | instid1(VALU_DEP_2)
	v_pk_fma_f16 v19, v34, v23, v19 op_sel_hi:[1,0,1]
	v_pk_fma_f16 v18, v34, v27, v18 op_sel_hi:[1,0,1]
	s_delay_alu instid0(VALU_DEP_2) | instskip(NEXT) | instid1(VALU_DEP_2)
	v_pk_fma_f16 v19, v20, v23, v19 op_sel:[0,1,0]
	v_pk_fma_f16 v18, v20, v27, v18 op_sel:[0,1,0]
	s_cbranch_vccnz .LBB349_5
	s_branch .LBB349_7
.LBB349_6:                              ;   in Loop: Header=BB349_3 Depth=1
	v_dual_mov_b32 v19, 0 :: v_dual_mov_b32 v18, 0
.LBB349_7:                              ;   in Loop: Header=BB349_3 Depth=1
	s_mul_u64 s[16:17], s[22:23], s[2:3]
	s_delay_alu instid0(VALU_DEP_1)
	v_dual_lshrrev_b32 v21, 16, v19 :: v_dual_lshrrev_b32 v20, 16, v18
	s_lshl_b64 s[16:17], s[16:17], 1
	s_and_b32 vcc_lo, exec_lo, s1
	s_add_nc_u64 s[16:17], s[10:11], s[16:17]
	s_wait_xcnt 0x0
	v_lshl_add_u64 v[10:11], v[0:1], 1, s[16:17]
	s_delay_alu instid0(VALU_DEP_1)
	v_add_nc_u64_e32 v[12:13], v[10:11], v[8:9]
	v_lshl_add_u64 v[10:11], s[14:15], 1, v[10:11]
	s_cbranch_vccnz .LBB349_9
; %bb.8:                                ;   in Loop: Header=BB349_3 Depth=1
	s_delay_alu instid0(VALU_DEP_1)
	v_add_nc_u64_e32 v[22:23], v[10:11], v[8:9]
	v_mul_f16_e32 v24, s30, v21
	v_mul_f16_e32 v26, s30, v20
	;; [unrolled: 1-line block ×4, first 2 shown]
	s_clause 0x3
	global_store_b16 v[12:13], v24, off
	global_store_b16 v[12:13], v25, off offset:32
	global_store_b16 v[22:23], v26, off
	global_store_b16 v[22:23], v27, off offset:32
	s_cbranch_execnz .LBB349_2
	s_branch .LBB349_10
.LBB349_9:                              ;   in Loop: Header=BB349_3 Depth=1
.LBB349_10:                             ;   in Loop: Header=BB349_3 Depth=1
	s_mul_u64 s[16:17], s[8:9], s[2:3]
	s_delay_alu instid0(VALU_DEP_1) | instskip(SKIP_2) | instid1(VALU_DEP_1)
	v_add_nc_u64_e32 v[10:11], v[10:11], v[8:9]
	s_wait_xcnt 0x0
	v_lshl_add_u64 v[22:23], s[16:17], 1, v[2:3]
	v_add_nc_u64_e32 v[24:25], v[22:23], v[8:9]
	v_lshl_add_u64 v[22:23], s[4:5], 1, v[22:23]
	s_delay_alu instid0(VALU_DEP_1) | instskip(SKIP_3) | instid1(VALU_DEP_1)
	v_add_nc_u64_e32 v[22:23], v[22:23], v[8:9]
	global_load_u16 v26, v[24:25], off
	s_wait_loadcnt 0x0
	v_mul_f16_e32 v26, s33, v26
	v_fmac_f16_e32 v26, s30, v21
	global_store_b16 v[12:13], v26, off
	global_load_u16 v21, v[24:25], off offset:32
	s_wait_loadcnt 0x0
	v_mul_f16_e32 v21, s33, v21
	s_delay_alu instid0(VALU_DEP_1) | instskip(SKIP_4) | instid1(VALU_DEP_1)
	v_fmac_f16_e32 v21, s30, v19
	global_store_b16 v[12:13], v21, off offset:32
	global_load_u16 v12, v[22:23], off
	s_wait_loadcnt 0x0
	v_mul_f16_e32 v12, s33, v12
	v_fmac_f16_e32 v12, s30, v20
	global_store_b16 v[10:11], v12, off
	global_load_u16 v12, v[22:23], off offset:32
	s_wait_loadcnt 0x0
	v_mul_f16_e32 v12, s33, v12
	s_delay_alu instid0(VALU_DEP_1)
	v_fmac_f16_e32 v12, s30, v18
	global_store_b16 v[10:11], v12, off offset:32
	s_branch .LBB349_2
.LBB349_11:
	s_endpgm
	.section	.rodata,"a",@progbits
	.p2align	6, 0x0
	.amdhsa_kernel _ZN12_GLOBAL__N_127rocblas_gemm_batched_kernelIDF16_Li16ELi16ELi32ELi32ELi8ELi32ELi8ELi8ELi32ELc67ELc78EKDF16_S1_DF16_EEvlllT_PT11_llS4_llS2_PT12_llPT13_lli
		.amdhsa_group_segment_fixed_size 1024
		.amdhsa_private_segment_fixed_size 0
		.amdhsa_kernarg_size 140
		.amdhsa_user_sgpr_count 2
		.amdhsa_user_sgpr_dispatch_ptr 0
		.amdhsa_user_sgpr_queue_ptr 0
		.amdhsa_user_sgpr_kernarg_segment_ptr 1
		.amdhsa_user_sgpr_dispatch_id 0
		.amdhsa_user_sgpr_kernarg_preload_length 0
		.amdhsa_user_sgpr_kernarg_preload_offset 0
		.amdhsa_user_sgpr_private_segment_size 0
		.amdhsa_wavefront_size32 1
		.amdhsa_uses_dynamic_stack 0
		.amdhsa_enable_private_segment 0
		.amdhsa_system_sgpr_workgroup_id_x 1
		.amdhsa_system_sgpr_workgroup_id_y 1
		.amdhsa_system_sgpr_workgroup_id_z 1
		.amdhsa_system_sgpr_workgroup_info 0
		.amdhsa_system_vgpr_workitem_id 1
		.amdhsa_next_free_vgpr 44
		.amdhsa_next_free_sgpr 38
		.amdhsa_named_barrier_count 0
		.amdhsa_reserve_vcc 1
		.amdhsa_float_round_mode_32 0
		.amdhsa_float_round_mode_16_64 0
		.amdhsa_float_denorm_mode_32 3
		.amdhsa_float_denorm_mode_16_64 3
		.amdhsa_fp16_overflow 0
		.amdhsa_memory_ordered 1
		.amdhsa_forward_progress 1
		.amdhsa_inst_pref_size 12
		.amdhsa_round_robin_scheduling 0
		.amdhsa_exception_fp_ieee_invalid_op 0
		.amdhsa_exception_fp_denorm_src 0
		.amdhsa_exception_fp_ieee_div_zero 0
		.amdhsa_exception_fp_ieee_overflow 0
		.amdhsa_exception_fp_ieee_underflow 0
		.amdhsa_exception_fp_ieee_inexact 0
		.amdhsa_exception_int_div_zero 0
	.end_amdhsa_kernel
	.section	.text._ZN12_GLOBAL__N_127rocblas_gemm_batched_kernelIDF16_Li16ELi16ELi32ELi32ELi8ELi32ELi8ELi8ELi32ELc67ELc78EKDF16_S1_DF16_EEvlllT_PT11_llS4_llS2_PT12_llPT13_lli,"axG",@progbits,_ZN12_GLOBAL__N_127rocblas_gemm_batched_kernelIDF16_Li16ELi16ELi32ELi32ELi8ELi32ELi8ELi8ELi32ELc67ELc78EKDF16_S1_DF16_EEvlllT_PT11_llS4_llS2_PT12_llPT13_lli,comdat
.Lfunc_end349:
	.size	_ZN12_GLOBAL__N_127rocblas_gemm_batched_kernelIDF16_Li16ELi16ELi32ELi32ELi8ELi32ELi8ELi8ELi32ELc67ELc78EKDF16_S1_DF16_EEvlllT_PT11_llS4_llS2_PT12_llPT13_lli, .Lfunc_end349-_ZN12_GLOBAL__N_127rocblas_gemm_batched_kernelIDF16_Li16ELi16ELi32ELi32ELi8ELi32ELi8ELi8ELi32ELc67ELc78EKDF16_S1_DF16_EEvlllT_PT11_llS4_llS2_PT12_llPT13_lli
                                        ; -- End function
	.set _ZN12_GLOBAL__N_127rocblas_gemm_batched_kernelIDF16_Li16ELi16ELi32ELi32ELi8ELi32ELi8ELi8ELi32ELc67ELc78EKDF16_S1_DF16_EEvlllT_PT11_llS4_llS2_PT12_llPT13_lli.num_vgpr, 44
	.set _ZN12_GLOBAL__N_127rocblas_gemm_batched_kernelIDF16_Li16ELi16ELi32ELi32ELi8ELi32ELi8ELi8ELi32ELc67ELc78EKDF16_S1_DF16_EEvlllT_PT11_llS4_llS2_PT12_llPT13_lli.num_agpr, 0
	.set _ZN12_GLOBAL__N_127rocblas_gemm_batched_kernelIDF16_Li16ELi16ELi32ELi32ELi8ELi32ELi8ELi8ELi32ELc67ELc78EKDF16_S1_DF16_EEvlllT_PT11_llS4_llS2_PT12_llPT13_lli.numbered_sgpr, 38
	.set _ZN12_GLOBAL__N_127rocblas_gemm_batched_kernelIDF16_Li16ELi16ELi32ELi32ELi8ELi32ELi8ELi8ELi32ELc67ELc78EKDF16_S1_DF16_EEvlllT_PT11_llS4_llS2_PT12_llPT13_lli.num_named_barrier, 0
	.set _ZN12_GLOBAL__N_127rocblas_gemm_batched_kernelIDF16_Li16ELi16ELi32ELi32ELi8ELi32ELi8ELi8ELi32ELc67ELc78EKDF16_S1_DF16_EEvlllT_PT11_llS4_llS2_PT12_llPT13_lli.private_seg_size, 0
	.set _ZN12_GLOBAL__N_127rocblas_gemm_batched_kernelIDF16_Li16ELi16ELi32ELi32ELi8ELi32ELi8ELi8ELi32ELc67ELc78EKDF16_S1_DF16_EEvlllT_PT11_llS4_llS2_PT12_llPT13_lli.uses_vcc, 1
	.set _ZN12_GLOBAL__N_127rocblas_gemm_batched_kernelIDF16_Li16ELi16ELi32ELi32ELi8ELi32ELi8ELi8ELi32ELc67ELc78EKDF16_S1_DF16_EEvlllT_PT11_llS4_llS2_PT12_llPT13_lli.uses_flat_scratch, 0
	.set _ZN12_GLOBAL__N_127rocblas_gemm_batched_kernelIDF16_Li16ELi16ELi32ELi32ELi8ELi32ELi8ELi8ELi32ELc67ELc78EKDF16_S1_DF16_EEvlllT_PT11_llS4_llS2_PT12_llPT13_lli.has_dyn_sized_stack, 0
	.set _ZN12_GLOBAL__N_127rocblas_gemm_batched_kernelIDF16_Li16ELi16ELi32ELi32ELi8ELi32ELi8ELi8ELi32ELc67ELc78EKDF16_S1_DF16_EEvlllT_PT11_llS4_llS2_PT12_llPT13_lli.has_recursion, 0
	.set _ZN12_GLOBAL__N_127rocblas_gemm_batched_kernelIDF16_Li16ELi16ELi32ELi32ELi8ELi32ELi8ELi8ELi32ELc67ELc78EKDF16_S1_DF16_EEvlllT_PT11_llS4_llS2_PT12_llPT13_lli.has_indirect_call, 0
	.section	.AMDGPU.csdata,"",@progbits
; Kernel info:
; codeLenInByte = 1448
; TotalNumSgprs: 40
; NumVgprs: 44
; ScratchSize: 0
; MemoryBound: 0
; FloatMode: 240
; IeeeMode: 1
; LDSByteSize: 1024 bytes/workgroup (compile time only)
; SGPRBlocks: 0
; VGPRBlocks: 2
; NumSGPRsForWavesPerEU: 40
; NumVGPRsForWavesPerEU: 44
; NamedBarCnt: 0
; Occupancy: 16
; WaveLimiterHint : 0
; COMPUTE_PGM_RSRC2:SCRATCH_EN: 0
; COMPUTE_PGM_RSRC2:USER_SGPR: 2
; COMPUTE_PGM_RSRC2:TRAP_HANDLER: 0
; COMPUTE_PGM_RSRC2:TGID_X_EN: 1
; COMPUTE_PGM_RSRC2:TGID_Y_EN: 1
; COMPUTE_PGM_RSRC2:TGID_Z_EN: 1
; COMPUTE_PGM_RSRC2:TIDIG_COMP_CNT: 1
	.section	.text._ZN12_GLOBAL__N_127rocblas_gemm_batched_kernelIDF16_Li16ELi16ELi32ELi32ELi8ELi32ELi8ELi8ELi32ELc67ELc84EKDF16_S1_DF16_EEvlllT_PT11_llS4_llS2_PT12_llPT13_lli,"axG",@progbits,_ZN12_GLOBAL__N_127rocblas_gemm_batched_kernelIDF16_Li16ELi16ELi32ELi32ELi8ELi32ELi8ELi8ELi32ELc67ELc84EKDF16_S1_DF16_EEvlllT_PT11_llS4_llS2_PT12_llPT13_lli,comdat
	.globl	_ZN12_GLOBAL__N_127rocblas_gemm_batched_kernelIDF16_Li16ELi16ELi32ELi32ELi8ELi32ELi8ELi8ELi32ELc67ELc84EKDF16_S1_DF16_EEvlllT_PT11_llS4_llS2_PT12_llPT13_lli ; -- Begin function _ZN12_GLOBAL__N_127rocblas_gemm_batched_kernelIDF16_Li16ELi16ELi32ELi32ELi8ELi32ELi8ELi8ELi32ELc67ELc84EKDF16_S1_DF16_EEvlllT_PT11_llS4_llS2_PT12_llPT13_lli
	.p2align	8
	.type	_ZN12_GLOBAL__N_127rocblas_gemm_batched_kernelIDF16_Li16ELi16ELi32ELi32ELi8ELi32ELi8ELi8ELi32ELc67ELc84EKDF16_S1_DF16_EEvlllT_PT11_llS4_llS2_PT12_llPT13_lli,@function
_ZN12_GLOBAL__N_127rocblas_gemm_batched_kernelIDF16_Li16ELi16ELi32ELi32ELi8ELi32ELi8ELi8ELi32ELc67ELc84EKDF16_S1_DF16_EEvlllT_PT11_llS4_llS2_PT12_llPT13_lli: ; @_ZN12_GLOBAL__N_127rocblas_gemm_batched_kernelIDF16_Li16ELi16ELi32ELi32ELi8ELi32ELi8ELi8ELi32ELc67ELc84EKDF16_S1_DF16_EEvlllT_PT11_llS4_llS2_PT12_llPT13_lli
; %bb.0:
	s_load_b32 s31, s[0:1], 0x88
	s_bfe_u32 s2, ttmp6, 0x40014
	s_lshr_b32 s3, ttmp7, 16
	s_add_co_i32 s2, s2, 1
	s_bfe_u32 s4, ttmp6, 0x40008
	s_mul_i32 s2, s3, s2
	s_getreg_b32 s28, hwreg(HW_REG_IB_STS2, 6, 4)
	s_add_co_i32 s4, s4, s2
	s_cmp_eq_u32 s28, 0
	s_cselect_b32 s2, s3, s4
	s_mov_b32 s3, 0
	s_wait_kmcnt 0x0
	s_cmp_ge_i32 s2, s31
	s_cbranch_scc1 .LBB350_11
; %bb.1:
	s_bfe_u32 s29, ttmp6, 0x4000c
	s_bfe_u32 s33, ttmp6, 0x40010
	s_add_co_i32 s29, s29, 1
	s_and_b32 s34, ttmp7, 0xffff
	s_add_co_i32 s33, s33, 1
	v_bfe_u32 v2, v0, 10, 10
	s_and_b32 s30, ttmp6, 15
	s_mul_i32 s29, ttmp9, s29
	s_mul_i32 s33, s34, s33
	s_bfe_u32 s35, ttmp6, 0x40004
	s_add_co_i32 s30, s30, s29
	s_add_co_i32 s35, s35, s33
	s_cmp_eq_u32 s28, 0
	v_and_b32_e32 v4, 0x3ff, v0
	v_dual_lshlrev_b32 v15, 4, v2 :: v_dual_mov_b32 v3, 0
	s_cselect_b32 s28, ttmp9, s30
	s_clause 0x2
	s_load_b256 s[12:19], s[0:1], 0x20
	s_load_b128 s[24:27], s[0:1], 0x40
	s_load_b128 s[20:23], s[0:1], 0x78
	s_cselect_b32 s30, s34, s35
	s_ashr_i32 s29, s28, 31
	s_load_b256 s[4:11], s[0:1], 0x58
	s_lshl_b64 s[34:35], s[28:29], 5
	s_delay_alu instid0(SALU_CYCLE_1) | instskip(SKIP_3) | instid1(VALU_DEP_2)
	v_dual_mov_b32 v7, s35 :: v_dual_add_nc_u32 v18, v15, v4
	s_lshl_b32 s36, s30, 5
	s_mov_b32 s37, s3
	v_dual_mov_b32 v11, v3 :: v_dual_mov_b32 v5, v3
	v_and_b32_e32 v19, 31, v18
	v_add_nc_u64_e32 v[8:9], s[36:37], v[2:3]
	s_clause 0x1
	s_load_b32 s33, s[0:1], 0x50
	s_load_b96 s[28:30], s[0:1], 0x10
	v_lshlrev_b32_e32 v14, 1, v4
	v_add_nc_u32_e32 v15, 0x200, v15
	v_or_b32_e32 v6, s34, v19
	v_dual_lshrrev_b32 v10, 3, v18 :: v_dual_bitop2_b32 v2, 7, v0 bitop3:0x40
	v_dual_lshrrev_b32 v18, 5, v18 :: v_dual_lshlrev_b32 v19, 1, v19
	s_wait_kmcnt 0x0
	s_delay_alu instid0(VALU_DEP_3)
	v_mul_u64_e32 v[6:7], s[14:15], v[6:7]
	v_mul_u64_e32 v[0:1], s[20:21], v[8:9]
	;; [unrolled: 1-line block ×3, first 2 shown]
	v_mad_nc_u64_u32 v[16:17], s24, v2, v[10:11]
	v_lshlrev_b32_e32 v11, 1, v2
	v_add_nc_u64_e32 v[8:9], s[34:35], v[4:5]
	s_delay_alu instid0(VALU_DEP_2)
	v_lshl_or_b32 v20, v10, 4, v11
	s_cmp_eq_f16 s33, 0
	v_cmp_gt_i64_e64 s0, s[28:29], 0
	v_mad_u32 v17, s25, v2, v17
	v_lshlrev_b32_e32 v2, 1, v18
	s_cselect_b32 s1, -1, 0
	s_lshl_b64 s[14:15], s[20:21], 4
	s_lshl_b64 s[6:7], s[6:7], 4
	v_cndmask_b32_e64 v21, 0, 1, s0
	s_lshl_b64 s[16:17], s[16:17], 1
	s_delay_alu instid0(VALU_DEP_1) | instskip(NEXT) | instid1(VALU_DEP_4)
	v_cmp_ne_u32_e64 s0, 1, v21
	v_add_nc_u64_e32 v[10:11], s[36:37], v[16:17]
	v_lshl_or_b32 v16, v18, 6, v19
	v_add_nc_u32_e32 v17, 0x200, v20
	v_lshl_add_u64 v[4:5], v[6:7], 1, v[2:3]
	v_lshlrev_b64_e32 v[6:7], 1, v[8:9]
	v_lshl_add_u64 v[2:3], v[12:13], 1, s[4:5]
	v_lshl_add_u64 v[8:9], v[10:11], 1, s[18:19]
	s_lshl_b64 s[4:5], s[26:27], 1
	v_add_nc_u64_e32 v[4:5], s[12:13], v[4:5]
	s_lshl_b64 s[12:13], s[24:25], 4
	s_branch .LBB350_3
.LBB350_2:                              ;   in Loop: Header=BB350_3 Depth=1
	s_add_co_i32 s2, s2, 0x10000
	s_delay_alu instid0(SALU_CYCLE_1)
	s_cmp_lt_i32 s2, s31
	s_cbranch_scc0 .LBB350_11
.LBB350_3:                              ; =>This Loop Header: Depth=1
                                        ;     Child Loop BB350_5 Depth 2
	s_and_b32 vcc_lo, exec_lo, s0
	s_cbranch_vccnz .LBB350_6
; %bb.4:                                ;   in Loop: Header=BB350_3 Depth=1
	s_wait_xcnt 0x0
	v_mad_nc_u64_u32 v[10:11], s4, s2, v[8:9]
	v_mad_nc_u64_u32 v[12:13], s16, s2, v[4:5]
	v_dual_mov_b32 v18, 0 :: v_dual_mov_b32 v19, 0
	s_mov_b64 s[18:19], 0
	s_delay_alu instid0(VALU_DEP_3) | instskip(NEXT) | instid1(VALU_DEP_3)
	v_mad_u32 v11, s5, s2, v11
	v_mad_u32 v13, s17, s2, v13
.LBB350_5:                              ;   Parent Loop BB350_3 Depth=1
                                        ; =>  This Inner Loop Header: Depth=2
	global_load_u16 v20, v[12:13], off
	global_load_u16 v21, v[10:11], off
	s_add_nc_u64 s[18:19], s[18:19], 8
	s_wait_xcnt 0x0
	v_add_nc_u64_e32 v[10:11], s[12:13], v[10:11]
	v_cmp_lt_i64_e64 s20, s[18:19], s[28:29]
	v_add_nc_u64_e32 v[12:13], 16, v[12:13]
	s_wait_loadcnt 0x1
	ds_store_b16 v16, v20
	s_wait_loadcnt 0x0
	ds_store_b16 v17, v21
	s_wait_dscnt 0x0
	s_barrier_signal -1
	s_barrier_wait -1
	ds_load_b128 v[20:23], v15
	ds_load_b128 v[24:27], v15 offset:256
	ds_load_u16 v28, v14
	ds_load_u16 v29, v14 offset:32
	ds_load_u16 v30, v14 offset:64
	;; [unrolled: 1-line block ×15, first 2 shown]
	s_and_b32 vcc_lo, exec_lo, s20
	s_wait_dscnt 0x0
	s_barrier_signal -1
	s_barrier_wait -1
	v_perm_b32 v28, v28, v29, 0x5040100
	v_perm_b32 v29, v30, v31, 0x5040100
	;; [unrolled: 1-line block ×3, first 2 shown]
	s_delay_alu instid0(VALU_DEP_3) | instskip(SKIP_3) | instid1(VALU_DEP_4)
	v_pk_fma_f16 v19, v28, v20, v19 op_sel_hi:[1,0,1]
	v_pk_fma_f16 v18, v28, v24, v18 op_sel_hi:[1,0,1]
	v_perm_b32 v31, v34, v35, 0x5040100
	v_perm_b32 v32, v36, v37, 0x5040100
	v_pk_fma_f16 v19, v29, v20, v19 op_sel:[0,1,0]
	s_delay_alu instid0(VALU_DEP_4)
	v_pk_fma_f16 v18, v29, v24, v18 op_sel:[0,1,0]
	v_perm_b32 v33, v38, v39, 0x5040100
	v_perm_b32 v34, v40, v41, 0x5040100
	;; [unrolled: 1-line block ×3, first 2 shown]
	v_pk_fma_f16 v19, v30, v21, v19 op_sel_hi:[1,0,1]
	v_pk_fma_f16 v18, v30, v25, v18 op_sel_hi:[1,0,1]
	s_delay_alu instid0(VALU_DEP_2) | instskip(NEXT) | instid1(VALU_DEP_2)
	v_pk_fma_f16 v19, v31, v21, v19 op_sel:[0,1,0]
	v_pk_fma_f16 v18, v31, v25, v18 op_sel:[0,1,0]
	s_delay_alu instid0(VALU_DEP_2) | instskip(NEXT) | instid1(VALU_DEP_2)
	v_pk_fma_f16 v19, v32, v22, v19 op_sel_hi:[1,0,1]
	v_pk_fma_f16 v18, v32, v26, v18 op_sel_hi:[1,0,1]
	s_delay_alu instid0(VALU_DEP_2) | instskip(NEXT) | instid1(VALU_DEP_2)
	v_pk_fma_f16 v19, v33, v22, v19 op_sel:[0,1,0]
	v_pk_fma_f16 v18, v33, v26, v18 op_sel:[0,1,0]
	s_delay_alu instid0(VALU_DEP_2) | instskip(NEXT) | instid1(VALU_DEP_2)
	v_pk_fma_f16 v19, v34, v23, v19 op_sel_hi:[1,0,1]
	v_pk_fma_f16 v18, v34, v27, v18 op_sel_hi:[1,0,1]
	s_delay_alu instid0(VALU_DEP_2) | instskip(NEXT) | instid1(VALU_DEP_2)
	v_pk_fma_f16 v19, v20, v23, v19 op_sel:[0,1,0]
	v_pk_fma_f16 v18, v20, v27, v18 op_sel:[0,1,0]
	s_cbranch_vccnz .LBB350_5
	s_branch .LBB350_7
.LBB350_6:                              ;   in Loop: Header=BB350_3 Depth=1
	v_dual_mov_b32 v19, 0 :: v_dual_mov_b32 v18, 0
.LBB350_7:                              ;   in Loop: Header=BB350_3 Depth=1
	s_mul_u64 s[18:19], s[22:23], s[2:3]
	s_delay_alu instid0(VALU_DEP_1)
	v_dual_lshrrev_b32 v21, 16, v19 :: v_dual_lshrrev_b32 v20, 16, v18
	s_lshl_b64 s[18:19], s[18:19], 1
	s_and_not1_b32 vcc_lo, exec_lo, s1
	s_add_nc_u64 s[18:19], s[10:11], s[18:19]
	s_wait_xcnt 0x0
	v_lshl_add_u64 v[10:11], v[0:1], 1, s[18:19]
	s_delay_alu instid0(VALU_DEP_1)
	v_add_nc_u64_e32 v[12:13], v[10:11], v[6:7]
	v_lshl_add_u64 v[10:11], s[14:15], 1, v[10:11]
	s_cbranch_vccnz .LBB350_9
; %bb.8:                                ;   in Loop: Header=BB350_3 Depth=1
	s_delay_alu instid0(VALU_DEP_1)
	v_add_nc_u64_e32 v[22:23], v[10:11], v[6:7]
	v_mul_f16_e32 v24, s30, v21
	v_mul_f16_e32 v26, s30, v20
	;; [unrolled: 1-line block ×4, first 2 shown]
	s_clause 0x3
	global_store_b16 v[12:13], v24, off
	global_store_b16 v[12:13], v25, off offset:32
	global_store_b16 v[22:23], v26, off
	global_store_b16 v[22:23], v27, off offset:32
	s_cbranch_execnz .LBB350_2
	s_branch .LBB350_10
.LBB350_9:                              ;   in Loop: Header=BB350_3 Depth=1
.LBB350_10:                             ;   in Loop: Header=BB350_3 Depth=1
	s_mul_u64 s[18:19], s[8:9], s[2:3]
	s_delay_alu instid0(VALU_DEP_1) | instskip(SKIP_2) | instid1(VALU_DEP_1)
	v_add_nc_u64_e32 v[10:11], v[10:11], v[6:7]
	s_wait_xcnt 0x0
	v_lshl_add_u64 v[22:23], s[18:19], 1, v[2:3]
	v_add_nc_u64_e32 v[24:25], v[22:23], v[6:7]
	v_lshl_add_u64 v[22:23], s[6:7], 1, v[22:23]
	s_delay_alu instid0(VALU_DEP_1) | instskip(SKIP_3) | instid1(VALU_DEP_1)
	v_add_nc_u64_e32 v[22:23], v[22:23], v[6:7]
	global_load_u16 v26, v[24:25], off
	s_wait_loadcnt 0x0
	v_mul_f16_e32 v26, s33, v26
	v_fmac_f16_e32 v26, s30, v21
	global_store_b16 v[12:13], v26, off
	global_load_u16 v21, v[24:25], off offset:32
	s_wait_loadcnt 0x0
	v_mul_f16_e32 v21, s33, v21
	s_delay_alu instid0(VALU_DEP_1) | instskip(SKIP_4) | instid1(VALU_DEP_1)
	v_fmac_f16_e32 v21, s30, v19
	global_store_b16 v[12:13], v21, off offset:32
	global_load_u16 v12, v[22:23], off
	s_wait_loadcnt 0x0
	v_mul_f16_e32 v12, s33, v12
	v_fmac_f16_e32 v12, s30, v20
	global_store_b16 v[10:11], v12, off
	global_load_u16 v12, v[22:23], off offset:32
	s_wait_loadcnt 0x0
	v_mul_f16_e32 v12, s33, v12
	s_delay_alu instid0(VALU_DEP_1)
	v_fmac_f16_e32 v12, s30, v18
	global_store_b16 v[10:11], v12, off offset:32
	s_branch .LBB350_2
.LBB350_11:
	s_endpgm
	.section	.rodata,"a",@progbits
	.p2align	6, 0x0
	.amdhsa_kernel _ZN12_GLOBAL__N_127rocblas_gemm_batched_kernelIDF16_Li16ELi16ELi32ELi32ELi8ELi32ELi8ELi8ELi32ELc67ELc84EKDF16_S1_DF16_EEvlllT_PT11_llS4_llS2_PT12_llPT13_lli
		.amdhsa_group_segment_fixed_size 1024
		.amdhsa_private_segment_fixed_size 0
		.amdhsa_kernarg_size 140
		.amdhsa_user_sgpr_count 2
		.amdhsa_user_sgpr_dispatch_ptr 0
		.amdhsa_user_sgpr_queue_ptr 0
		.amdhsa_user_sgpr_kernarg_segment_ptr 1
		.amdhsa_user_sgpr_dispatch_id 0
		.amdhsa_user_sgpr_kernarg_preload_length 0
		.amdhsa_user_sgpr_kernarg_preload_offset 0
		.amdhsa_user_sgpr_private_segment_size 0
		.amdhsa_wavefront_size32 1
		.amdhsa_uses_dynamic_stack 0
		.amdhsa_enable_private_segment 0
		.amdhsa_system_sgpr_workgroup_id_x 1
		.amdhsa_system_sgpr_workgroup_id_y 1
		.amdhsa_system_sgpr_workgroup_id_z 1
		.amdhsa_system_sgpr_workgroup_info 0
		.amdhsa_system_vgpr_workitem_id 1
		.amdhsa_next_free_vgpr 44
		.amdhsa_next_free_sgpr 38
		.amdhsa_named_barrier_count 0
		.amdhsa_reserve_vcc 1
		.amdhsa_float_round_mode_32 0
		.amdhsa_float_round_mode_16_64 0
		.amdhsa_float_denorm_mode_32 3
		.amdhsa_float_denorm_mode_16_64 3
		.amdhsa_fp16_overflow 0
		.amdhsa_memory_ordered 1
		.amdhsa_forward_progress 1
		.amdhsa_inst_pref_size 12
		.amdhsa_round_robin_scheduling 0
		.amdhsa_exception_fp_ieee_invalid_op 0
		.amdhsa_exception_fp_denorm_src 0
		.amdhsa_exception_fp_ieee_div_zero 0
		.amdhsa_exception_fp_ieee_overflow 0
		.amdhsa_exception_fp_ieee_underflow 0
		.amdhsa_exception_fp_ieee_inexact 0
		.amdhsa_exception_int_div_zero 0
	.end_amdhsa_kernel
	.section	.text._ZN12_GLOBAL__N_127rocblas_gemm_batched_kernelIDF16_Li16ELi16ELi32ELi32ELi8ELi32ELi8ELi8ELi32ELc67ELc84EKDF16_S1_DF16_EEvlllT_PT11_llS4_llS2_PT12_llPT13_lli,"axG",@progbits,_ZN12_GLOBAL__N_127rocblas_gemm_batched_kernelIDF16_Li16ELi16ELi32ELi32ELi8ELi32ELi8ELi8ELi32ELc67ELc84EKDF16_S1_DF16_EEvlllT_PT11_llS4_llS2_PT12_llPT13_lli,comdat
.Lfunc_end350:
	.size	_ZN12_GLOBAL__N_127rocblas_gemm_batched_kernelIDF16_Li16ELi16ELi32ELi32ELi8ELi32ELi8ELi8ELi32ELc67ELc84EKDF16_S1_DF16_EEvlllT_PT11_llS4_llS2_PT12_llPT13_lli, .Lfunc_end350-_ZN12_GLOBAL__N_127rocblas_gemm_batched_kernelIDF16_Li16ELi16ELi32ELi32ELi8ELi32ELi8ELi8ELi32ELc67ELc84EKDF16_S1_DF16_EEvlllT_PT11_llS4_llS2_PT12_llPT13_lli
                                        ; -- End function
	.set _ZN12_GLOBAL__N_127rocblas_gemm_batched_kernelIDF16_Li16ELi16ELi32ELi32ELi8ELi32ELi8ELi8ELi32ELc67ELc84EKDF16_S1_DF16_EEvlllT_PT11_llS4_llS2_PT12_llPT13_lli.num_vgpr, 44
	.set _ZN12_GLOBAL__N_127rocblas_gemm_batched_kernelIDF16_Li16ELi16ELi32ELi32ELi8ELi32ELi8ELi8ELi32ELc67ELc84EKDF16_S1_DF16_EEvlllT_PT11_llS4_llS2_PT12_llPT13_lli.num_agpr, 0
	.set _ZN12_GLOBAL__N_127rocblas_gemm_batched_kernelIDF16_Li16ELi16ELi32ELi32ELi8ELi32ELi8ELi8ELi32ELc67ELc84EKDF16_S1_DF16_EEvlllT_PT11_llS4_llS2_PT12_llPT13_lli.numbered_sgpr, 38
	.set _ZN12_GLOBAL__N_127rocblas_gemm_batched_kernelIDF16_Li16ELi16ELi32ELi32ELi8ELi32ELi8ELi8ELi32ELc67ELc84EKDF16_S1_DF16_EEvlllT_PT11_llS4_llS2_PT12_llPT13_lli.num_named_barrier, 0
	.set _ZN12_GLOBAL__N_127rocblas_gemm_batched_kernelIDF16_Li16ELi16ELi32ELi32ELi8ELi32ELi8ELi8ELi32ELc67ELc84EKDF16_S1_DF16_EEvlllT_PT11_llS4_llS2_PT12_llPT13_lli.private_seg_size, 0
	.set _ZN12_GLOBAL__N_127rocblas_gemm_batched_kernelIDF16_Li16ELi16ELi32ELi32ELi8ELi32ELi8ELi8ELi32ELc67ELc84EKDF16_S1_DF16_EEvlllT_PT11_llS4_llS2_PT12_llPT13_lli.uses_vcc, 1
	.set _ZN12_GLOBAL__N_127rocblas_gemm_batched_kernelIDF16_Li16ELi16ELi32ELi32ELi8ELi32ELi8ELi8ELi32ELc67ELc84EKDF16_S1_DF16_EEvlllT_PT11_llS4_llS2_PT12_llPT13_lli.uses_flat_scratch, 0
	.set _ZN12_GLOBAL__N_127rocblas_gemm_batched_kernelIDF16_Li16ELi16ELi32ELi32ELi8ELi32ELi8ELi8ELi32ELc67ELc84EKDF16_S1_DF16_EEvlllT_PT11_llS4_llS2_PT12_llPT13_lli.has_dyn_sized_stack, 0
	.set _ZN12_GLOBAL__N_127rocblas_gemm_batched_kernelIDF16_Li16ELi16ELi32ELi32ELi8ELi32ELi8ELi8ELi32ELc67ELc84EKDF16_S1_DF16_EEvlllT_PT11_llS4_llS2_PT12_llPT13_lli.has_recursion, 0
	.set _ZN12_GLOBAL__N_127rocblas_gemm_batched_kernelIDF16_Li16ELi16ELi32ELi32ELi8ELi32ELi8ELi8ELi32ELc67ELc84EKDF16_S1_DF16_EEvlllT_PT11_llS4_llS2_PT12_llPT13_lli.has_indirect_call, 0
	.section	.AMDGPU.csdata,"",@progbits
; Kernel info:
; codeLenInByte = 1428
; TotalNumSgprs: 40
; NumVgprs: 44
; ScratchSize: 0
; MemoryBound: 0
; FloatMode: 240
; IeeeMode: 1
; LDSByteSize: 1024 bytes/workgroup (compile time only)
; SGPRBlocks: 0
; VGPRBlocks: 2
; NumSGPRsForWavesPerEU: 40
; NumVGPRsForWavesPerEU: 44
; NamedBarCnt: 0
; Occupancy: 16
; WaveLimiterHint : 0
; COMPUTE_PGM_RSRC2:SCRATCH_EN: 0
; COMPUTE_PGM_RSRC2:USER_SGPR: 2
; COMPUTE_PGM_RSRC2:TRAP_HANDLER: 0
; COMPUTE_PGM_RSRC2:TGID_X_EN: 1
; COMPUTE_PGM_RSRC2:TGID_Y_EN: 1
; COMPUTE_PGM_RSRC2:TGID_Z_EN: 1
; COMPUTE_PGM_RSRC2:TIDIG_COMP_CNT: 1
	.section	.text._ZN12_GLOBAL__N_127rocblas_gemm_batched_kernelIDF16_Li16ELi16ELi32ELi32ELi8ELi32ELi8ELi8ELi32ELc78ELc67EKDF16_S1_DF16_EEvlllT_PT11_llS4_llS2_PT12_llPT13_lli,"axG",@progbits,_ZN12_GLOBAL__N_127rocblas_gemm_batched_kernelIDF16_Li16ELi16ELi32ELi32ELi8ELi32ELi8ELi8ELi32ELc78ELc67EKDF16_S1_DF16_EEvlllT_PT11_llS4_llS2_PT12_llPT13_lli,comdat
	.globl	_ZN12_GLOBAL__N_127rocblas_gemm_batched_kernelIDF16_Li16ELi16ELi32ELi32ELi8ELi32ELi8ELi8ELi32ELc78ELc67EKDF16_S1_DF16_EEvlllT_PT11_llS4_llS2_PT12_llPT13_lli ; -- Begin function _ZN12_GLOBAL__N_127rocblas_gemm_batched_kernelIDF16_Li16ELi16ELi32ELi32ELi8ELi32ELi8ELi8ELi32ELc78ELc67EKDF16_S1_DF16_EEvlllT_PT11_llS4_llS2_PT12_llPT13_lli
	.p2align	8
	.type	_ZN12_GLOBAL__N_127rocblas_gemm_batched_kernelIDF16_Li16ELi16ELi32ELi32ELi8ELi32ELi8ELi8ELi32ELc78ELc67EKDF16_S1_DF16_EEvlllT_PT11_llS4_llS2_PT12_llPT13_lli,@function
_ZN12_GLOBAL__N_127rocblas_gemm_batched_kernelIDF16_Li16ELi16ELi32ELi32ELi8ELi32ELi8ELi8ELi32ELc78ELc67EKDF16_S1_DF16_EEvlllT_PT11_llS4_llS2_PT12_llPT13_lli: ; @_ZN12_GLOBAL__N_127rocblas_gemm_batched_kernelIDF16_Li16ELi16ELi32ELi32ELi8ELi32ELi8ELi8ELi32ELc78ELc67EKDF16_S1_DF16_EEvlllT_PT11_llS4_llS2_PT12_llPT13_lli
; %bb.0:
	s_load_b32 s31, s[0:1], 0x88
	s_bfe_u32 s2, ttmp6, 0x40014
	s_lshr_b32 s3, ttmp7, 16
	s_add_co_i32 s2, s2, 1
	s_bfe_u32 s4, ttmp6, 0x40008
	s_mul_i32 s2, s3, s2
	s_getreg_b32 s20, hwreg(HW_REG_IB_STS2, 6, 4)
	s_add_co_i32 s4, s4, s2
	s_cmp_eq_u32 s20, 0
	s_cselect_b32 s2, s3, s4
	s_mov_b32 s3, 0
	s_wait_kmcnt 0x0
	s_cmp_ge_i32 s2, s31
	s_cbranch_scc1 .LBB351_11
; %bb.1:
	s_bfe_u32 s21, ttmp6, 0x4000c
	s_bfe_u32 s23, ttmp6, 0x40010
	s_clause 0x2
	s_load_b256 s[12:19], s[0:1], 0x20
	s_load_b128 s[24:27], s[0:1], 0x40
	s_load_b256 s[4:11], s[0:1], 0x58
	s_add_co_i32 s21, s21, 1
	s_and_b32 s28, ttmp7, 0xffff
	s_add_co_i32 s23, s23, 1
	s_and_b32 s22, ttmp6, 15
	s_mul_i32 s21, ttmp9, s21
	s_mul_i32 s23, s28, s23
	s_bfe_u32 s29, ttmp6, 0x40004
	s_add_co_i32 s22, s22, s21
	s_add_co_i32 s29, s29, s23
	s_cmp_eq_u32 s20, 0
	v_bfe_u32 v2, v0, 10, 10
	v_mov_b32_e32 v3, 0
	s_cselect_b32 s20, s28, s29
	s_cselect_b32 s28, ttmp9, s22
	s_lshl_b32 s34, s20, 5
	s_load_b128 s[20:23], s[0:1], 0x78
	s_mov_b32 s35, s3
	v_and_b32_e32 v4, 0x3ff, v0
	v_lshlrev_b32_e32 v17, 4, v2
	v_add_nc_u64_e32 v[6:7], s[34:35], v[2:3]
	v_mov_b32_e32 v9, v3
	s_ashr_i32 s29, s28, 31
	s_load_b32 s33, s[0:1], 0x50
	v_add_nc_u32_e32 v1, v17, v4
	v_and_b32_e32 v14, 7, v0
	s_lshl_b64 s[36:37], s[28:29], 5
	s_wait_kmcnt 0x0
	v_mul_u64_e32 v[10:11], s[6:7], v[6:7]
	s_load_b96 s[28:30], s[0:1], 0x10
	v_dual_lshrrev_b32 v8, 3, v1 :: v_dual_lshrrev_b32 v15, 5, v1
	v_dual_mov_b32 v5, v3 :: v_dual_bitop2_b32 v2, 31, v1 bitop3:0x40
	v_lshlrev_b32_e32 v16, 1, v4
	s_delay_alu instid0(VALU_DEP_3) | instskip(NEXT) | instid1(VALU_DEP_4)
	v_mad_nc_u64_u32 v[12:13], s24, v14, v[8:9]
	v_mad_nc_u64_u32 v[18:19], s14, v15, s[36:37]
	v_mul_u64_e32 v[0:1], s[20:21], v[6:7]
	v_lshlrev_b32_e32 v6, 1, v14
	v_lshlrev_b32_e32 v7, 1, v2
	v_add_nc_u32_e32 v17, 0x200, v17
	s_delay_alu instid0(VALU_DEP_3)
	v_lshl_or_b32 v6, v8, 4, v6
	s_cmp_eq_f16 s33, 0
	v_mad_u32 v13, s25, v14, v13
	v_mad_u32 v19, s15, v15, v19
	v_lshl_or_b32 v14, v15, 6, v7
	s_wait_kmcnt 0x0
	v_cmp_gt_i64_e64 s0, s[28:29], 0
	v_add_nc_u32_e32 v15, 0x200, v6
	v_add_nc_u64_e32 v[6:7], s[36:37], v[4:5]
	s_cselect_b32 s1, -1, 0
	s_lshl_b64 s[20:21], s[20:21], 4
	s_lshl_b64 s[6:7], s[6:7], 4
	;; [unrolled: 1-line block ×4, first 2 shown]
	v_add_nc_u64_e32 v[4:5], s[34:35], v[12:13]
	v_add_nc_u64_e32 v[8:9], v[18:19], v[2:3]
	v_lshlrev_b64_e32 v[6:7], 1, v[6:7]
	v_lshl_add_u64 v[2:3], v[10:11], 1, s[4:5]
	v_cndmask_b32_e64 v10, 0, 1, s0
	s_lshl_b64 s[4:5], s[26:27], 1
	v_lshl_add_u64 v[4:5], v[4:5], 1, s[18:19]
	v_lshl_add_u64 v[8:9], v[8:9], 1, s[12:13]
	s_delay_alu instid0(VALU_DEP_3)
	v_cmp_ne_u32_e64 s0, 1, v10
	s_lshl_b64 s[12:13], s[24:25], 4
	s_branch .LBB351_3
.LBB351_2:                              ;   in Loop: Header=BB351_3 Depth=1
	s_add_co_i32 s2, s2, 0x10000
	s_delay_alu instid0(SALU_CYCLE_1)
	s_cmp_lt_i32 s2, s31
	s_cbranch_scc0 .LBB351_11
.LBB351_3:                              ; =>This Loop Header: Depth=1
                                        ;     Child Loop BB351_5 Depth 2
	s_and_b32 vcc_lo, exec_lo, s0
	s_cbranch_vccnz .LBB351_6
; %bb.4:                                ;   in Loop: Header=BB351_3 Depth=1
	s_wait_xcnt 0x0
	v_mad_nc_u64_u32 v[10:11], s4, s2, v[4:5]
	v_mad_nc_u64_u32 v[12:13], s16, s2, v[8:9]
	v_dual_mov_b32 v18, 0 :: v_dual_mov_b32 v19, 0
	s_mov_b64 s[18:19], 0
	s_delay_alu instid0(VALU_DEP_3) | instskip(NEXT) | instid1(VALU_DEP_3)
	v_mad_u32 v11, s5, s2, v11
	v_mad_u32 v13, s17, s2, v13
.LBB351_5:                              ;   Parent Loop BB351_3 Depth=1
                                        ; =>  This Inner Loop Header: Depth=2
	global_load_u16 v20, v[12:13], off
	global_load_u16 v21, v[10:11], off
	s_add_nc_u64 s[18:19], s[18:19], 8
	s_wait_xcnt 0x0
	v_add_nc_u64_e32 v[10:11], s[12:13], v[10:11]
	v_cmp_lt_i64_e64 s24, s[18:19], s[28:29]
	v_add_nc_u64_e32 v[12:13], s[14:15], v[12:13]
	s_wait_loadcnt 0x1
	ds_store_b16 v14, v20
	s_wait_loadcnt 0x0
	ds_store_b16 v15, v21
	s_wait_dscnt 0x0
	s_barrier_signal -1
	s_barrier_wait -1
	ds_load_b128 v[20:23], v17
	ds_load_b128 v[24:27], v17 offset:256
	ds_load_u16 v28, v16
	ds_load_u16 v29, v16 offset:32
	ds_load_u16 v30, v16 offset:64
	;; [unrolled: 1-line block ×15, first 2 shown]
	s_and_b32 vcc_lo, exec_lo, s24
	s_wait_dscnt 0x0
	s_barrier_signal -1
	s_barrier_wait -1
	v_perm_b32 v28, v28, v29, 0x5040100
	v_perm_b32 v29, v30, v31, 0x5040100
	;; [unrolled: 1-line block ×3, first 2 shown]
	s_delay_alu instid0(VALU_DEP_3) | instskip(SKIP_3) | instid1(VALU_DEP_4)
	v_pk_fma_f16 v19, v28, v20, v19 op_sel_hi:[1,0,1]
	v_pk_fma_f16 v18, v28, v24, v18 op_sel_hi:[1,0,1]
	v_perm_b32 v31, v34, v35, 0x5040100
	v_perm_b32 v32, v36, v37, 0x5040100
	v_pk_fma_f16 v19, v29, v20, v19 op_sel:[0,1,0]
	s_delay_alu instid0(VALU_DEP_4)
	v_pk_fma_f16 v18, v29, v24, v18 op_sel:[0,1,0]
	v_perm_b32 v33, v38, v39, 0x5040100
	v_perm_b32 v34, v40, v41, 0x5040100
	v_perm_b32 v20, v42, v43, 0x5040100
	v_pk_fma_f16 v19, v30, v21, v19 op_sel_hi:[1,0,1]
	v_pk_fma_f16 v18, v30, v25, v18 op_sel_hi:[1,0,1]
	s_delay_alu instid0(VALU_DEP_2) | instskip(NEXT) | instid1(VALU_DEP_2)
	v_pk_fma_f16 v19, v31, v21, v19 op_sel:[0,1,0]
	v_pk_fma_f16 v18, v31, v25, v18 op_sel:[0,1,0]
	s_delay_alu instid0(VALU_DEP_2) | instskip(NEXT) | instid1(VALU_DEP_2)
	v_pk_fma_f16 v19, v32, v22, v19 op_sel_hi:[1,0,1]
	v_pk_fma_f16 v18, v32, v26, v18 op_sel_hi:[1,0,1]
	s_delay_alu instid0(VALU_DEP_2) | instskip(NEXT) | instid1(VALU_DEP_2)
	v_pk_fma_f16 v19, v33, v22, v19 op_sel:[0,1,0]
	v_pk_fma_f16 v18, v33, v26, v18 op_sel:[0,1,0]
	s_delay_alu instid0(VALU_DEP_2) | instskip(NEXT) | instid1(VALU_DEP_2)
	v_pk_fma_f16 v19, v34, v23, v19 op_sel_hi:[1,0,1]
	v_pk_fma_f16 v18, v34, v27, v18 op_sel_hi:[1,0,1]
	s_delay_alu instid0(VALU_DEP_2) | instskip(NEXT) | instid1(VALU_DEP_2)
	v_pk_fma_f16 v19, v20, v23, v19 op_sel:[0,1,0]
	v_pk_fma_f16 v18, v20, v27, v18 op_sel:[0,1,0]
	s_cbranch_vccnz .LBB351_5
	s_branch .LBB351_7
.LBB351_6:                              ;   in Loop: Header=BB351_3 Depth=1
	v_dual_mov_b32 v19, 0 :: v_dual_mov_b32 v18, 0
.LBB351_7:                              ;   in Loop: Header=BB351_3 Depth=1
	s_mul_u64 s[18:19], s[22:23], s[2:3]
	s_delay_alu instid0(VALU_DEP_1)
	v_dual_lshrrev_b32 v21, 16, v19 :: v_dual_lshrrev_b32 v20, 16, v18
	s_lshl_b64 s[18:19], s[18:19], 1
	s_and_not1_b32 vcc_lo, exec_lo, s1
	s_add_nc_u64 s[18:19], s[10:11], s[18:19]
	s_wait_xcnt 0x0
	v_lshl_add_u64 v[10:11], v[0:1], 1, s[18:19]
	s_delay_alu instid0(VALU_DEP_1)
	v_add_nc_u64_e32 v[12:13], v[10:11], v[6:7]
	v_lshl_add_u64 v[10:11], s[20:21], 1, v[10:11]
	s_cbranch_vccnz .LBB351_9
; %bb.8:                                ;   in Loop: Header=BB351_3 Depth=1
	s_delay_alu instid0(VALU_DEP_1)
	v_add_nc_u64_e32 v[22:23], v[10:11], v[6:7]
	v_mul_f16_e32 v24, s30, v21
	v_mul_f16_e32 v26, s30, v20
	;; [unrolled: 1-line block ×4, first 2 shown]
	s_clause 0x3
	global_store_b16 v[12:13], v24, off
	global_store_b16 v[12:13], v25, off offset:32
	global_store_b16 v[22:23], v26, off
	global_store_b16 v[22:23], v27, off offset:32
	s_cbranch_execnz .LBB351_2
	s_branch .LBB351_10
.LBB351_9:                              ;   in Loop: Header=BB351_3 Depth=1
.LBB351_10:                             ;   in Loop: Header=BB351_3 Depth=1
	s_mul_u64 s[18:19], s[8:9], s[2:3]
	s_delay_alu instid0(VALU_DEP_1) | instskip(SKIP_2) | instid1(VALU_DEP_1)
	v_add_nc_u64_e32 v[10:11], v[10:11], v[6:7]
	s_wait_xcnt 0x0
	v_lshl_add_u64 v[22:23], s[18:19], 1, v[2:3]
	v_add_nc_u64_e32 v[24:25], v[22:23], v[6:7]
	v_lshl_add_u64 v[22:23], s[6:7], 1, v[22:23]
	s_delay_alu instid0(VALU_DEP_1) | instskip(SKIP_3) | instid1(VALU_DEP_1)
	v_add_nc_u64_e32 v[22:23], v[22:23], v[6:7]
	global_load_u16 v26, v[24:25], off
	s_wait_loadcnt 0x0
	v_mul_f16_e32 v26, s33, v26
	v_fmac_f16_e32 v26, s30, v21
	global_store_b16 v[12:13], v26, off
	global_load_u16 v21, v[24:25], off offset:32
	s_wait_loadcnt 0x0
	v_mul_f16_e32 v21, s33, v21
	s_delay_alu instid0(VALU_DEP_1) | instskip(SKIP_4) | instid1(VALU_DEP_1)
	v_fmac_f16_e32 v21, s30, v19
	global_store_b16 v[12:13], v21, off offset:32
	global_load_u16 v12, v[22:23], off
	s_wait_loadcnt 0x0
	v_mul_f16_e32 v12, s33, v12
	v_fmac_f16_e32 v12, s30, v20
	global_store_b16 v[10:11], v12, off
	global_load_u16 v12, v[22:23], off offset:32
	s_wait_loadcnt 0x0
	v_mul_f16_e32 v12, s33, v12
	s_delay_alu instid0(VALU_DEP_1)
	v_fmac_f16_e32 v12, s30, v18
	global_store_b16 v[10:11], v12, off offset:32
	s_branch .LBB351_2
.LBB351_11:
	s_endpgm
	.section	.rodata,"a",@progbits
	.p2align	6, 0x0
	.amdhsa_kernel _ZN12_GLOBAL__N_127rocblas_gemm_batched_kernelIDF16_Li16ELi16ELi32ELi32ELi8ELi32ELi8ELi8ELi32ELc78ELc67EKDF16_S1_DF16_EEvlllT_PT11_llS4_llS2_PT12_llPT13_lli
		.amdhsa_group_segment_fixed_size 1024
		.amdhsa_private_segment_fixed_size 0
		.amdhsa_kernarg_size 140
		.amdhsa_user_sgpr_count 2
		.amdhsa_user_sgpr_dispatch_ptr 0
		.amdhsa_user_sgpr_queue_ptr 0
		.amdhsa_user_sgpr_kernarg_segment_ptr 1
		.amdhsa_user_sgpr_dispatch_id 0
		.amdhsa_user_sgpr_kernarg_preload_length 0
		.amdhsa_user_sgpr_kernarg_preload_offset 0
		.amdhsa_user_sgpr_private_segment_size 0
		.amdhsa_wavefront_size32 1
		.amdhsa_uses_dynamic_stack 0
		.amdhsa_enable_private_segment 0
		.amdhsa_system_sgpr_workgroup_id_x 1
		.amdhsa_system_sgpr_workgroup_id_y 1
		.amdhsa_system_sgpr_workgroup_id_z 1
		.amdhsa_system_sgpr_workgroup_info 0
		.amdhsa_system_vgpr_workitem_id 1
		.amdhsa_next_free_vgpr 44
		.amdhsa_next_free_sgpr 38
		.amdhsa_named_barrier_count 0
		.amdhsa_reserve_vcc 1
		.amdhsa_float_round_mode_32 0
		.amdhsa_float_round_mode_16_64 0
		.amdhsa_float_denorm_mode_32 3
		.amdhsa_float_denorm_mode_16_64 3
		.amdhsa_fp16_overflow 0
		.amdhsa_memory_ordered 1
		.amdhsa_forward_progress 1
		.amdhsa_inst_pref_size 12
		.amdhsa_round_robin_scheduling 0
		.amdhsa_exception_fp_ieee_invalid_op 0
		.amdhsa_exception_fp_denorm_src 0
		.amdhsa_exception_fp_ieee_div_zero 0
		.amdhsa_exception_fp_ieee_overflow 0
		.amdhsa_exception_fp_ieee_underflow 0
		.amdhsa_exception_fp_ieee_inexact 0
		.amdhsa_exception_int_div_zero 0
	.end_amdhsa_kernel
	.section	.text._ZN12_GLOBAL__N_127rocblas_gemm_batched_kernelIDF16_Li16ELi16ELi32ELi32ELi8ELi32ELi8ELi8ELi32ELc78ELc67EKDF16_S1_DF16_EEvlllT_PT11_llS4_llS2_PT12_llPT13_lli,"axG",@progbits,_ZN12_GLOBAL__N_127rocblas_gemm_batched_kernelIDF16_Li16ELi16ELi32ELi32ELi8ELi32ELi8ELi8ELi32ELc78ELc67EKDF16_S1_DF16_EEvlllT_PT11_llS4_llS2_PT12_llPT13_lli,comdat
.Lfunc_end351:
	.size	_ZN12_GLOBAL__N_127rocblas_gemm_batched_kernelIDF16_Li16ELi16ELi32ELi32ELi8ELi32ELi8ELi8ELi32ELc78ELc67EKDF16_S1_DF16_EEvlllT_PT11_llS4_llS2_PT12_llPT13_lli, .Lfunc_end351-_ZN12_GLOBAL__N_127rocblas_gemm_batched_kernelIDF16_Li16ELi16ELi32ELi32ELi8ELi32ELi8ELi8ELi32ELc78ELc67EKDF16_S1_DF16_EEvlllT_PT11_llS4_llS2_PT12_llPT13_lli
                                        ; -- End function
	.set _ZN12_GLOBAL__N_127rocblas_gemm_batched_kernelIDF16_Li16ELi16ELi32ELi32ELi8ELi32ELi8ELi8ELi32ELc78ELc67EKDF16_S1_DF16_EEvlllT_PT11_llS4_llS2_PT12_llPT13_lli.num_vgpr, 44
	.set _ZN12_GLOBAL__N_127rocblas_gemm_batched_kernelIDF16_Li16ELi16ELi32ELi32ELi8ELi32ELi8ELi8ELi32ELc78ELc67EKDF16_S1_DF16_EEvlllT_PT11_llS4_llS2_PT12_llPT13_lli.num_agpr, 0
	.set _ZN12_GLOBAL__N_127rocblas_gemm_batched_kernelIDF16_Li16ELi16ELi32ELi32ELi8ELi32ELi8ELi8ELi32ELc78ELc67EKDF16_S1_DF16_EEvlllT_PT11_llS4_llS2_PT12_llPT13_lli.numbered_sgpr, 38
	.set _ZN12_GLOBAL__N_127rocblas_gemm_batched_kernelIDF16_Li16ELi16ELi32ELi32ELi8ELi32ELi8ELi8ELi32ELc78ELc67EKDF16_S1_DF16_EEvlllT_PT11_llS4_llS2_PT12_llPT13_lli.num_named_barrier, 0
	.set _ZN12_GLOBAL__N_127rocblas_gemm_batched_kernelIDF16_Li16ELi16ELi32ELi32ELi8ELi32ELi8ELi8ELi32ELc78ELc67EKDF16_S1_DF16_EEvlllT_PT11_llS4_llS2_PT12_llPT13_lli.private_seg_size, 0
	.set _ZN12_GLOBAL__N_127rocblas_gemm_batched_kernelIDF16_Li16ELi16ELi32ELi32ELi8ELi32ELi8ELi8ELi32ELc78ELc67EKDF16_S1_DF16_EEvlllT_PT11_llS4_llS2_PT12_llPT13_lli.uses_vcc, 1
	.set _ZN12_GLOBAL__N_127rocblas_gemm_batched_kernelIDF16_Li16ELi16ELi32ELi32ELi8ELi32ELi8ELi8ELi32ELc78ELc67EKDF16_S1_DF16_EEvlllT_PT11_llS4_llS2_PT12_llPT13_lli.uses_flat_scratch, 0
	.set _ZN12_GLOBAL__N_127rocblas_gemm_batched_kernelIDF16_Li16ELi16ELi32ELi32ELi8ELi32ELi8ELi8ELi32ELc78ELc67EKDF16_S1_DF16_EEvlllT_PT11_llS4_llS2_PT12_llPT13_lli.has_dyn_sized_stack, 0
	.set _ZN12_GLOBAL__N_127rocblas_gemm_batched_kernelIDF16_Li16ELi16ELi32ELi32ELi8ELi32ELi8ELi8ELi32ELc78ELc67EKDF16_S1_DF16_EEvlllT_PT11_llS4_llS2_PT12_llPT13_lli.has_recursion, 0
	.set _ZN12_GLOBAL__N_127rocblas_gemm_batched_kernelIDF16_Li16ELi16ELi32ELi32ELi8ELi32ELi8ELi8ELi32ELc78ELc67EKDF16_S1_DF16_EEvlllT_PT11_llS4_llS2_PT12_llPT13_lli.has_indirect_call, 0
	.section	.AMDGPU.csdata,"",@progbits
; Kernel info:
; codeLenInByte = 1420
; TotalNumSgprs: 40
; NumVgprs: 44
; ScratchSize: 0
; MemoryBound: 0
; FloatMode: 240
; IeeeMode: 1
; LDSByteSize: 1024 bytes/workgroup (compile time only)
; SGPRBlocks: 0
; VGPRBlocks: 2
; NumSGPRsForWavesPerEU: 40
; NumVGPRsForWavesPerEU: 44
; NamedBarCnt: 0
; Occupancy: 16
; WaveLimiterHint : 0
; COMPUTE_PGM_RSRC2:SCRATCH_EN: 0
; COMPUTE_PGM_RSRC2:USER_SGPR: 2
; COMPUTE_PGM_RSRC2:TRAP_HANDLER: 0
; COMPUTE_PGM_RSRC2:TGID_X_EN: 1
; COMPUTE_PGM_RSRC2:TGID_Y_EN: 1
; COMPUTE_PGM_RSRC2:TGID_Z_EN: 1
; COMPUTE_PGM_RSRC2:TIDIG_COMP_CNT: 1
	.section	.text._ZN12_GLOBAL__N_127rocblas_gemm_batched_kernelIDF16_Li16ELi16ELi32ELi32ELi8ELi32ELi8ELi8ELi32ELc84ELc67EKDF16_S1_DF16_EEvlllT_PT11_llS4_llS2_PT12_llPT13_lli,"axG",@progbits,_ZN12_GLOBAL__N_127rocblas_gemm_batched_kernelIDF16_Li16ELi16ELi32ELi32ELi8ELi32ELi8ELi8ELi32ELc84ELc67EKDF16_S1_DF16_EEvlllT_PT11_llS4_llS2_PT12_llPT13_lli,comdat
	.globl	_ZN12_GLOBAL__N_127rocblas_gemm_batched_kernelIDF16_Li16ELi16ELi32ELi32ELi8ELi32ELi8ELi8ELi32ELc84ELc67EKDF16_S1_DF16_EEvlllT_PT11_llS4_llS2_PT12_llPT13_lli ; -- Begin function _ZN12_GLOBAL__N_127rocblas_gemm_batched_kernelIDF16_Li16ELi16ELi32ELi32ELi8ELi32ELi8ELi8ELi32ELc84ELc67EKDF16_S1_DF16_EEvlllT_PT11_llS4_llS2_PT12_llPT13_lli
	.p2align	8
	.type	_ZN12_GLOBAL__N_127rocblas_gemm_batched_kernelIDF16_Li16ELi16ELi32ELi32ELi8ELi32ELi8ELi8ELi32ELc84ELc67EKDF16_S1_DF16_EEvlllT_PT11_llS4_llS2_PT12_llPT13_lli,@function
_ZN12_GLOBAL__N_127rocblas_gemm_batched_kernelIDF16_Li16ELi16ELi32ELi32ELi8ELi32ELi8ELi8ELi32ELc84ELc67EKDF16_S1_DF16_EEvlllT_PT11_llS4_llS2_PT12_llPT13_lli: ; @_ZN12_GLOBAL__N_127rocblas_gemm_batched_kernelIDF16_Li16ELi16ELi32ELi32ELi8ELi32ELi8ELi8ELi32ELc84ELc67EKDF16_S1_DF16_EEvlllT_PT11_llS4_llS2_PT12_llPT13_lli
; %bb.0:
	s_load_b32 s31, s[0:1], 0x88
	s_bfe_u32 s2, ttmp6, 0x40014
	s_lshr_b32 s3, ttmp7, 16
	s_add_co_i32 s2, s2, 1
	s_bfe_u32 s4, ttmp6, 0x40008
	s_mul_i32 s2, s3, s2
	s_getreg_b32 s28, hwreg(HW_REG_IB_STS2, 6, 4)
	s_add_co_i32 s4, s4, s2
	s_cmp_eq_u32 s28, 0
	s_cselect_b32 s2, s3, s4
	s_mov_b32 s3, 0
	s_wait_kmcnt 0x0
	s_cmp_ge_i32 s2, s31
	s_cbranch_scc1 .LBB352_11
; %bb.1:
	s_bfe_u32 s29, ttmp6, 0x4000c
	s_bfe_u32 s33, ttmp6, 0x40010
	s_add_co_i32 s29, s29, 1
	s_and_b32 s34, ttmp7, 0xffff
	s_add_co_i32 s33, s33, 1
	v_bfe_u32 v2, v0, 10, 10
	s_and_b32 s30, ttmp6, 15
	s_mul_i32 s29, ttmp9, s29
	s_mul_i32 s33, s34, s33
	s_bfe_u32 s35, ttmp6, 0x40004
	s_add_co_i32 s30, s30, s29
	s_add_co_i32 s35, s35, s33
	s_cmp_eq_u32 s28, 0
	v_and_b32_e32 v4, 0x3ff, v0
	v_dual_lshlrev_b32 v15, 4, v2 :: v_dual_mov_b32 v3, 0
	s_cselect_b32 s28, ttmp9, s30
	s_clause 0x2
	s_load_b256 s[12:19], s[0:1], 0x20
	s_load_b128 s[24:27], s[0:1], 0x40
	s_load_b128 s[20:23], s[0:1], 0x78
	s_cselect_b32 s30, s34, s35
	s_ashr_i32 s29, s28, 31
	s_load_b256 s[4:11], s[0:1], 0x58
	s_lshl_b64 s[34:35], s[28:29], 5
	s_delay_alu instid0(SALU_CYCLE_1) | instskip(SKIP_3) | instid1(VALU_DEP_2)
	v_dual_mov_b32 v7, s35 :: v_dual_add_nc_u32 v18, v15, v4
	s_lshl_b32 s36, s30, 5
	s_mov_b32 s37, s3
	v_dual_mov_b32 v11, v3 :: v_dual_mov_b32 v5, v3
	v_and_b32_e32 v19, 31, v18
	v_add_nc_u64_e32 v[8:9], s[36:37], v[2:3]
	s_clause 0x1
	s_load_b32 s33, s[0:1], 0x50
	s_load_b96 s[28:30], s[0:1], 0x10
	v_lshlrev_b32_e32 v14, 1, v4
	v_add_nc_u32_e32 v15, 0x200, v15
	v_or_b32_e32 v6, s34, v19
	v_dual_lshrrev_b32 v10, 3, v18 :: v_dual_bitop2_b32 v2, 7, v0 bitop3:0x40
	v_dual_lshrrev_b32 v18, 5, v18 :: v_dual_lshlrev_b32 v19, 1, v19
	s_wait_kmcnt 0x0
	s_delay_alu instid0(VALU_DEP_3)
	v_mul_u64_e32 v[6:7], s[14:15], v[6:7]
	v_mul_u64_e32 v[0:1], s[20:21], v[8:9]
	;; [unrolled: 1-line block ×3, first 2 shown]
	v_mad_nc_u64_u32 v[16:17], s24, v2, v[10:11]
	v_lshlrev_b32_e32 v11, 1, v2
	v_add_nc_u64_e32 v[8:9], s[34:35], v[4:5]
	s_delay_alu instid0(VALU_DEP_2)
	v_lshl_or_b32 v20, v10, 4, v11
	s_cmp_eq_f16 s33, 0
	v_cmp_gt_i64_e64 s0, s[28:29], 0
	v_mad_u32 v17, s25, v2, v17
	v_lshlrev_b32_e32 v2, 1, v18
	s_cselect_b32 s1, -1, 0
	s_lshl_b64 s[14:15], s[20:21], 4
	s_lshl_b64 s[6:7], s[6:7], 4
	v_cndmask_b32_e64 v21, 0, 1, s0
	s_lshl_b64 s[16:17], s[16:17], 1
	s_delay_alu instid0(VALU_DEP_1) | instskip(NEXT) | instid1(VALU_DEP_4)
	v_cmp_ne_u32_e64 s0, 1, v21
	v_add_nc_u64_e32 v[10:11], s[36:37], v[16:17]
	v_lshl_or_b32 v16, v18, 6, v19
	v_add_nc_u32_e32 v17, 0x200, v20
	v_lshl_add_u64 v[4:5], v[6:7], 1, v[2:3]
	v_lshlrev_b64_e32 v[6:7], 1, v[8:9]
	v_lshl_add_u64 v[2:3], v[12:13], 1, s[4:5]
	v_lshl_add_u64 v[8:9], v[10:11], 1, s[18:19]
	s_lshl_b64 s[4:5], s[26:27], 1
	v_add_nc_u64_e32 v[4:5], s[12:13], v[4:5]
	s_lshl_b64 s[12:13], s[24:25], 4
	s_branch .LBB352_3
.LBB352_2:                              ;   in Loop: Header=BB352_3 Depth=1
	s_add_co_i32 s2, s2, 0x10000
	s_delay_alu instid0(SALU_CYCLE_1)
	s_cmp_lt_i32 s2, s31
	s_cbranch_scc0 .LBB352_11
.LBB352_3:                              ; =>This Loop Header: Depth=1
                                        ;     Child Loop BB352_5 Depth 2
	s_and_b32 vcc_lo, exec_lo, s0
	s_cbranch_vccnz .LBB352_6
; %bb.4:                                ;   in Loop: Header=BB352_3 Depth=1
	s_wait_xcnt 0x0
	v_mad_nc_u64_u32 v[10:11], s4, s2, v[8:9]
	v_mad_nc_u64_u32 v[12:13], s16, s2, v[4:5]
	v_dual_mov_b32 v18, 0 :: v_dual_mov_b32 v19, 0
	s_mov_b64 s[18:19], 0
	s_delay_alu instid0(VALU_DEP_3) | instskip(NEXT) | instid1(VALU_DEP_3)
	v_mad_u32 v11, s5, s2, v11
	v_mad_u32 v13, s17, s2, v13
.LBB352_5:                              ;   Parent Loop BB352_3 Depth=1
                                        ; =>  This Inner Loop Header: Depth=2
	global_load_u16 v20, v[12:13], off
	global_load_u16 v21, v[10:11], off
	s_add_nc_u64 s[18:19], s[18:19], 8
	s_wait_xcnt 0x0
	v_add_nc_u64_e32 v[10:11], s[12:13], v[10:11]
	v_cmp_lt_i64_e64 s20, s[18:19], s[28:29]
	v_add_nc_u64_e32 v[12:13], 16, v[12:13]
	s_wait_loadcnt 0x1
	ds_store_b16 v16, v20
	s_wait_loadcnt 0x0
	ds_store_b16 v17, v21
	s_wait_dscnt 0x0
	s_barrier_signal -1
	s_barrier_wait -1
	ds_load_b128 v[20:23], v15
	ds_load_b128 v[24:27], v15 offset:256
	ds_load_u16 v28, v14
	ds_load_u16 v29, v14 offset:32
	ds_load_u16 v30, v14 offset:64
	;; [unrolled: 1-line block ×15, first 2 shown]
	s_and_b32 vcc_lo, exec_lo, s20
	s_wait_dscnt 0x0
	s_barrier_signal -1
	s_barrier_wait -1
	v_perm_b32 v28, v28, v29, 0x5040100
	v_perm_b32 v29, v30, v31, 0x5040100
	;; [unrolled: 1-line block ×3, first 2 shown]
	s_delay_alu instid0(VALU_DEP_3) | instskip(SKIP_3) | instid1(VALU_DEP_4)
	v_pk_fma_f16 v19, v28, v20, v19 op_sel_hi:[1,0,1]
	v_pk_fma_f16 v18, v28, v24, v18 op_sel_hi:[1,0,1]
	v_perm_b32 v31, v34, v35, 0x5040100
	v_perm_b32 v32, v36, v37, 0x5040100
	v_pk_fma_f16 v19, v29, v20, v19 op_sel:[0,1,0]
	s_delay_alu instid0(VALU_DEP_4)
	v_pk_fma_f16 v18, v29, v24, v18 op_sel:[0,1,0]
	v_perm_b32 v33, v38, v39, 0x5040100
	v_perm_b32 v34, v40, v41, 0x5040100
	;; [unrolled: 1-line block ×3, first 2 shown]
	v_pk_fma_f16 v19, v30, v21, v19 op_sel_hi:[1,0,1]
	v_pk_fma_f16 v18, v30, v25, v18 op_sel_hi:[1,0,1]
	s_delay_alu instid0(VALU_DEP_2) | instskip(NEXT) | instid1(VALU_DEP_2)
	v_pk_fma_f16 v19, v31, v21, v19 op_sel:[0,1,0]
	v_pk_fma_f16 v18, v31, v25, v18 op_sel:[0,1,0]
	s_delay_alu instid0(VALU_DEP_2) | instskip(NEXT) | instid1(VALU_DEP_2)
	v_pk_fma_f16 v19, v32, v22, v19 op_sel_hi:[1,0,1]
	v_pk_fma_f16 v18, v32, v26, v18 op_sel_hi:[1,0,1]
	s_delay_alu instid0(VALU_DEP_2) | instskip(NEXT) | instid1(VALU_DEP_2)
	v_pk_fma_f16 v19, v33, v22, v19 op_sel:[0,1,0]
	v_pk_fma_f16 v18, v33, v26, v18 op_sel:[0,1,0]
	s_delay_alu instid0(VALU_DEP_2) | instskip(NEXT) | instid1(VALU_DEP_2)
	v_pk_fma_f16 v19, v34, v23, v19 op_sel_hi:[1,0,1]
	v_pk_fma_f16 v18, v34, v27, v18 op_sel_hi:[1,0,1]
	s_delay_alu instid0(VALU_DEP_2) | instskip(NEXT) | instid1(VALU_DEP_2)
	v_pk_fma_f16 v19, v20, v23, v19 op_sel:[0,1,0]
	v_pk_fma_f16 v18, v20, v27, v18 op_sel:[0,1,0]
	s_cbranch_vccnz .LBB352_5
	s_branch .LBB352_7
.LBB352_6:                              ;   in Loop: Header=BB352_3 Depth=1
	v_dual_mov_b32 v19, 0 :: v_dual_mov_b32 v18, 0
.LBB352_7:                              ;   in Loop: Header=BB352_3 Depth=1
	s_mul_u64 s[18:19], s[22:23], s[2:3]
	s_delay_alu instid0(VALU_DEP_1)
	v_dual_lshrrev_b32 v21, 16, v19 :: v_dual_lshrrev_b32 v20, 16, v18
	s_lshl_b64 s[18:19], s[18:19], 1
	s_and_not1_b32 vcc_lo, exec_lo, s1
	s_add_nc_u64 s[18:19], s[10:11], s[18:19]
	s_wait_xcnt 0x0
	v_lshl_add_u64 v[10:11], v[0:1], 1, s[18:19]
	s_delay_alu instid0(VALU_DEP_1)
	v_add_nc_u64_e32 v[12:13], v[10:11], v[6:7]
	v_lshl_add_u64 v[10:11], s[14:15], 1, v[10:11]
	s_cbranch_vccnz .LBB352_9
; %bb.8:                                ;   in Loop: Header=BB352_3 Depth=1
	s_delay_alu instid0(VALU_DEP_1)
	v_add_nc_u64_e32 v[22:23], v[10:11], v[6:7]
	v_mul_f16_e32 v24, s30, v21
	v_mul_f16_e32 v26, s30, v20
	;; [unrolled: 1-line block ×4, first 2 shown]
	s_clause 0x3
	global_store_b16 v[12:13], v24, off
	global_store_b16 v[12:13], v25, off offset:32
	global_store_b16 v[22:23], v26, off
	global_store_b16 v[22:23], v27, off offset:32
	s_cbranch_execnz .LBB352_2
	s_branch .LBB352_10
.LBB352_9:                              ;   in Loop: Header=BB352_3 Depth=1
.LBB352_10:                             ;   in Loop: Header=BB352_3 Depth=1
	s_mul_u64 s[18:19], s[8:9], s[2:3]
	s_delay_alu instid0(VALU_DEP_1) | instskip(SKIP_2) | instid1(VALU_DEP_1)
	v_add_nc_u64_e32 v[10:11], v[10:11], v[6:7]
	s_wait_xcnt 0x0
	v_lshl_add_u64 v[22:23], s[18:19], 1, v[2:3]
	v_add_nc_u64_e32 v[24:25], v[22:23], v[6:7]
	v_lshl_add_u64 v[22:23], s[6:7], 1, v[22:23]
	s_delay_alu instid0(VALU_DEP_1) | instskip(SKIP_3) | instid1(VALU_DEP_1)
	v_add_nc_u64_e32 v[22:23], v[22:23], v[6:7]
	global_load_u16 v26, v[24:25], off
	s_wait_loadcnt 0x0
	v_mul_f16_e32 v26, s33, v26
	v_fmac_f16_e32 v26, s30, v21
	global_store_b16 v[12:13], v26, off
	global_load_u16 v21, v[24:25], off offset:32
	s_wait_loadcnt 0x0
	v_mul_f16_e32 v21, s33, v21
	s_delay_alu instid0(VALU_DEP_1) | instskip(SKIP_4) | instid1(VALU_DEP_1)
	v_fmac_f16_e32 v21, s30, v19
	global_store_b16 v[12:13], v21, off offset:32
	global_load_u16 v12, v[22:23], off
	s_wait_loadcnt 0x0
	v_mul_f16_e32 v12, s33, v12
	v_fmac_f16_e32 v12, s30, v20
	global_store_b16 v[10:11], v12, off
	global_load_u16 v12, v[22:23], off offset:32
	s_wait_loadcnt 0x0
	v_mul_f16_e32 v12, s33, v12
	s_delay_alu instid0(VALU_DEP_1)
	v_fmac_f16_e32 v12, s30, v18
	global_store_b16 v[10:11], v12, off offset:32
	s_branch .LBB352_2
.LBB352_11:
	s_endpgm
	.section	.rodata,"a",@progbits
	.p2align	6, 0x0
	.amdhsa_kernel _ZN12_GLOBAL__N_127rocblas_gemm_batched_kernelIDF16_Li16ELi16ELi32ELi32ELi8ELi32ELi8ELi8ELi32ELc84ELc67EKDF16_S1_DF16_EEvlllT_PT11_llS4_llS2_PT12_llPT13_lli
		.amdhsa_group_segment_fixed_size 1024
		.amdhsa_private_segment_fixed_size 0
		.amdhsa_kernarg_size 140
		.amdhsa_user_sgpr_count 2
		.amdhsa_user_sgpr_dispatch_ptr 0
		.amdhsa_user_sgpr_queue_ptr 0
		.amdhsa_user_sgpr_kernarg_segment_ptr 1
		.amdhsa_user_sgpr_dispatch_id 0
		.amdhsa_user_sgpr_kernarg_preload_length 0
		.amdhsa_user_sgpr_kernarg_preload_offset 0
		.amdhsa_user_sgpr_private_segment_size 0
		.amdhsa_wavefront_size32 1
		.amdhsa_uses_dynamic_stack 0
		.amdhsa_enable_private_segment 0
		.amdhsa_system_sgpr_workgroup_id_x 1
		.amdhsa_system_sgpr_workgroup_id_y 1
		.amdhsa_system_sgpr_workgroup_id_z 1
		.amdhsa_system_sgpr_workgroup_info 0
		.amdhsa_system_vgpr_workitem_id 1
		.amdhsa_next_free_vgpr 44
		.amdhsa_next_free_sgpr 38
		.amdhsa_named_barrier_count 0
		.amdhsa_reserve_vcc 1
		.amdhsa_float_round_mode_32 0
		.amdhsa_float_round_mode_16_64 0
		.amdhsa_float_denorm_mode_32 3
		.amdhsa_float_denorm_mode_16_64 3
		.amdhsa_fp16_overflow 0
		.amdhsa_memory_ordered 1
		.amdhsa_forward_progress 1
		.amdhsa_inst_pref_size 12
		.amdhsa_round_robin_scheduling 0
		.amdhsa_exception_fp_ieee_invalid_op 0
		.amdhsa_exception_fp_denorm_src 0
		.amdhsa_exception_fp_ieee_div_zero 0
		.amdhsa_exception_fp_ieee_overflow 0
		.amdhsa_exception_fp_ieee_underflow 0
		.amdhsa_exception_fp_ieee_inexact 0
		.amdhsa_exception_int_div_zero 0
	.end_amdhsa_kernel
	.section	.text._ZN12_GLOBAL__N_127rocblas_gemm_batched_kernelIDF16_Li16ELi16ELi32ELi32ELi8ELi32ELi8ELi8ELi32ELc84ELc67EKDF16_S1_DF16_EEvlllT_PT11_llS4_llS2_PT12_llPT13_lli,"axG",@progbits,_ZN12_GLOBAL__N_127rocblas_gemm_batched_kernelIDF16_Li16ELi16ELi32ELi32ELi8ELi32ELi8ELi8ELi32ELc84ELc67EKDF16_S1_DF16_EEvlllT_PT11_llS4_llS2_PT12_llPT13_lli,comdat
.Lfunc_end352:
	.size	_ZN12_GLOBAL__N_127rocblas_gemm_batched_kernelIDF16_Li16ELi16ELi32ELi32ELi8ELi32ELi8ELi8ELi32ELc84ELc67EKDF16_S1_DF16_EEvlllT_PT11_llS4_llS2_PT12_llPT13_lli, .Lfunc_end352-_ZN12_GLOBAL__N_127rocblas_gemm_batched_kernelIDF16_Li16ELi16ELi32ELi32ELi8ELi32ELi8ELi8ELi32ELc84ELc67EKDF16_S1_DF16_EEvlllT_PT11_llS4_llS2_PT12_llPT13_lli
                                        ; -- End function
	.set _ZN12_GLOBAL__N_127rocblas_gemm_batched_kernelIDF16_Li16ELi16ELi32ELi32ELi8ELi32ELi8ELi8ELi32ELc84ELc67EKDF16_S1_DF16_EEvlllT_PT11_llS4_llS2_PT12_llPT13_lli.num_vgpr, 44
	.set _ZN12_GLOBAL__N_127rocblas_gemm_batched_kernelIDF16_Li16ELi16ELi32ELi32ELi8ELi32ELi8ELi8ELi32ELc84ELc67EKDF16_S1_DF16_EEvlllT_PT11_llS4_llS2_PT12_llPT13_lli.num_agpr, 0
	.set _ZN12_GLOBAL__N_127rocblas_gemm_batched_kernelIDF16_Li16ELi16ELi32ELi32ELi8ELi32ELi8ELi8ELi32ELc84ELc67EKDF16_S1_DF16_EEvlllT_PT11_llS4_llS2_PT12_llPT13_lli.numbered_sgpr, 38
	.set _ZN12_GLOBAL__N_127rocblas_gemm_batched_kernelIDF16_Li16ELi16ELi32ELi32ELi8ELi32ELi8ELi8ELi32ELc84ELc67EKDF16_S1_DF16_EEvlllT_PT11_llS4_llS2_PT12_llPT13_lli.num_named_barrier, 0
	.set _ZN12_GLOBAL__N_127rocblas_gemm_batched_kernelIDF16_Li16ELi16ELi32ELi32ELi8ELi32ELi8ELi8ELi32ELc84ELc67EKDF16_S1_DF16_EEvlllT_PT11_llS4_llS2_PT12_llPT13_lli.private_seg_size, 0
	.set _ZN12_GLOBAL__N_127rocblas_gemm_batched_kernelIDF16_Li16ELi16ELi32ELi32ELi8ELi32ELi8ELi8ELi32ELc84ELc67EKDF16_S1_DF16_EEvlllT_PT11_llS4_llS2_PT12_llPT13_lli.uses_vcc, 1
	.set _ZN12_GLOBAL__N_127rocblas_gemm_batched_kernelIDF16_Li16ELi16ELi32ELi32ELi8ELi32ELi8ELi8ELi32ELc84ELc67EKDF16_S1_DF16_EEvlllT_PT11_llS4_llS2_PT12_llPT13_lli.uses_flat_scratch, 0
	.set _ZN12_GLOBAL__N_127rocblas_gemm_batched_kernelIDF16_Li16ELi16ELi32ELi32ELi8ELi32ELi8ELi8ELi32ELc84ELc67EKDF16_S1_DF16_EEvlllT_PT11_llS4_llS2_PT12_llPT13_lli.has_dyn_sized_stack, 0
	.set _ZN12_GLOBAL__N_127rocblas_gemm_batched_kernelIDF16_Li16ELi16ELi32ELi32ELi8ELi32ELi8ELi8ELi32ELc84ELc67EKDF16_S1_DF16_EEvlllT_PT11_llS4_llS2_PT12_llPT13_lli.has_recursion, 0
	.set _ZN12_GLOBAL__N_127rocblas_gemm_batched_kernelIDF16_Li16ELi16ELi32ELi32ELi8ELi32ELi8ELi8ELi32ELc84ELc67EKDF16_S1_DF16_EEvlllT_PT11_llS4_llS2_PT12_llPT13_lli.has_indirect_call, 0
	.section	.AMDGPU.csdata,"",@progbits
; Kernel info:
; codeLenInByte = 1428
; TotalNumSgprs: 40
; NumVgprs: 44
; ScratchSize: 0
; MemoryBound: 0
; FloatMode: 240
; IeeeMode: 1
; LDSByteSize: 1024 bytes/workgroup (compile time only)
; SGPRBlocks: 0
; VGPRBlocks: 2
; NumSGPRsForWavesPerEU: 40
; NumVGPRsForWavesPerEU: 44
; NamedBarCnt: 0
; Occupancy: 16
; WaveLimiterHint : 0
; COMPUTE_PGM_RSRC2:SCRATCH_EN: 0
; COMPUTE_PGM_RSRC2:USER_SGPR: 2
; COMPUTE_PGM_RSRC2:TRAP_HANDLER: 0
; COMPUTE_PGM_RSRC2:TGID_X_EN: 1
; COMPUTE_PGM_RSRC2:TGID_Y_EN: 1
; COMPUTE_PGM_RSRC2:TGID_Z_EN: 1
; COMPUTE_PGM_RSRC2:TIDIG_COMP_CNT: 1
	.section	.text._ZN12_GLOBAL__N_135rocblas_gemm_batched_general_kernelIDF16_Li16ELi16ELi32ELi32ELi8ELi32ELi8ELi8ELi32ELc78ELc78EKDF16_S1_DF16_EEvlllT_PT11_llS4_llS2_PT12_llPT13_lli,"axG",@progbits,_ZN12_GLOBAL__N_135rocblas_gemm_batched_general_kernelIDF16_Li16ELi16ELi32ELi32ELi8ELi32ELi8ELi8ELi32ELc78ELc78EKDF16_S1_DF16_EEvlllT_PT11_llS4_llS2_PT12_llPT13_lli,comdat
	.globl	_ZN12_GLOBAL__N_135rocblas_gemm_batched_general_kernelIDF16_Li16ELi16ELi32ELi32ELi8ELi32ELi8ELi8ELi32ELc78ELc78EKDF16_S1_DF16_EEvlllT_PT11_llS4_llS2_PT12_llPT13_lli ; -- Begin function _ZN12_GLOBAL__N_135rocblas_gemm_batched_general_kernelIDF16_Li16ELi16ELi32ELi32ELi8ELi32ELi8ELi8ELi32ELc78ELc78EKDF16_S1_DF16_EEvlllT_PT11_llS4_llS2_PT12_llPT13_lli
	.p2align	8
	.type	_ZN12_GLOBAL__N_135rocblas_gemm_batched_general_kernelIDF16_Li16ELi16ELi32ELi32ELi8ELi32ELi8ELi8ELi32ELc78ELc78EKDF16_S1_DF16_EEvlllT_PT11_llS4_llS2_PT12_llPT13_lli,@function
_ZN12_GLOBAL__N_135rocblas_gemm_batched_general_kernelIDF16_Li16ELi16ELi32ELi32ELi8ELi32ELi8ELi8ELi32ELc78ELc78EKDF16_S1_DF16_EEvlllT_PT11_llS4_llS2_PT12_llPT13_lli: ; @_ZN12_GLOBAL__N_135rocblas_gemm_batched_general_kernelIDF16_Li16ELi16ELi32ELi32ELi8ELi32ELi8ELi8ELi32ELc78ELc78EKDF16_S1_DF16_EEvlllT_PT11_llS4_llS2_PT12_llPT13_lli
; %bb.0:
	s_load_b32 s33, s[0:1], 0x88
	s_bfe_u32 s2, ttmp6, 0x40014
	s_lshr_b32 s3, ttmp7, 16
	s_add_co_i32 s2, s2, 1
	s_bfe_u32 s5, ttmp6, 0x40008
	s_mul_i32 s4, s3, s2
	s_getreg_b32 s2, hwreg(HW_REG_IB_STS2, 6, 4)
	s_add_co_i32 s5, s5, s4
	s_cmp_eq_u32 s2, 0
	s_mov_b32 s35, 0
	s_cselect_b32 s34, s3, s5
	s_wait_kmcnt 0x0
	s_cmp_ge_i32 s34, s33
	s_cbranch_scc1 .LBB353_35
; %bb.1:
	v_bfe_u32 v8, v0, 10, 10
	s_clause 0x1
	s_load_b128 s[28:31], s[0:1], 0x0
	s_load_b256 s[16:23], s[0:1], 0x20
	v_and_b32_e32 v10, 0x3ff, v0
	s_bfe_u32 s24, ttmp6, 0x4000c
	s_bfe_u32 s25, ttmp6, 0x40010
	v_dual_lshlrev_b32 v23, 4, v8 :: v_dual_mov_b32 v9, 0
	s_clause 0x1
	s_load_b128 s[4:7], s[0:1], 0x40
	s_load_b256 s[8:15], s[0:1], 0x58
	s_add_co_i32 s24, s24, 1
	s_and_b32 s26, ttmp7, 0xffff
	s_add_co_i32 s25, s25, 1
	v_dual_add_nc_u32 v1, v23, v10 :: v_dual_mov_b32 v3, v9
	s_and_b32 s3, ttmp6, 15
	s_mul_i32 s24, ttmp9, s24
	s_mul_i32 s25, s26, s25
	s_bfe_u32 s27, ttmp6, 0x40004
	s_add_co_i32 s3, s3, s24
	s_add_co_i32 s27, s27, s25
	s_cmp_eq_u32 s2, 0
	v_dual_lshrrev_b32 v2, 5, v1 :: v_dual_lshrrev_b32 v4, 3, v1
	v_dual_mov_b32 v5, v9 :: v_dual_bitop2_b32 v1, 31, v1 bitop3:0x40
	s_cselect_b32 s24, s26, s27
	s_cselect_b32 s2, ttmp9, s3
	s_lshl_b32 s36, s24, 5
	s_mov_b32 s37, s35
	s_load_b128 s[24:27], s[0:1], 0x78
	v_add_nc_u64_e32 v[12:13], s[36:37], v[4:5]
	s_wait_kmcnt 0x0
	v_mul_u64_e32 v[14:15], s[18:19], v[2:3]
	s_load_b32 s39, s[0:1], 0x50
	v_add_nc_u64_e32 v[16:17], s[36:37], v[8:9]
	s_ashr_i32 s3, s2, 31
	v_dual_mov_b32 v11, v9 :: v_dual_lshlrev_b32 v22, 1, v1
	v_mul_u64_e32 v[18:19], s[4:5], v[12:13]
	s_lshl_b64 s[4:5], s[2:3], 5
	s_delay_alu instid0(SALU_CYCLE_1) | instskip(NEXT) | instid1(VALU_DEP_4)
	v_dual_mov_b32 v7, s5 :: v_dual_bitop2_b32 v0, 7, v0 bitop3:0x40
	v_mul_u64_e32 v[20:21], s[10:11], v[16:17]
	v_or_b32_e32 v6, s4, v1
	s_load_b96 s[36:38], s[0:1], 0x10
	s_delay_alu instid0(VALU_DEP_3)
	v_dual_mov_b32 v1, v9 :: v_dual_lshlrev_b32 v8, 1, v0
	v_lshlrev_b32_e32 v26, 1, v10
	s_wait_xcnt 0x0
	v_cmp_gt_i64_e64 s0, s[28:29], v[6:7]
	v_add_nc_u64_e32 v[6:7], s[4:5], v[10:11]
	v_lshl_or_b32 v25, v4, 4, v8
	v_mul_u64_e32 v[4:5], s[24:25], v[16:17]
	v_add_nc_u32_e32 v27, 0x200, v23
	s_wait_kmcnt 0x0
	s_cmp_eq_f16 s39, 0
	v_mov_b32_e32 v23, v9
	v_cmp_gt_i64_e64 s1, s[30:31], v[12:13]
	v_add_nc_u64_e32 v[10:11], 16, v[6:7]
	s_cselect_b32 s40, -1, 0
	s_lshl_b64 s[2:3], s[2:3], 6
	v_add_nc_u64_e32 v[12:13], 16, v[16:17]
	v_lshl_or_b32 v24, v2, 6, v22
	v_add_nc_u32_e32 v25, 0x200, v25
	s_lshl_b64 s[24:25], s[24:25], 4
	v_cmp_gt_i64_e64 s4, s[28:29], v[10:11]
	v_lshl_add_u64 v[14:15], v[14:15], 1, s[2:3]
	v_cmp_gt_i64_e64 s2, s[30:31], v[16:17]
	v_cmp_gt_i64_e64 s3, s[28:29], v[6:7]
	;; [unrolled: 1-line block ×3, first 2 shown]
	s_lshl_b64 s[10:11], s[10:11], 4
	v_add_nc_u64_e32 v[14:15], v[14:15], v[22:23]
	v_lshl_add_u64 v[10:11], v[18:19], 1, v[8:9]
	s_lshl_b64 s[6:7], s[6:7], 1
	v_lshl_add_u64 v[8:9], v[20:21], 1, s[8:9]
	s_delay_alu instid0(VALU_DEP_2) | instskip(NEXT) | instid1(VALU_DEP_4)
	v_add_nc_u64_e32 v[10:11], s[22:23], v[10:11]
	v_add_nc_u64_e32 v[12:13], s[16:17], v[14:15]
	v_cmp_gt_i64_e64 s22, s[36:37], 0
	s_lshl_b64 s[8:9], s[20:21], 1
	s_lshl_b64 s[16:17], s[18:19], 4
	s_branch .LBB353_4
.LBB353_2:                              ;   in Loop: Header=BB353_4 Depth=1
	s_wait_xcnt 0x0
	s_or_b32 exec_lo, exec_lo, s20
.LBB353_3:                              ;   in Loop: Header=BB353_4 Depth=1
	s_add_co_i32 s34, s34, 0x10000
	s_delay_alu instid0(SALU_CYCLE_1)
	s_cmp_lt_i32 s34, s33
	s_cbranch_scc0 .LBB353_35
.LBB353_4:                              ; =>This Loop Header: Depth=1
                                        ;     Child Loop BB353_7 Depth 2
	s_and_not1_b32 vcc_lo, exec_lo, s22
	s_cbranch_vccnz .LBB353_11
; %bb.5:                                ;   in Loop: Header=BB353_4 Depth=1
	v_mad_nc_u64_u32 v[14:15], s6, s34, v[10:11]
	v_mad_nc_u64_u32 v[16:17], s8, s34, v[12:13]
	v_dual_mov_b32 v29, 0 :: v_dual_mov_b32 v28, 0
	s_mov_b64 s[18:19], 0
	s_delay_alu instid0(VALU_DEP_3) | instskip(NEXT) | instid1(VALU_DEP_3)
	v_mad_u32 v15, s7, s34, v15
	v_mad_u32 v17, s9, s34, v17
	s_branch .LBB353_7
.LBB353_6:                              ;   in Loop: Header=BB353_7 Depth=2
	s_wait_xcnt 0x0
	s_or_b32 exec_lo, exec_lo, s20
	s_wait_loadcnt 0x0
	ds_store_b16 v25, v19
	s_wait_dscnt 0x0
	s_barrier_signal -1
	s_barrier_wait -1
	ds_load_u16 v22, v26
	ds_load_u16 v23, v26 offset:32
	ds_load_u16 v34, v26 offset:64
	;; [unrolled: 1-line block ×3, first 2 shown]
	ds_load_b128 v[18:21], v27
	ds_load_b128 v[30:33], v27 offset:256
	ds_load_u16 v36, v26 offset:128
	ds_load_u16 v37, v26 offset:160
	;; [unrolled: 1-line block ×6, first 2 shown]
	s_add_nc_u64 s[18:19], s[18:19], 8
	v_add_nc_u64_e32 v[14:15], 16, v[14:15]
	v_cmp_lt_i64_e64 s20, s[18:19], s[36:37]
	v_add_nc_u64_e32 v[16:17], s[16:17], v[16:17]
	s_wait_dscnt 0xa
	v_perm_b32 v22, v23, v22, 0x5040100
	ds_load_u16 v23, v26 offset:320
	ds_load_u16 v42, v26 offset:352
	s_wait_dscnt 0xa
	v_perm_b32 v34, v35, v34, 0x5040100
	s_and_b32 vcc_lo, exec_lo, s20
	s_wait_dscnt 0x9
	v_pk_fma_f16 v29, v22, v18, v29 op_sel_hi:[1,0,1]
	s_wait_dscnt 0x8
	v_pk_fma_f16 v22, v22, v30, v28 op_sel_hi:[1,0,1]
	ds_load_u16 v28, v26 offset:384
	ds_load_u16 v35, v26 offset:416
	s_wait_dscnt 0x8
	v_perm_b32 v36, v37, v36, 0x5040100
	v_pk_fma_f16 v18, v34, v18, v29 op_sel:[0,1,0]
	v_pk_fma_f16 v22, v34, v30, v22 op_sel:[0,1,0]
	ds_load_u16 v29, v26 offset:448
	ds_load_u16 v30, v26 offset:480
	s_wait_dscnt 0x8
	v_perm_b32 v34, v39, v38, 0x5040100
	s_wait_dscnt 0x0
	v_pk_fma_f16 v18, v36, v19, v18 op_sel_hi:[1,0,1]
	v_pk_fma_f16 v22, v36, v31, v22 op_sel_hi:[1,0,1]
	v_perm_b32 v36, v41, v40, 0x5040100
	s_barrier_signal -1
	s_barrier_wait -1
	v_pk_fma_f16 v18, v34, v19, v18 op_sel:[0,1,0]
	v_pk_fma_f16 v19, v34, v31, v22 op_sel:[0,1,0]
	v_perm_b32 v22, v42, v23, 0x5040100
	s_delay_alu instid0(VALU_DEP_3) | instskip(NEXT) | instid1(VALU_DEP_3)
	v_pk_fma_f16 v18, v36, v20, v18 op_sel_hi:[1,0,1]
	v_pk_fma_f16 v19, v36, v32, v19 op_sel_hi:[1,0,1]
	v_perm_b32 v23, v35, v28, 0x5040100
	s_delay_alu instid0(VALU_DEP_3) | instskip(NEXT) | instid1(VALU_DEP_3)
	v_pk_fma_f16 v18, v22, v20, v18 op_sel:[0,1,0]
	v_pk_fma_f16 v19, v22, v32, v19 op_sel:[0,1,0]
	v_perm_b32 v20, v30, v29, 0x5040100
	s_delay_alu instid0(VALU_DEP_3) | instskip(NEXT) | instid1(VALU_DEP_3)
	v_pk_fma_f16 v18, v23, v21, v18 op_sel_hi:[1,0,1]
	v_pk_fma_f16 v19, v23, v33, v19 op_sel_hi:[1,0,1]
	s_delay_alu instid0(VALU_DEP_2) | instskip(NEXT) | instid1(VALU_DEP_2)
	v_pk_fma_f16 v29, v20, v21, v18 op_sel:[0,1,0]
	v_pk_fma_f16 v28, v20, v33, v19 op_sel:[0,1,0]
	s_cbranch_vccz .LBB353_12
.LBB353_7:                              ;   Parent Loop BB353_4 Depth=1
                                        ; =>  This Inner Loop Header: Depth=2
	v_add_nc_u64_e32 v[18:19], s[18:19], v[2:3]
	s_delay_alu instid0(VALU_DEP_1) | instskip(SKIP_2) | instid1(SALU_CYCLE_1)
	v_cmp_gt_i64_e32 vcc_lo, s[36:37], v[18:19]
	v_mov_b32_e32 v18, 0
	s_and_b32 s21, s0, vcc_lo
	s_and_saveexec_b32 s20, s21
	s_cbranch_execz .LBB353_9
; %bb.8:                                ;   in Loop: Header=BB353_7 Depth=2
	global_load_u16 v18, v[16:17], off
.LBB353_9:                              ;   in Loop: Header=BB353_7 Depth=2
	s_wait_xcnt 0x0
	s_or_b32 exec_lo, exec_lo, s20
	v_add_nc_u64_e32 v[20:21], s[18:19], v[0:1]
	v_mov_b32_e32 v19, 0
	s_wait_loadcnt 0x0
	ds_store_b16 v24, v18
	v_cmp_gt_i64_e32 vcc_lo, s[36:37], v[20:21]
	s_and_b32 s21, vcc_lo, s1
	s_delay_alu instid0(SALU_CYCLE_1)
	s_and_saveexec_b32 s20, s21
	s_cbranch_execz .LBB353_6
; %bb.10:                               ;   in Loop: Header=BB353_7 Depth=2
	global_load_u16 v19, v[14:15], off
	s_branch .LBB353_6
.LBB353_11:                             ;   in Loop: Header=BB353_4 Depth=1
	v_dual_mov_b32 v28, 0 :: v_dual_mov_b32 v29, 0
.LBB353_12:                             ;   in Loop: Header=BB353_4 Depth=1
	s_mul_u64 s[18:19], s[26:27], s[34:35]
	s_and_not1_b32 vcc_lo, exec_lo, s40
	s_lshl_b64 s[18:19], s[18:19], 1
	s_delay_alu instid0(SALU_CYCLE_1)
	s_add_nc_u64 s[18:19], s[14:15], s[18:19]
	s_cbranch_vccnz .LBB353_17
; %bb.13:                               ;   in Loop: Header=BB353_4 Depth=1
	s_and_saveexec_b32 s20, s2
	s_cbranch_execz .LBB353_24
; %bb.14:                               ;   in Loop: Header=BB353_4 Depth=1
	v_lshl_add_u64 v[14:15], v[4:5], 1, s[18:19]
	s_delay_alu instid0(VALU_DEP_1)
	v_lshl_add_u64 v[16:17], v[6:7], 1, v[14:15]
	s_and_saveexec_b32 s21, s3
	s_cbranch_execnz .LBB353_18
; %bb.15:                               ;   in Loop: Header=BB353_4 Depth=1
	s_or_b32 exec_lo, exec_lo, s21
	s_and_saveexec_b32 s21, s4
	s_cbranch_execnz .LBB353_19
.LBB353_16:                             ;   in Loop: Header=BB353_4 Depth=1
	s_or_b32 exec_lo, exec_lo, s21
	s_delay_alu instid0(SALU_CYCLE_1)
	s_and_b32 exec_lo, exec_lo, s5
	s_cbranch_execnz .LBB353_20
	s_branch .LBB353_24
.LBB353_17:                             ;   in Loop: Header=BB353_4 Depth=1
	s_branch .LBB353_25
.LBB353_18:                             ;   in Loop: Header=BB353_4 Depth=1
	v_mul_f16_e32 v18, s38, v29
	global_store_b16 v[16:17], v18, off
	s_wait_xcnt 0x0
	s_or_b32 exec_lo, exec_lo, s21
	s_and_saveexec_b32 s21, s4
	s_cbranch_execz .LBB353_16
.LBB353_19:                             ;   in Loop: Header=BB353_4 Depth=1
	v_lshrrev_b32_e32 v18, 16, v29
	s_delay_alu instid0(VALU_DEP_1) | instskip(SKIP_3) | instid1(SALU_CYCLE_1)
	v_mul_f16_e32 v18, s38, v18
	global_store_b16 v[16:17], v18, off offset:32
	s_wait_xcnt 0x0
	s_or_b32 exec_lo, exec_lo, s21
	s_and_b32 exec_lo, exec_lo, s5
	s_cbranch_execz .LBB353_24
.LBB353_20:                             ;   in Loop: Header=BB353_4 Depth=1
	v_lshl_add_u64 v[14:15], s[24:25], 1, v[14:15]
	s_delay_alu instid0(VALU_DEP_1)
	v_lshl_add_u64 v[14:15], v[6:7], 1, v[14:15]
	s_and_saveexec_b32 s21, s3
	s_cbranch_execz .LBB353_22
; %bb.21:                               ;   in Loop: Header=BB353_4 Depth=1
	v_mul_f16_e32 v16, s38, v28
	global_store_b16 v[14:15], v16, off
.LBB353_22:                             ;   in Loop: Header=BB353_4 Depth=1
	s_wait_xcnt 0x0
	s_or_b32 exec_lo, exec_lo, s21
	s_delay_alu instid0(SALU_CYCLE_1)
	s_and_b32 exec_lo, exec_lo, s4
	s_cbranch_execz .LBB353_24
; %bb.23:                               ;   in Loop: Header=BB353_4 Depth=1
	v_lshrrev_b32_e32 v16, 16, v28
	s_delay_alu instid0(VALU_DEP_1)
	v_mul_f16_e32 v16, s38, v16
	global_store_b16 v[14:15], v16, off offset:32
.LBB353_24:                             ;   in Loop: Header=BB353_4 Depth=1
	s_wait_xcnt 0x0
	s_or_b32 exec_lo, exec_lo, s20
	s_cbranch_execnz .LBB353_3
.LBB353_25:                             ;   in Loop: Header=BB353_4 Depth=1
	s_and_saveexec_b32 s20, s2
	s_cbranch_execz .LBB353_2
; %bb.26:                               ;   in Loop: Header=BB353_4 Depth=1
	s_mul_u64 s[28:29], s[12:13], s[34:35]
	v_lshlrev_b64_e32 v[14:15], 1, v[6:7]
	v_lshl_add_u64 v[16:17], s[28:29], 1, v[8:9]
	v_lshl_add_u64 v[18:19], v[4:5], 1, s[18:19]
	s_delay_alu instid0(VALU_DEP_2) | instskip(NEXT) | instid1(VALU_DEP_2)
	v_add_nc_u64_e32 v[22:23], v[16:17], v[14:15]
	v_add_nc_u64_e32 v[20:21], v[18:19], v[14:15]
	s_and_saveexec_b32 s18, s3
	s_cbranch_execnz .LBB353_29
; %bb.27:                               ;   in Loop: Header=BB353_4 Depth=1
	s_or_b32 exec_lo, exec_lo, s18
	s_and_saveexec_b32 s18, s4
	s_cbranch_execnz .LBB353_30
.LBB353_28:                             ;   in Loop: Header=BB353_4 Depth=1
	s_or_b32 exec_lo, exec_lo, s18
	s_delay_alu instid0(SALU_CYCLE_1)
	s_and_b32 exec_lo, exec_lo, s5
	s_cbranch_execz .LBB353_2
	s_branch .LBB353_31
.LBB353_29:                             ;   in Loop: Header=BB353_4 Depth=1
	global_load_u16 v30, v[22:23], off
	s_wait_loadcnt 0x0
	v_mul_f16_e32 v30, s39, v30
	s_delay_alu instid0(VALU_DEP_1)
	v_fmac_f16_e32 v30, s38, v29
	global_store_b16 v[20:21], v30, off
	s_wait_xcnt 0x0
	s_or_b32 exec_lo, exec_lo, s18
	s_and_saveexec_b32 s18, s4
	s_cbranch_execz .LBB353_28
.LBB353_30:                             ;   in Loop: Header=BB353_4 Depth=1
	global_load_u16 v22, v[22:23], off offset:32
	s_wait_xcnt 0x0
	v_lshrrev_b32_e32 v23, 16, v29
	s_wait_loadcnt 0x0
	v_mul_f16_e32 v22, s39, v22
	s_delay_alu instid0(VALU_DEP_1) | instskip(SKIP_3) | instid1(SALU_CYCLE_1)
	v_fmac_f16_e32 v22, s38, v23
	global_store_b16 v[20:21], v22, off offset:32
	s_wait_xcnt 0x0
	s_or_b32 exec_lo, exec_lo, s18
	s_and_b32 exec_lo, exec_lo, s5
	s_cbranch_execz .LBB353_2
.LBB353_31:                             ;   in Loop: Header=BB353_4 Depth=1
	v_lshl_add_u64 v[16:17], s[10:11], 1, v[16:17]
	v_lshl_add_u64 v[18:19], s[24:25], 1, v[18:19]
	s_delay_alu instid0(VALU_DEP_2) | instskip(NEXT) | instid1(VALU_DEP_2)
	v_add_nc_u64_e32 v[16:17], v[16:17], v[14:15]
	v_add_nc_u64_e32 v[14:15], v[18:19], v[14:15]
	s_and_saveexec_b32 s18, s3
	s_cbranch_execz .LBB353_33
; %bb.32:                               ;   in Loop: Header=BB353_4 Depth=1
	global_load_u16 v18, v[16:17], off
	s_wait_loadcnt 0x0
	v_mul_f16_e32 v18, s39, v18
	s_delay_alu instid0(VALU_DEP_1)
	v_fmac_f16_e32 v18, s38, v28
	global_store_b16 v[14:15], v18, off
.LBB353_33:                             ;   in Loop: Header=BB353_4 Depth=1
	s_wait_xcnt 0x0
	s_or_b32 exec_lo, exec_lo, s18
	s_delay_alu instid0(SALU_CYCLE_1)
	s_and_b32 exec_lo, exec_lo, s4
	s_cbranch_execz .LBB353_2
; %bb.34:                               ;   in Loop: Header=BB353_4 Depth=1
	global_load_u16 v16, v[16:17], off offset:32
	s_wait_xcnt 0x0
	v_lshrrev_b32_e32 v17, 16, v28
	s_wait_loadcnt 0x0
	v_mul_f16_e32 v16, s39, v16
	s_delay_alu instid0(VALU_DEP_1)
	v_fmac_f16_e32 v16, s38, v17
	global_store_b16 v[14:15], v16, off offset:32
	s_branch .LBB353_2
.LBB353_35:
	s_endpgm
	.section	.rodata,"a",@progbits
	.p2align	6, 0x0
	.amdhsa_kernel _ZN12_GLOBAL__N_135rocblas_gemm_batched_general_kernelIDF16_Li16ELi16ELi32ELi32ELi8ELi32ELi8ELi8ELi32ELc78ELc78EKDF16_S1_DF16_EEvlllT_PT11_llS4_llS2_PT12_llPT13_lli
		.amdhsa_group_segment_fixed_size 1024
		.amdhsa_private_segment_fixed_size 0
		.amdhsa_kernarg_size 140
		.amdhsa_user_sgpr_count 2
		.amdhsa_user_sgpr_dispatch_ptr 0
		.amdhsa_user_sgpr_queue_ptr 0
		.amdhsa_user_sgpr_kernarg_segment_ptr 1
		.amdhsa_user_sgpr_dispatch_id 0
		.amdhsa_user_sgpr_kernarg_preload_length 0
		.amdhsa_user_sgpr_kernarg_preload_offset 0
		.amdhsa_user_sgpr_private_segment_size 0
		.amdhsa_wavefront_size32 1
		.amdhsa_uses_dynamic_stack 0
		.amdhsa_enable_private_segment 0
		.amdhsa_system_sgpr_workgroup_id_x 1
		.amdhsa_system_sgpr_workgroup_id_y 1
		.amdhsa_system_sgpr_workgroup_id_z 1
		.amdhsa_system_sgpr_workgroup_info 0
		.amdhsa_system_vgpr_workitem_id 1
		.amdhsa_next_free_vgpr 43
		.amdhsa_next_free_sgpr 41
		.amdhsa_named_barrier_count 0
		.amdhsa_reserve_vcc 1
		.amdhsa_float_round_mode_32 0
		.amdhsa_float_round_mode_16_64 0
		.amdhsa_float_denorm_mode_32 3
		.amdhsa_float_denorm_mode_16_64 3
		.amdhsa_fp16_overflow 0
		.amdhsa_memory_ordered 1
		.amdhsa_forward_progress 1
		.amdhsa_inst_pref_size 15
		.amdhsa_round_robin_scheduling 0
		.amdhsa_exception_fp_ieee_invalid_op 0
		.amdhsa_exception_fp_denorm_src 0
		.amdhsa_exception_fp_ieee_div_zero 0
		.amdhsa_exception_fp_ieee_overflow 0
		.amdhsa_exception_fp_ieee_underflow 0
		.amdhsa_exception_fp_ieee_inexact 0
		.amdhsa_exception_int_div_zero 0
	.end_amdhsa_kernel
	.section	.text._ZN12_GLOBAL__N_135rocblas_gemm_batched_general_kernelIDF16_Li16ELi16ELi32ELi32ELi8ELi32ELi8ELi8ELi32ELc78ELc78EKDF16_S1_DF16_EEvlllT_PT11_llS4_llS2_PT12_llPT13_lli,"axG",@progbits,_ZN12_GLOBAL__N_135rocblas_gemm_batched_general_kernelIDF16_Li16ELi16ELi32ELi32ELi8ELi32ELi8ELi8ELi32ELc78ELc78EKDF16_S1_DF16_EEvlllT_PT11_llS4_llS2_PT12_llPT13_lli,comdat
.Lfunc_end353:
	.size	_ZN12_GLOBAL__N_135rocblas_gemm_batched_general_kernelIDF16_Li16ELi16ELi32ELi32ELi8ELi32ELi8ELi8ELi32ELc78ELc78EKDF16_S1_DF16_EEvlllT_PT11_llS4_llS2_PT12_llPT13_lli, .Lfunc_end353-_ZN12_GLOBAL__N_135rocblas_gemm_batched_general_kernelIDF16_Li16ELi16ELi32ELi32ELi8ELi32ELi8ELi8ELi32ELc78ELc78EKDF16_S1_DF16_EEvlllT_PT11_llS4_llS2_PT12_llPT13_lli
                                        ; -- End function
	.set _ZN12_GLOBAL__N_135rocblas_gemm_batched_general_kernelIDF16_Li16ELi16ELi32ELi32ELi8ELi32ELi8ELi8ELi32ELc78ELc78EKDF16_S1_DF16_EEvlllT_PT11_llS4_llS2_PT12_llPT13_lli.num_vgpr, 43
	.set _ZN12_GLOBAL__N_135rocblas_gemm_batched_general_kernelIDF16_Li16ELi16ELi32ELi32ELi8ELi32ELi8ELi8ELi32ELc78ELc78EKDF16_S1_DF16_EEvlllT_PT11_llS4_llS2_PT12_llPT13_lli.num_agpr, 0
	.set _ZN12_GLOBAL__N_135rocblas_gemm_batched_general_kernelIDF16_Li16ELi16ELi32ELi32ELi8ELi32ELi8ELi8ELi32ELc78ELc78EKDF16_S1_DF16_EEvlllT_PT11_llS4_llS2_PT12_llPT13_lli.numbered_sgpr, 41
	.set _ZN12_GLOBAL__N_135rocblas_gemm_batched_general_kernelIDF16_Li16ELi16ELi32ELi32ELi8ELi32ELi8ELi8ELi32ELc78ELc78EKDF16_S1_DF16_EEvlllT_PT11_llS4_llS2_PT12_llPT13_lli.num_named_barrier, 0
	.set _ZN12_GLOBAL__N_135rocblas_gemm_batched_general_kernelIDF16_Li16ELi16ELi32ELi32ELi8ELi32ELi8ELi8ELi32ELc78ELc78EKDF16_S1_DF16_EEvlllT_PT11_llS4_llS2_PT12_llPT13_lli.private_seg_size, 0
	.set _ZN12_GLOBAL__N_135rocblas_gemm_batched_general_kernelIDF16_Li16ELi16ELi32ELi32ELi8ELi32ELi8ELi8ELi32ELc78ELc78EKDF16_S1_DF16_EEvlllT_PT11_llS4_llS2_PT12_llPT13_lli.uses_vcc, 1
	.set _ZN12_GLOBAL__N_135rocblas_gemm_batched_general_kernelIDF16_Li16ELi16ELi32ELi32ELi8ELi32ELi8ELi8ELi32ELc78ELc78EKDF16_S1_DF16_EEvlllT_PT11_llS4_llS2_PT12_llPT13_lli.uses_flat_scratch, 0
	.set _ZN12_GLOBAL__N_135rocblas_gemm_batched_general_kernelIDF16_Li16ELi16ELi32ELi32ELi8ELi32ELi8ELi8ELi32ELc78ELc78EKDF16_S1_DF16_EEvlllT_PT11_llS4_llS2_PT12_llPT13_lli.has_dyn_sized_stack, 0
	.set _ZN12_GLOBAL__N_135rocblas_gemm_batched_general_kernelIDF16_Li16ELi16ELi32ELi32ELi8ELi32ELi8ELi8ELi32ELc78ELc78EKDF16_S1_DF16_EEvlllT_PT11_llS4_llS2_PT12_llPT13_lli.has_recursion, 0
	.set _ZN12_GLOBAL__N_135rocblas_gemm_batched_general_kernelIDF16_Li16ELi16ELi32ELi32ELi8ELi32ELi8ELi8ELi32ELc78ELc78EKDF16_S1_DF16_EEvlllT_PT11_llS4_llS2_PT12_llPT13_lli.has_indirect_call, 0
	.section	.AMDGPU.csdata,"",@progbits
; Kernel info:
; codeLenInByte = 1848
; TotalNumSgprs: 43
; NumVgprs: 43
; ScratchSize: 0
; MemoryBound: 0
; FloatMode: 240
; IeeeMode: 1
; LDSByteSize: 1024 bytes/workgroup (compile time only)
; SGPRBlocks: 0
; VGPRBlocks: 2
; NumSGPRsForWavesPerEU: 43
; NumVGPRsForWavesPerEU: 43
; NamedBarCnt: 0
; Occupancy: 16
; WaveLimiterHint : 0
; COMPUTE_PGM_RSRC2:SCRATCH_EN: 0
; COMPUTE_PGM_RSRC2:USER_SGPR: 2
; COMPUTE_PGM_RSRC2:TRAP_HANDLER: 0
; COMPUTE_PGM_RSRC2:TGID_X_EN: 1
; COMPUTE_PGM_RSRC2:TGID_Y_EN: 1
; COMPUTE_PGM_RSRC2:TGID_Z_EN: 1
; COMPUTE_PGM_RSRC2:TIDIG_COMP_CNT: 1
	.section	.text._ZN12_GLOBAL__N_135rocblas_gemm_batched_general_kernelIDF16_Li16ELi16ELi32ELi32ELi8ELi32ELi8ELi8ELi32ELc84ELc78EKDF16_S1_DF16_EEvlllT_PT11_llS4_llS2_PT12_llPT13_lli,"axG",@progbits,_ZN12_GLOBAL__N_135rocblas_gemm_batched_general_kernelIDF16_Li16ELi16ELi32ELi32ELi8ELi32ELi8ELi8ELi32ELc84ELc78EKDF16_S1_DF16_EEvlllT_PT11_llS4_llS2_PT12_llPT13_lli,comdat
	.globl	_ZN12_GLOBAL__N_135rocblas_gemm_batched_general_kernelIDF16_Li16ELi16ELi32ELi32ELi8ELi32ELi8ELi8ELi32ELc84ELc78EKDF16_S1_DF16_EEvlllT_PT11_llS4_llS2_PT12_llPT13_lli ; -- Begin function _ZN12_GLOBAL__N_135rocblas_gemm_batched_general_kernelIDF16_Li16ELi16ELi32ELi32ELi8ELi32ELi8ELi8ELi32ELc84ELc78EKDF16_S1_DF16_EEvlllT_PT11_llS4_llS2_PT12_llPT13_lli
	.p2align	8
	.type	_ZN12_GLOBAL__N_135rocblas_gemm_batched_general_kernelIDF16_Li16ELi16ELi32ELi32ELi8ELi32ELi8ELi8ELi32ELc84ELc78EKDF16_S1_DF16_EEvlllT_PT11_llS4_llS2_PT12_llPT13_lli,@function
_ZN12_GLOBAL__N_135rocblas_gemm_batched_general_kernelIDF16_Li16ELi16ELi32ELi32ELi8ELi32ELi8ELi8ELi32ELc84ELc78EKDF16_S1_DF16_EEvlllT_PT11_llS4_llS2_PT12_llPT13_lli: ; @_ZN12_GLOBAL__N_135rocblas_gemm_batched_general_kernelIDF16_Li16ELi16ELi32ELi32ELi8ELi32ELi8ELi8ELi32ELc84ELc78EKDF16_S1_DF16_EEvlllT_PT11_llS4_llS2_PT12_llPT13_lli
; %bb.0:
	s_load_b32 s33, s[0:1], 0x88
	s_bfe_u32 s2, ttmp6, 0x40014
	s_lshr_b32 s3, ttmp7, 16
	s_add_co_i32 s2, s2, 1
	s_bfe_u32 s5, ttmp6, 0x40008
	s_mul_i32 s4, s3, s2
	s_getreg_b32 s2, hwreg(HW_REG_IB_STS2, 6, 4)
	s_add_co_i32 s5, s5, s4
	s_cmp_eq_u32 s2, 0
	s_mov_b32 s35, 0
	s_cselect_b32 s34, s3, s5
	s_wait_kmcnt 0x0
	s_cmp_ge_i32 s34, s33
	s_cbranch_scc1 .LBB354_35
; %bb.1:
	v_bfe_u32 v8, v0, 10, 10
	v_and_b32_e32 v10, 0x3ff, v0
	s_clause 0x1
	s_load_b256 s[16:23], s[0:1], 0x20
	s_load_b128 s[4:7], s[0:1], 0x40
	s_bfe_u32 s28, ttmp6, 0x4000c
	s_bfe_u32 s30, ttmp6, 0x40010
	v_dual_lshlrev_b32 v27, 4, v8 :: v_dual_mov_b32 v9, 0
	s_and_b32 s29, ttmp7, 0xffff
	s_add_co_i32 s28, s28, 1
	s_add_co_i32 s30, s30, 1
	s_delay_alu instid0(VALU_DEP_1)
	v_dual_add_nc_u32 v1, v27, v10 :: v_dual_mov_b32 v7, v9
	s_and_b32 s3, ttmp6, 15
	s_mul_i32 s28, ttmp9, s28
	s_mul_i32 s30, s29, s30
	s_bfe_u32 s31, ttmp6, 0x40004
	s_add_co_i32 s3, s3, s28
	s_add_co_i32 s31, s31, s30
	s_clause 0x1
	s_load_b128 s[24:27], s[0:1], 0x78
	s_load_b256 s[8:15], s[0:1], 0x58
	s_cmp_eq_u32 s2, 0
	v_dual_lshrrev_b32 v6, 3, v1 :: v_dual_bitop2_b32 v4, 31, v1 bitop3:0x40
	s_cselect_b32 s2, ttmp9, s3
	s_cselect_b32 s28, s29, s31
	s_ashr_i32 s3, s2, 31
	s_lshl_b32 s36, s28, 5
	s_mov_b32 s37, s35
	s_lshl_b64 s[2:3], s[2:3], 5
	v_add_nc_u64_e32 v[12:13], s[36:37], v[6:7]
	v_dual_mov_b32 v15, s3 :: v_dual_bitop2_b32 v14, s2, v4 bitop3:0x54
	v_add_nc_u64_e32 v[16:17], s[36:37], v[8:9]
	v_dual_mov_b32 v11, v9 :: v_dual_bitop2_b32 v0, 7, v0 bitop3:0x40
	s_clause 0x1
	s_load_b128 s[28:31], s[0:1], 0x0
	s_load_b96 s[36:38], s[0:1], 0x10
	s_wait_kmcnt 0x0
	v_mul_u64_e32 v[18:19], s[4:5], v[12:13]
	v_mul_u64_e32 v[20:21], s[18:19], v[14:15]
	;; [unrolled: 1-line block ×3, first 2 shown]
	v_dual_mov_b32 v3, v9 :: v_dual_lshlrev_b32 v8, 1, v4
	v_mul_u64_e32 v[4:5], s[24:25], v[16:17]
	v_dual_lshrrev_b32 v2, 5, v1 :: v_dual_lshlrev_b32 v28, 1, v0
	s_load_b32 s39, s[0:1], 0x50
	v_dual_mov_b32 v1, v9 :: v_dual_lshlrev_b32 v26, 1, v10
	s_delay_alu instid0(VALU_DEP_2) | instskip(NEXT) | instid1(VALU_DEP_3)
	v_lshl_or_b32 v24, v2, 6, v8
	v_lshl_or_b32 v25, v6, 4, v28
	v_add_nc_u64_e32 v[6:7], s[2:3], v[10:11]
	v_dual_mov_b32 v29, v9 :: v_dual_lshlrev_b32 v8, 1, v2
	v_add_nc_u32_e32 v27, 0x200, v27
	s_delay_alu instid0(VALU_DEP_4)
	v_add_nc_u32_e32 v25, 0x200, v25
	s_wait_xcnt 0x0
	v_cmp_gt_i64_e64 s1, s[30:31], v[12:13]
	v_add_nc_u64_e32 v[12:13], 16, v[16:17]
	v_add_nc_u64_e32 v[10:11], 16, v[6:7]
	v_cmp_gt_i64_e64 s0, s[28:29], v[14:15]
	v_cmp_gt_i64_e64 s2, s[30:31], v[16:17]
	;; [unrolled: 1-line block ×5, first 2 shown]
	s_wait_kmcnt 0x0
	s_cmp_eq_f16 s39, 0
	v_lshl_add_u64 v[10:11], v[18:19], 1, v[28:29]
	v_lshl_add_u64 v[14:15], v[20:21], 1, v[8:9]
	;; [unrolled: 1-line block ×3, first 2 shown]
	s_cselect_b32 s40, -1, 0
	s_lshl_b64 s[18:19], s[24:25], 4
	v_add_nc_u64_e32 v[10:11], s[22:23], v[10:11]
	v_add_nc_u64_e32 v[12:13], s[16:17], v[14:15]
	v_cmp_gt_i64_e64 s22, s[36:37], 0
	s_lshl_b64 s[8:9], s[10:11], 4
	s_lshl_b64 s[6:7], s[6:7], 1
	;; [unrolled: 1-line block ×3, first 2 shown]
	s_branch .LBB354_4
.LBB354_2:                              ;   in Loop: Header=BB354_4 Depth=1
	s_wait_xcnt 0x0
	s_or_b32 exec_lo, exec_lo, s20
.LBB354_3:                              ;   in Loop: Header=BB354_4 Depth=1
	s_add_co_i32 s34, s34, 0x10000
	s_delay_alu instid0(SALU_CYCLE_1)
	s_cmp_lt_i32 s34, s33
	s_cbranch_scc0 .LBB354_35
.LBB354_4:                              ; =>This Loop Header: Depth=1
                                        ;     Child Loop BB354_7 Depth 2
	s_and_not1_b32 vcc_lo, exec_lo, s22
	s_cbranch_vccnz .LBB354_11
; %bb.5:                                ;   in Loop: Header=BB354_4 Depth=1
	v_mad_nc_u64_u32 v[14:15], s6, s34, v[10:11]
	v_mad_nc_u64_u32 v[16:17], s10, s34, v[12:13]
	v_dual_mov_b32 v29, 0 :: v_dual_mov_b32 v28, 0
	s_mov_b64 s[16:17], 0
	s_delay_alu instid0(VALU_DEP_3) | instskip(NEXT) | instid1(VALU_DEP_3)
	v_mad_u32 v15, s7, s34, v15
	v_mad_u32 v17, s11, s34, v17
	s_branch .LBB354_7
.LBB354_6:                              ;   in Loop: Header=BB354_7 Depth=2
	s_wait_xcnt 0x0
	s_or_b32 exec_lo, exec_lo, s20
	s_wait_loadcnt 0x0
	ds_store_b16 v25, v19
	s_wait_dscnt 0x0
	s_barrier_signal -1
	s_barrier_wait -1
	ds_load_u16 v22, v26
	ds_load_u16 v23, v26 offset:32
	ds_load_u16 v34, v26 offset:64
	;; [unrolled: 1-line block ×3, first 2 shown]
	ds_load_b128 v[18:21], v27
	ds_load_b128 v[30:33], v27 offset:256
	ds_load_u16 v36, v26 offset:128
	ds_load_u16 v37, v26 offset:160
	;; [unrolled: 1-line block ×6, first 2 shown]
	s_add_nc_u64 s[16:17], s[16:17], 8
	v_add_nc_u64_e32 v[14:15], 16, v[14:15]
	v_cmp_lt_i64_e64 s20, s[16:17], s[36:37]
	v_add_nc_u64_e32 v[16:17], 16, v[16:17]
	s_wait_dscnt 0xa
	v_perm_b32 v22, v23, v22, 0x5040100
	ds_load_u16 v23, v26 offset:320
	ds_load_u16 v42, v26 offset:352
	s_wait_dscnt 0xa
	v_perm_b32 v34, v35, v34, 0x5040100
	s_and_b32 vcc_lo, exec_lo, s20
	s_wait_dscnt 0x9
	v_pk_fma_f16 v29, v22, v18, v29 op_sel_hi:[1,0,1]
	s_wait_dscnt 0x8
	v_pk_fma_f16 v22, v22, v30, v28 op_sel_hi:[1,0,1]
	ds_load_u16 v28, v26 offset:384
	ds_load_u16 v35, v26 offset:416
	s_wait_dscnt 0x8
	v_perm_b32 v36, v37, v36, 0x5040100
	v_pk_fma_f16 v18, v34, v18, v29 op_sel:[0,1,0]
	v_pk_fma_f16 v22, v34, v30, v22 op_sel:[0,1,0]
	ds_load_u16 v29, v26 offset:448
	ds_load_u16 v30, v26 offset:480
	s_wait_dscnt 0x8
	v_perm_b32 v34, v39, v38, 0x5040100
	s_wait_dscnt 0x0
	v_pk_fma_f16 v18, v36, v19, v18 op_sel_hi:[1,0,1]
	v_pk_fma_f16 v22, v36, v31, v22 op_sel_hi:[1,0,1]
	v_perm_b32 v36, v41, v40, 0x5040100
	s_barrier_signal -1
	s_barrier_wait -1
	v_pk_fma_f16 v18, v34, v19, v18 op_sel:[0,1,0]
	v_pk_fma_f16 v19, v34, v31, v22 op_sel:[0,1,0]
	v_perm_b32 v22, v42, v23, 0x5040100
	s_delay_alu instid0(VALU_DEP_3) | instskip(NEXT) | instid1(VALU_DEP_3)
	v_pk_fma_f16 v18, v36, v20, v18 op_sel_hi:[1,0,1]
	v_pk_fma_f16 v19, v36, v32, v19 op_sel_hi:[1,0,1]
	v_perm_b32 v23, v35, v28, 0x5040100
	s_delay_alu instid0(VALU_DEP_3) | instskip(NEXT) | instid1(VALU_DEP_3)
	v_pk_fma_f16 v18, v22, v20, v18 op_sel:[0,1,0]
	v_pk_fma_f16 v19, v22, v32, v19 op_sel:[0,1,0]
	v_perm_b32 v20, v30, v29, 0x5040100
	s_delay_alu instid0(VALU_DEP_3) | instskip(NEXT) | instid1(VALU_DEP_3)
	v_pk_fma_f16 v18, v23, v21, v18 op_sel_hi:[1,0,1]
	v_pk_fma_f16 v19, v23, v33, v19 op_sel_hi:[1,0,1]
	s_delay_alu instid0(VALU_DEP_2) | instskip(NEXT) | instid1(VALU_DEP_2)
	v_pk_fma_f16 v29, v20, v21, v18 op_sel:[0,1,0]
	v_pk_fma_f16 v28, v20, v33, v19 op_sel:[0,1,0]
	s_cbranch_vccz .LBB354_12
.LBB354_7:                              ;   Parent Loop BB354_4 Depth=1
                                        ; =>  This Inner Loop Header: Depth=2
	v_add_nc_u64_e32 v[18:19], s[16:17], v[2:3]
	s_delay_alu instid0(VALU_DEP_1) | instskip(SKIP_2) | instid1(SALU_CYCLE_1)
	v_cmp_gt_i64_e32 vcc_lo, s[36:37], v[18:19]
	v_mov_b32_e32 v18, 0
	s_and_b32 s21, s0, vcc_lo
	s_and_saveexec_b32 s20, s21
	s_cbranch_execz .LBB354_9
; %bb.8:                                ;   in Loop: Header=BB354_7 Depth=2
	global_load_u16 v18, v[16:17], off
.LBB354_9:                              ;   in Loop: Header=BB354_7 Depth=2
	s_wait_xcnt 0x0
	s_or_b32 exec_lo, exec_lo, s20
	v_add_nc_u64_e32 v[20:21], s[16:17], v[0:1]
	v_mov_b32_e32 v19, 0
	s_wait_loadcnt 0x0
	ds_store_b16 v24, v18
	v_cmp_gt_i64_e32 vcc_lo, s[36:37], v[20:21]
	s_and_b32 s21, vcc_lo, s1
	s_delay_alu instid0(SALU_CYCLE_1)
	s_and_saveexec_b32 s20, s21
	s_cbranch_execz .LBB354_6
; %bb.10:                               ;   in Loop: Header=BB354_7 Depth=2
	global_load_u16 v19, v[14:15], off
	s_branch .LBB354_6
.LBB354_11:                             ;   in Loop: Header=BB354_4 Depth=1
	v_dual_mov_b32 v28, 0 :: v_dual_mov_b32 v29, 0
.LBB354_12:                             ;   in Loop: Header=BB354_4 Depth=1
	s_mul_u64 s[16:17], s[26:27], s[34:35]
	s_and_not1_b32 vcc_lo, exec_lo, s40
	s_lshl_b64 s[16:17], s[16:17], 1
	s_delay_alu instid0(SALU_CYCLE_1)
	s_add_nc_u64 s[16:17], s[14:15], s[16:17]
	s_cbranch_vccnz .LBB354_17
; %bb.13:                               ;   in Loop: Header=BB354_4 Depth=1
	s_and_saveexec_b32 s20, s2
	s_cbranch_execz .LBB354_24
; %bb.14:                               ;   in Loop: Header=BB354_4 Depth=1
	v_lshl_add_u64 v[14:15], v[4:5], 1, s[16:17]
	s_delay_alu instid0(VALU_DEP_1)
	v_lshl_add_u64 v[16:17], v[6:7], 1, v[14:15]
	s_and_saveexec_b32 s21, s3
	s_cbranch_execnz .LBB354_18
; %bb.15:                               ;   in Loop: Header=BB354_4 Depth=1
	s_or_b32 exec_lo, exec_lo, s21
	s_and_saveexec_b32 s21, s4
	s_cbranch_execnz .LBB354_19
.LBB354_16:                             ;   in Loop: Header=BB354_4 Depth=1
	s_or_b32 exec_lo, exec_lo, s21
	s_delay_alu instid0(SALU_CYCLE_1)
	s_and_b32 exec_lo, exec_lo, s5
	s_cbranch_execnz .LBB354_20
	s_branch .LBB354_24
.LBB354_17:                             ;   in Loop: Header=BB354_4 Depth=1
	s_branch .LBB354_25
.LBB354_18:                             ;   in Loop: Header=BB354_4 Depth=1
	v_mul_f16_e32 v18, s38, v29
	global_store_b16 v[16:17], v18, off
	s_wait_xcnt 0x0
	s_or_b32 exec_lo, exec_lo, s21
	s_and_saveexec_b32 s21, s4
	s_cbranch_execz .LBB354_16
.LBB354_19:                             ;   in Loop: Header=BB354_4 Depth=1
	v_lshrrev_b32_e32 v18, 16, v29
	s_delay_alu instid0(VALU_DEP_1) | instskip(SKIP_3) | instid1(SALU_CYCLE_1)
	v_mul_f16_e32 v18, s38, v18
	global_store_b16 v[16:17], v18, off offset:32
	s_wait_xcnt 0x0
	s_or_b32 exec_lo, exec_lo, s21
	s_and_b32 exec_lo, exec_lo, s5
	s_cbranch_execz .LBB354_24
.LBB354_20:                             ;   in Loop: Header=BB354_4 Depth=1
	v_lshl_add_u64 v[14:15], s[18:19], 1, v[14:15]
	s_delay_alu instid0(VALU_DEP_1)
	v_lshl_add_u64 v[14:15], v[6:7], 1, v[14:15]
	s_and_saveexec_b32 s21, s3
	s_cbranch_execz .LBB354_22
; %bb.21:                               ;   in Loop: Header=BB354_4 Depth=1
	v_mul_f16_e32 v16, s38, v28
	global_store_b16 v[14:15], v16, off
.LBB354_22:                             ;   in Loop: Header=BB354_4 Depth=1
	s_wait_xcnt 0x0
	s_or_b32 exec_lo, exec_lo, s21
	s_delay_alu instid0(SALU_CYCLE_1)
	s_and_b32 exec_lo, exec_lo, s4
	s_cbranch_execz .LBB354_24
; %bb.23:                               ;   in Loop: Header=BB354_4 Depth=1
	v_lshrrev_b32_e32 v16, 16, v28
	s_delay_alu instid0(VALU_DEP_1)
	v_mul_f16_e32 v16, s38, v16
	global_store_b16 v[14:15], v16, off offset:32
.LBB354_24:                             ;   in Loop: Header=BB354_4 Depth=1
	s_wait_xcnt 0x0
	s_or_b32 exec_lo, exec_lo, s20
	s_cbranch_execnz .LBB354_3
.LBB354_25:                             ;   in Loop: Header=BB354_4 Depth=1
	s_and_saveexec_b32 s20, s2
	s_cbranch_execz .LBB354_2
; %bb.26:                               ;   in Loop: Header=BB354_4 Depth=1
	s_mul_u64 s[24:25], s[12:13], s[34:35]
	v_lshlrev_b64_e32 v[14:15], 1, v[6:7]
	v_lshl_add_u64 v[16:17], s[24:25], 1, v[8:9]
	v_lshl_add_u64 v[18:19], v[4:5], 1, s[16:17]
	s_delay_alu instid0(VALU_DEP_2) | instskip(NEXT) | instid1(VALU_DEP_2)
	v_add_nc_u64_e32 v[22:23], v[16:17], v[14:15]
	v_add_nc_u64_e32 v[20:21], v[18:19], v[14:15]
	s_and_saveexec_b32 s16, s3
	s_cbranch_execnz .LBB354_29
; %bb.27:                               ;   in Loop: Header=BB354_4 Depth=1
	s_or_b32 exec_lo, exec_lo, s16
	s_and_saveexec_b32 s16, s4
	s_cbranch_execnz .LBB354_30
.LBB354_28:                             ;   in Loop: Header=BB354_4 Depth=1
	s_or_b32 exec_lo, exec_lo, s16
	s_delay_alu instid0(SALU_CYCLE_1)
	s_and_b32 exec_lo, exec_lo, s5
	s_cbranch_execz .LBB354_2
	s_branch .LBB354_31
.LBB354_29:                             ;   in Loop: Header=BB354_4 Depth=1
	global_load_u16 v30, v[22:23], off
	s_wait_loadcnt 0x0
	v_mul_f16_e32 v30, s39, v30
	s_delay_alu instid0(VALU_DEP_1)
	v_fmac_f16_e32 v30, s38, v29
	global_store_b16 v[20:21], v30, off
	s_wait_xcnt 0x0
	s_or_b32 exec_lo, exec_lo, s16
	s_and_saveexec_b32 s16, s4
	s_cbranch_execz .LBB354_28
.LBB354_30:                             ;   in Loop: Header=BB354_4 Depth=1
	global_load_u16 v22, v[22:23], off offset:32
	s_wait_xcnt 0x0
	v_lshrrev_b32_e32 v23, 16, v29
	s_wait_loadcnt 0x0
	v_mul_f16_e32 v22, s39, v22
	s_delay_alu instid0(VALU_DEP_1) | instskip(SKIP_3) | instid1(SALU_CYCLE_1)
	v_fmac_f16_e32 v22, s38, v23
	global_store_b16 v[20:21], v22, off offset:32
	s_wait_xcnt 0x0
	s_or_b32 exec_lo, exec_lo, s16
	s_and_b32 exec_lo, exec_lo, s5
	s_cbranch_execz .LBB354_2
.LBB354_31:                             ;   in Loop: Header=BB354_4 Depth=1
	v_lshl_add_u64 v[16:17], s[8:9], 1, v[16:17]
	v_lshl_add_u64 v[18:19], s[18:19], 1, v[18:19]
	s_delay_alu instid0(VALU_DEP_2) | instskip(NEXT) | instid1(VALU_DEP_2)
	v_add_nc_u64_e32 v[16:17], v[16:17], v[14:15]
	v_add_nc_u64_e32 v[14:15], v[18:19], v[14:15]
	s_and_saveexec_b32 s16, s3
	s_cbranch_execz .LBB354_33
; %bb.32:                               ;   in Loop: Header=BB354_4 Depth=1
	global_load_u16 v18, v[16:17], off
	s_wait_loadcnt 0x0
	v_mul_f16_e32 v18, s39, v18
	s_delay_alu instid0(VALU_DEP_1)
	v_fmac_f16_e32 v18, s38, v28
	global_store_b16 v[14:15], v18, off
.LBB354_33:                             ;   in Loop: Header=BB354_4 Depth=1
	s_wait_xcnt 0x0
	s_or_b32 exec_lo, exec_lo, s16
	s_delay_alu instid0(SALU_CYCLE_1)
	s_and_b32 exec_lo, exec_lo, s4
	s_cbranch_execz .LBB354_2
; %bb.34:                               ;   in Loop: Header=BB354_4 Depth=1
	global_load_u16 v16, v[16:17], off offset:32
	s_wait_xcnt 0x0
	v_lshrrev_b32_e32 v17, 16, v28
	s_wait_loadcnt 0x0
	v_mul_f16_e32 v16, s39, v16
	s_delay_alu instid0(VALU_DEP_1)
	v_fmac_f16_e32 v16, s38, v17
	global_store_b16 v[14:15], v16, off offset:32
	s_branch .LBB354_2
.LBB354_35:
	s_endpgm
	.section	.rodata,"a",@progbits
	.p2align	6, 0x0
	.amdhsa_kernel _ZN12_GLOBAL__N_135rocblas_gemm_batched_general_kernelIDF16_Li16ELi16ELi32ELi32ELi8ELi32ELi8ELi8ELi32ELc84ELc78EKDF16_S1_DF16_EEvlllT_PT11_llS4_llS2_PT12_llPT13_lli
		.amdhsa_group_segment_fixed_size 1024
		.amdhsa_private_segment_fixed_size 0
		.amdhsa_kernarg_size 140
		.amdhsa_user_sgpr_count 2
		.amdhsa_user_sgpr_dispatch_ptr 0
		.amdhsa_user_sgpr_queue_ptr 0
		.amdhsa_user_sgpr_kernarg_segment_ptr 1
		.amdhsa_user_sgpr_dispatch_id 0
		.amdhsa_user_sgpr_kernarg_preload_length 0
		.amdhsa_user_sgpr_kernarg_preload_offset 0
		.amdhsa_user_sgpr_private_segment_size 0
		.amdhsa_wavefront_size32 1
		.amdhsa_uses_dynamic_stack 0
		.amdhsa_enable_private_segment 0
		.amdhsa_system_sgpr_workgroup_id_x 1
		.amdhsa_system_sgpr_workgroup_id_y 1
		.amdhsa_system_sgpr_workgroup_id_z 1
		.amdhsa_system_sgpr_workgroup_info 0
		.amdhsa_system_vgpr_workitem_id 1
		.amdhsa_next_free_vgpr 43
		.amdhsa_next_free_sgpr 41
		.amdhsa_named_barrier_count 0
		.amdhsa_reserve_vcc 1
		.amdhsa_float_round_mode_32 0
		.amdhsa_float_round_mode_16_64 0
		.amdhsa_float_denorm_mode_32 3
		.amdhsa_float_denorm_mode_16_64 3
		.amdhsa_fp16_overflow 0
		.amdhsa_memory_ordered 1
		.amdhsa_forward_progress 1
		.amdhsa_inst_pref_size 15
		.amdhsa_round_robin_scheduling 0
		.amdhsa_exception_fp_ieee_invalid_op 0
		.amdhsa_exception_fp_denorm_src 0
		.amdhsa_exception_fp_ieee_div_zero 0
		.amdhsa_exception_fp_ieee_overflow 0
		.amdhsa_exception_fp_ieee_underflow 0
		.amdhsa_exception_fp_ieee_inexact 0
		.amdhsa_exception_int_div_zero 0
	.end_amdhsa_kernel
	.section	.text._ZN12_GLOBAL__N_135rocblas_gemm_batched_general_kernelIDF16_Li16ELi16ELi32ELi32ELi8ELi32ELi8ELi8ELi32ELc84ELc78EKDF16_S1_DF16_EEvlllT_PT11_llS4_llS2_PT12_llPT13_lli,"axG",@progbits,_ZN12_GLOBAL__N_135rocblas_gemm_batched_general_kernelIDF16_Li16ELi16ELi32ELi32ELi8ELi32ELi8ELi8ELi32ELc84ELc78EKDF16_S1_DF16_EEvlllT_PT11_llS4_llS2_PT12_llPT13_lli,comdat
.Lfunc_end354:
	.size	_ZN12_GLOBAL__N_135rocblas_gemm_batched_general_kernelIDF16_Li16ELi16ELi32ELi32ELi8ELi32ELi8ELi8ELi32ELc84ELc78EKDF16_S1_DF16_EEvlllT_PT11_llS4_llS2_PT12_llPT13_lli, .Lfunc_end354-_ZN12_GLOBAL__N_135rocblas_gemm_batched_general_kernelIDF16_Li16ELi16ELi32ELi32ELi8ELi32ELi8ELi8ELi32ELc84ELc78EKDF16_S1_DF16_EEvlllT_PT11_llS4_llS2_PT12_llPT13_lli
                                        ; -- End function
	.set _ZN12_GLOBAL__N_135rocblas_gemm_batched_general_kernelIDF16_Li16ELi16ELi32ELi32ELi8ELi32ELi8ELi8ELi32ELc84ELc78EKDF16_S1_DF16_EEvlllT_PT11_llS4_llS2_PT12_llPT13_lli.num_vgpr, 43
	.set _ZN12_GLOBAL__N_135rocblas_gemm_batched_general_kernelIDF16_Li16ELi16ELi32ELi32ELi8ELi32ELi8ELi8ELi32ELc84ELc78EKDF16_S1_DF16_EEvlllT_PT11_llS4_llS2_PT12_llPT13_lli.num_agpr, 0
	.set _ZN12_GLOBAL__N_135rocblas_gemm_batched_general_kernelIDF16_Li16ELi16ELi32ELi32ELi8ELi32ELi8ELi8ELi32ELc84ELc78EKDF16_S1_DF16_EEvlllT_PT11_llS4_llS2_PT12_llPT13_lli.numbered_sgpr, 41
	.set _ZN12_GLOBAL__N_135rocblas_gemm_batched_general_kernelIDF16_Li16ELi16ELi32ELi32ELi8ELi32ELi8ELi8ELi32ELc84ELc78EKDF16_S1_DF16_EEvlllT_PT11_llS4_llS2_PT12_llPT13_lli.num_named_barrier, 0
	.set _ZN12_GLOBAL__N_135rocblas_gemm_batched_general_kernelIDF16_Li16ELi16ELi32ELi32ELi8ELi32ELi8ELi8ELi32ELc84ELc78EKDF16_S1_DF16_EEvlllT_PT11_llS4_llS2_PT12_llPT13_lli.private_seg_size, 0
	.set _ZN12_GLOBAL__N_135rocblas_gemm_batched_general_kernelIDF16_Li16ELi16ELi32ELi32ELi8ELi32ELi8ELi8ELi32ELc84ELc78EKDF16_S1_DF16_EEvlllT_PT11_llS4_llS2_PT12_llPT13_lli.uses_vcc, 1
	.set _ZN12_GLOBAL__N_135rocblas_gemm_batched_general_kernelIDF16_Li16ELi16ELi32ELi32ELi8ELi32ELi8ELi8ELi32ELc84ELc78EKDF16_S1_DF16_EEvlllT_PT11_llS4_llS2_PT12_llPT13_lli.uses_flat_scratch, 0
	.set _ZN12_GLOBAL__N_135rocblas_gemm_batched_general_kernelIDF16_Li16ELi16ELi32ELi32ELi8ELi32ELi8ELi8ELi32ELc84ELc78EKDF16_S1_DF16_EEvlllT_PT11_llS4_llS2_PT12_llPT13_lli.has_dyn_sized_stack, 0
	.set _ZN12_GLOBAL__N_135rocblas_gemm_batched_general_kernelIDF16_Li16ELi16ELi32ELi32ELi8ELi32ELi8ELi8ELi32ELc84ELc78EKDF16_S1_DF16_EEvlllT_PT11_llS4_llS2_PT12_llPT13_lli.has_recursion, 0
	.set _ZN12_GLOBAL__N_135rocblas_gemm_batched_general_kernelIDF16_Li16ELi16ELi32ELi32ELi8ELi32ELi8ELi8ELi32ELc84ELc78EKDF16_S1_DF16_EEvlllT_PT11_llS4_llS2_PT12_llPT13_lli.has_indirect_call, 0
	.section	.AMDGPU.csdata,"",@progbits
; Kernel info:
; codeLenInByte = 1848
; TotalNumSgprs: 43
; NumVgprs: 43
; ScratchSize: 0
; MemoryBound: 0
; FloatMode: 240
; IeeeMode: 1
; LDSByteSize: 1024 bytes/workgroup (compile time only)
; SGPRBlocks: 0
; VGPRBlocks: 2
; NumSGPRsForWavesPerEU: 43
; NumVGPRsForWavesPerEU: 43
; NamedBarCnt: 0
; Occupancy: 16
; WaveLimiterHint : 0
; COMPUTE_PGM_RSRC2:SCRATCH_EN: 0
; COMPUTE_PGM_RSRC2:USER_SGPR: 2
; COMPUTE_PGM_RSRC2:TRAP_HANDLER: 0
; COMPUTE_PGM_RSRC2:TGID_X_EN: 1
; COMPUTE_PGM_RSRC2:TGID_Y_EN: 1
; COMPUTE_PGM_RSRC2:TGID_Z_EN: 1
; COMPUTE_PGM_RSRC2:TIDIG_COMP_CNT: 1
	.section	.text._ZN12_GLOBAL__N_135rocblas_gemm_batched_general_kernelIDF16_Li16ELi16ELi32ELi32ELi8ELi32ELi8ELi8ELi32ELc78ELc84EKDF16_S1_DF16_EEvlllT_PT11_llS4_llS2_PT12_llPT13_lli,"axG",@progbits,_ZN12_GLOBAL__N_135rocblas_gemm_batched_general_kernelIDF16_Li16ELi16ELi32ELi32ELi8ELi32ELi8ELi8ELi32ELc78ELc84EKDF16_S1_DF16_EEvlllT_PT11_llS4_llS2_PT12_llPT13_lli,comdat
	.globl	_ZN12_GLOBAL__N_135rocblas_gemm_batched_general_kernelIDF16_Li16ELi16ELi32ELi32ELi8ELi32ELi8ELi8ELi32ELc78ELc84EKDF16_S1_DF16_EEvlllT_PT11_llS4_llS2_PT12_llPT13_lli ; -- Begin function _ZN12_GLOBAL__N_135rocblas_gemm_batched_general_kernelIDF16_Li16ELi16ELi32ELi32ELi8ELi32ELi8ELi8ELi32ELc78ELc84EKDF16_S1_DF16_EEvlllT_PT11_llS4_llS2_PT12_llPT13_lli
	.p2align	8
	.type	_ZN12_GLOBAL__N_135rocblas_gemm_batched_general_kernelIDF16_Li16ELi16ELi32ELi32ELi8ELi32ELi8ELi8ELi32ELc78ELc84EKDF16_S1_DF16_EEvlllT_PT11_llS4_llS2_PT12_llPT13_lli,@function
_ZN12_GLOBAL__N_135rocblas_gemm_batched_general_kernelIDF16_Li16ELi16ELi32ELi32ELi8ELi32ELi8ELi8ELi32ELc78ELc84EKDF16_S1_DF16_EEvlllT_PT11_llS4_llS2_PT12_llPT13_lli: ; @_ZN12_GLOBAL__N_135rocblas_gemm_batched_general_kernelIDF16_Li16ELi16ELi32ELi32ELi8ELi32ELi8ELi8ELi32ELc78ELc84EKDF16_S1_DF16_EEvlllT_PT11_llS4_llS2_PT12_llPT13_lli
; %bb.0:
	s_load_b32 s33, s[0:1], 0x88
	s_bfe_u32 s2, ttmp6, 0x40014
	s_lshr_b32 s3, ttmp7, 16
	s_add_co_i32 s2, s2, 1
	s_bfe_u32 s5, ttmp6, 0x40008
	s_mul_i32 s4, s3, s2
	s_getreg_b32 s2, hwreg(HW_REG_IB_STS2, 6, 4)
	s_add_co_i32 s5, s5, s4
	s_cmp_eq_u32 s2, 0
	s_mov_b32 s35, 0
	s_cselect_b32 s34, s3, s5
	s_wait_kmcnt 0x0
	s_cmp_ge_i32 s34, s33
	s_cbranch_scc1 .LBB355_35
; %bb.1:
	v_bfe_u32 v8, v0, 10, 10
	s_clause 0x4
	s_load_b128 s[4:7], s[0:1], 0x0
	s_load_b256 s[16:23], s[0:1], 0x20
	s_load_b128 s[28:31], s[0:1], 0x40
	s_load_b32 s39, s[0:1], 0x50
	s_load_b128 s[24:27], s[0:1], 0x78
	v_and_b32_e32 v10, 0x3ff, v0
	s_bfe_u32 s3, ttmp6, 0x4000c
	v_dual_lshlrev_b32 v21, 4, v8 :: v_dual_mov_b32 v9, 0
	s_load_b256 s[8:15], s[0:1], 0x58
	s_add_co_i32 s3, s3, 1
	s_bfe_u32 s37, ttmp6, 0x40010
	s_delay_alu instid0(VALU_DEP_1) | instskip(SKIP_3) | instid1(VALU_DEP_2)
	v_dual_add_nc_u32 v1, v21, v10 :: v_dual_bitop2_b32 v0, 7, v0 bitop3:0x40
	v_mov_b32_e32 v3, v9
	s_and_b32 s36, ttmp6, 15
	s_mul_i32 s3, ttmp9, s3
	v_dual_lshrrev_b32 v2, 5, v1 :: v_dual_bitop2_b32 v11, 31, v1 bitop3:0x40
	v_dual_mov_b32 v1, v9 :: v_dual_lshrrev_b32 v12, 3, v1
	v_mov_b32_e32 v13, v9
	s_and_b32 s38, ttmp7, 0xffff
	s_add_co_i32 s37, s37, 1
	s_add_co_i32 s36, s36, s3
	s_mul_i32 s3, s38, s37
	s_bfe_u32 s37, ttmp6, 0x40004
	s_wait_kmcnt 0x0
	v_mul_u64_e32 v[14:15], s[28:29], v[0:1]
	s_add_co_i32 s37, s37, s3
	v_mul_u64_e32 v[16:17], s[18:19], v[2:3]
	s_cmp_eq_u32 s2, 0
	v_lshlrev_b32_e32 v20, 1, v11
	s_cselect_b32 s42, s38, s37
	s_cselect_b32 s2, ttmp9, s36
	s_lshl_b32 s36, s42, 5
	s_mov_b32 s37, s35
	s_ashr_i32 s3, s2, 31
	v_add_nc_u64_e32 v[18:19], s[36:37], v[8:9]
	v_add_nc_u64_e32 v[6:7], s[36:37], v[12:13]
	s_load_b96 s[36:38], s[0:1], 0x10
	v_lshlrev_b32_e32 v8, 1, v0
	s_lshl_b64 s[40:41], s[2:3], 5
	s_cmp_eq_f16 s39, 0
	v_dual_mov_b32 v5, s41 :: v_dual_bitop2_b32 v4, s40, v11 bitop3:0x54
	v_mul_u64_e32 v[22:23], s[10:11], v[18:19]
	s_wait_xcnt 0x0
	v_cmp_gt_i64_e64 s1, s[6:7], v[6:7]
	v_mul_u64_e32 v[6:7], s[24:25], v[18:19]
	v_dual_mov_b32 v11, v9 :: v_dual_lshlrev_b32 v26, 1, v10
	v_lshl_or_b32 v8, v12, 4, v8
	v_cmp_gt_i64_e64 s0, s[4:5], v[4:5]
	s_mov_b32 s43, s35
	v_add_nc_u64_e32 v[4:5], s[40:41], v[10:11]
	s_cselect_b32 s40, -1, 0
	s_lshl_b32 s42, s42, 6
	s_lshl_b64 s[2:3], s[2:3], 6
	v_add_nc_u32_e32 v25, 0x200, v8
	v_add_nc_u32_e32 v27, 0x200, v21
	v_lshl_add_u64 v[14:15], v[14:15], 1, s[42:43]
	v_dual_mov_b32 v21, v9 :: v_dual_lshlrev_b32 v8, 1, v12
	v_lshl_add_u64 v[12:13], v[16:17], 1, s[2:3]
	v_add_nc_u64_e32 v[10:11], 16, v[4:5]
	v_add_nc_u64_e32 v[28:29], 16, v[18:19]
	s_delay_alu instid0(VALU_DEP_4)
	v_add_nc_u64_e32 v[14:15], v[14:15], v[8:9]
	v_cmp_gt_i64_e64 s2, s[6:7], v[18:19]
	v_add_nc_u64_e32 v[12:13], v[12:13], v[20:21]
	v_cmp_gt_i64_e64 s3, s[4:5], v[4:5]
	v_lshl_or_b32 v24, v2, 6, v20
	v_cmp_gt_i64_e64 s4, s[4:5], v[10:11]
	v_cmp_gt_i64_e64 s5, s[6:7], v[28:29]
	s_lshl_b64 s[6:7], s[24:25], 4
	v_add_nc_u64_e32 v[10:11], s[22:23], v[14:15]
	v_add_nc_u64_e32 v[12:13], s[16:17], v[12:13]
	s_wait_kmcnt 0x0
	v_cmp_gt_i64_e64 s24, s[36:37], 0
	s_lshl_b64 s[10:11], s[10:11], 4
	v_lshl_add_u64 v[8:9], v[22:23], 1, s[8:9]
	s_lshl_b64 s[8:9], s[30:31], 1
	s_lshl_b64 s[16:17], s[28:29], 4
	;; [unrolled: 1-line block ×4, first 2 shown]
	s_branch .LBB355_4
.LBB355_2:                              ;   in Loop: Header=BB355_4 Depth=1
	s_wait_xcnt 0x0
	s_or_b32 exec_lo, exec_lo, s25
.LBB355_3:                              ;   in Loop: Header=BB355_4 Depth=1
	s_add_co_i32 s34, s34, 0x10000
	s_delay_alu instid0(SALU_CYCLE_1)
	s_cmp_lt_i32 s34, s33
	s_cbranch_scc0 .LBB355_35
.LBB355_4:                              ; =>This Loop Header: Depth=1
                                        ;     Child Loop BB355_7 Depth 2
	s_and_not1_b32 vcc_lo, exec_lo, s24
	s_cbranch_vccnz .LBB355_11
; %bb.5:                                ;   in Loop: Header=BB355_4 Depth=1
	v_mad_nc_u64_u32 v[14:15], s8, s34, v[10:11]
	v_mad_nc_u64_u32 v[16:17], s20, s34, v[12:13]
	v_dual_mov_b32 v29, 0 :: v_dual_mov_b32 v28, 0
	s_mov_b64 s[22:23], 0
	s_delay_alu instid0(VALU_DEP_3) | instskip(NEXT) | instid1(VALU_DEP_3)
	v_mad_u32 v15, s9, s34, v15
	v_mad_u32 v17, s21, s34, v17
	s_branch .LBB355_7
.LBB355_6:                              ;   in Loop: Header=BB355_7 Depth=2
	s_wait_xcnt 0x0
	s_or_b32 exec_lo, exec_lo, s25
	s_wait_loadcnt 0x0
	ds_store_b16 v25, v19
	s_wait_dscnt 0x0
	s_barrier_signal -1
	s_barrier_wait -1
	ds_load_u16 v22, v26
	ds_load_u16 v23, v26 offset:32
	ds_load_u16 v34, v26 offset:64
	;; [unrolled: 1-line block ×3, first 2 shown]
	ds_load_b128 v[18:21], v27
	ds_load_b128 v[30:33], v27 offset:256
	ds_load_u16 v36, v26 offset:128
	ds_load_u16 v37, v26 offset:160
	;; [unrolled: 1-line block ×6, first 2 shown]
	s_add_nc_u64 s[22:23], s[22:23], 8
	v_add_nc_u64_e32 v[14:15], s[16:17], v[14:15]
	v_cmp_lt_i64_e64 s25, s[22:23], s[36:37]
	v_add_nc_u64_e32 v[16:17], s[18:19], v[16:17]
	s_wait_dscnt 0xa
	v_perm_b32 v22, v23, v22, 0x5040100
	ds_load_u16 v23, v26 offset:320
	ds_load_u16 v42, v26 offset:352
	s_wait_dscnt 0xa
	v_perm_b32 v34, v35, v34, 0x5040100
	s_and_b32 vcc_lo, exec_lo, s25
	s_wait_dscnt 0x9
	v_pk_fma_f16 v29, v22, v18, v29 op_sel_hi:[1,0,1]
	s_wait_dscnt 0x8
	v_pk_fma_f16 v22, v22, v30, v28 op_sel_hi:[1,0,1]
	ds_load_u16 v28, v26 offset:384
	ds_load_u16 v35, v26 offset:416
	s_wait_dscnt 0x8
	v_perm_b32 v36, v37, v36, 0x5040100
	v_pk_fma_f16 v18, v34, v18, v29 op_sel:[0,1,0]
	v_pk_fma_f16 v22, v34, v30, v22 op_sel:[0,1,0]
	ds_load_u16 v29, v26 offset:448
	ds_load_u16 v30, v26 offset:480
	s_wait_dscnt 0x8
	v_perm_b32 v34, v39, v38, 0x5040100
	s_wait_dscnt 0x0
	v_pk_fma_f16 v18, v36, v19, v18 op_sel_hi:[1,0,1]
	v_pk_fma_f16 v22, v36, v31, v22 op_sel_hi:[1,0,1]
	v_perm_b32 v36, v41, v40, 0x5040100
	s_barrier_signal -1
	s_barrier_wait -1
	v_pk_fma_f16 v18, v34, v19, v18 op_sel:[0,1,0]
	v_pk_fma_f16 v19, v34, v31, v22 op_sel:[0,1,0]
	v_perm_b32 v22, v42, v23, 0x5040100
	s_delay_alu instid0(VALU_DEP_3) | instskip(NEXT) | instid1(VALU_DEP_3)
	v_pk_fma_f16 v18, v36, v20, v18 op_sel_hi:[1,0,1]
	v_pk_fma_f16 v19, v36, v32, v19 op_sel_hi:[1,0,1]
	v_perm_b32 v23, v35, v28, 0x5040100
	s_delay_alu instid0(VALU_DEP_3) | instskip(NEXT) | instid1(VALU_DEP_3)
	v_pk_fma_f16 v18, v22, v20, v18 op_sel:[0,1,0]
	v_pk_fma_f16 v19, v22, v32, v19 op_sel:[0,1,0]
	v_perm_b32 v20, v30, v29, 0x5040100
	s_delay_alu instid0(VALU_DEP_3) | instskip(NEXT) | instid1(VALU_DEP_3)
	v_pk_fma_f16 v18, v23, v21, v18 op_sel_hi:[1,0,1]
	v_pk_fma_f16 v19, v23, v33, v19 op_sel_hi:[1,0,1]
	s_delay_alu instid0(VALU_DEP_2) | instskip(NEXT) | instid1(VALU_DEP_2)
	v_pk_fma_f16 v29, v20, v21, v18 op_sel:[0,1,0]
	v_pk_fma_f16 v28, v20, v33, v19 op_sel:[0,1,0]
	s_cbranch_vccz .LBB355_12
.LBB355_7:                              ;   Parent Loop BB355_4 Depth=1
                                        ; =>  This Inner Loop Header: Depth=2
	v_add_nc_u64_e32 v[18:19], s[22:23], v[2:3]
	s_delay_alu instid0(VALU_DEP_1) | instskip(SKIP_2) | instid1(SALU_CYCLE_1)
	v_cmp_gt_i64_e32 vcc_lo, s[36:37], v[18:19]
	v_mov_b32_e32 v18, 0
	s_and_b32 s28, s0, vcc_lo
	s_and_saveexec_b32 s25, s28
	s_cbranch_execz .LBB355_9
; %bb.8:                                ;   in Loop: Header=BB355_7 Depth=2
	global_load_u16 v18, v[16:17], off
.LBB355_9:                              ;   in Loop: Header=BB355_7 Depth=2
	s_wait_xcnt 0x0
	s_or_b32 exec_lo, exec_lo, s25
	v_add_nc_u64_e32 v[20:21], s[22:23], v[0:1]
	v_mov_b32_e32 v19, 0
	s_wait_loadcnt 0x0
	ds_store_b16 v24, v18
	v_cmp_gt_i64_e32 vcc_lo, s[36:37], v[20:21]
	s_and_b32 s28, vcc_lo, s1
	s_delay_alu instid0(SALU_CYCLE_1)
	s_and_saveexec_b32 s25, s28
	s_cbranch_execz .LBB355_6
; %bb.10:                               ;   in Loop: Header=BB355_7 Depth=2
	global_load_u16 v19, v[14:15], off
	s_branch .LBB355_6
.LBB355_11:                             ;   in Loop: Header=BB355_4 Depth=1
	v_dual_mov_b32 v28, 0 :: v_dual_mov_b32 v29, 0
.LBB355_12:                             ;   in Loop: Header=BB355_4 Depth=1
	s_mul_u64 s[22:23], s[26:27], s[34:35]
	s_and_not1_b32 vcc_lo, exec_lo, s40
	s_lshl_b64 s[22:23], s[22:23], 1
	s_delay_alu instid0(SALU_CYCLE_1)
	s_add_nc_u64 s[22:23], s[14:15], s[22:23]
	s_cbranch_vccnz .LBB355_17
; %bb.13:                               ;   in Loop: Header=BB355_4 Depth=1
	s_and_saveexec_b32 s25, s2
	s_cbranch_execz .LBB355_24
; %bb.14:                               ;   in Loop: Header=BB355_4 Depth=1
	v_lshl_add_u64 v[14:15], v[6:7], 1, s[22:23]
	s_delay_alu instid0(VALU_DEP_1)
	v_lshl_add_u64 v[16:17], v[4:5], 1, v[14:15]
	s_and_saveexec_b32 s28, s3
	s_cbranch_execnz .LBB355_18
; %bb.15:                               ;   in Loop: Header=BB355_4 Depth=1
	s_or_b32 exec_lo, exec_lo, s28
	s_and_saveexec_b32 s28, s4
	s_cbranch_execnz .LBB355_19
.LBB355_16:                             ;   in Loop: Header=BB355_4 Depth=1
	s_or_b32 exec_lo, exec_lo, s28
	s_delay_alu instid0(SALU_CYCLE_1)
	s_and_b32 exec_lo, exec_lo, s5
	s_cbranch_execnz .LBB355_20
	s_branch .LBB355_24
.LBB355_17:                             ;   in Loop: Header=BB355_4 Depth=1
	s_branch .LBB355_25
.LBB355_18:                             ;   in Loop: Header=BB355_4 Depth=1
	v_mul_f16_e32 v18, s38, v29
	global_store_b16 v[16:17], v18, off
	s_wait_xcnt 0x0
	s_or_b32 exec_lo, exec_lo, s28
	s_and_saveexec_b32 s28, s4
	s_cbranch_execz .LBB355_16
.LBB355_19:                             ;   in Loop: Header=BB355_4 Depth=1
	v_lshrrev_b32_e32 v18, 16, v29
	s_delay_alu instid0(VALU_DEP_1) | instskip(SKIP_3) | instid1(SALU_CYCLE_1)
	v_mul_f16_e32 v18, s38, v18
	global_store_b16 v[16:17], v18, off offset:32
	s_wait_xcnt 0x0
	s_or_b32 exec_lo, exec_lo, s28
	s_and_b32 exec_lo, exec_lo, s5
	s_cbranch_execz .LBB355_24
.LBB355_20:                             ;   in Loop: Header=BB355_4 Depth=1
	v_lshl_add_u64 v[14:15], s[6:7], 1, v[14:15]
	s_delay_alu instid0(VALU_DEP_1)
	v_lshl_add_u64 v[14:15], v[4:5], 1, v[14:15]
	s_and_saveexec_b32 s28, s3
	s_cbranch_execz .LBB355_22
; %bb.21:                               ;   in Loop: Header=BB355_4 Depth=1
	v_mul_f16_e32 v16, s38, v28
	global_store_b16 v[14:15], v16, off
.LBB355_22:                             ;   in Loop: Header=BB355_4 Depth=1
	s_wait_xcnt 0x0
	s_or_b32 exec_lo, exec_lo, s28
	s_delay_alu instid0(SALU_CYCLE_1)
	s_and_b32 exec_lo, exec_lo, s4
	s_cbranch_execz .LBB355_24
; %bb.23:                               ;   in Loop: Header=BB355_4 Depth=1
	v_lshrrev_b32_e32 v16, 16, v28
	s_delay_alu instid0(VALU_DEP_1)
	v_mul_f16_e32 v16, s38, v16
	global_store_b16 v[14:15], v16, off offset:32
.LBB355_24:                             ;   in Loop: Header=BB355_4 Depth=1
	s_wait_xcnt 0x0
	s_or_b32 exec_lo, exec_lo, s25
	s_cbranch_execnz .LBB355_3
.LBB355_25:                             ;   in Loop: Header=BB355_4 Depth=1
	s_and_saveexec_b32 s25, s2
	s_cbranch_execz .LBB355_2
; %bb.26:                               ;   in Loop: Header=BB355_4 Depth=1
	s_mul_u64 s[28:29], s[12:13], s[34:35]
	v_lshlrev_b64_e32 v[14:15], 1, v[4:5]
	v_lshl_add_u64 v[16:17], s[28:29], 1, v[8:9]
	v_lshl_add_u64 v[18:19], v[6:7], 1, s[22:23]
	s_delay_alu instid0(VALU_DEP_2) | instskip(NEXT) | instid1(VALU_DEP_2)
	v_add_nc_u64_e32 v[22:23], v[16:17], v[14:15]
	v_add_nc_u64_e32 v[20:21], v[18:19], v[14:15]
	s_and_saveexec_b32 s22, s3
	s_cbranch_execnz .LBB355_29
; %bb.27:                               ;   in Loop: Header=BB355_4 Depth=1
	s_or_b32 exec_lo, exec_lo, s22
	s_and_saveexec_b32 s22, s4
	s_cbranch_execnz .LBB355_30
.LBB355_28:                             ;   in Loop: Header=BB355_4 Depth=1
	s_or_b32 exec_lo, exec_lo, s22
	s_delay_alu instid0(SALU_CYCLE_1)
	s_and_b32 exec_lo, exec_lo, s5
	s_cbranch_execz .LBB355_2
	s_branch .LBB355_31
.LBB355_29:                             ;   in Loop: Header=BB355_4 Depth=1
	global_load_u16 v30, v[22:23], off
	s_wait_loadcnt 0x0
	v_mul_f16_e32 v30, s39, v30
	s_delay_alu instid0(VALU_DEP_1)
	v_fmac_f16_e32 v30, s38, v29
	global_store_b16 v[20:21], v30, off
	s_wait_xcnt 0x0
	s_or_b32 exec_lo, exec_lo, s22
	s_and_saveexec_b32 s22, s4
	s_cbranch_execz .LBB355_28
.LBB355_30:                             ;   in Loop: Header=BB355_4 Depth=1
	global_load_u16 v22, v[22:23], off offset:32
	s_wait_xcnt 0x0
	v_lshrrev_b32_e32 v23, 16, v29
	s_wait_loadcnt 0x0
	v_mul_f16_e32 v22, s39, v22
	s_delay_alu instid0(VALU_DEP_1) | instskip(SKIP_3) | instid1(SALU_CYCLE_1)
	v_fmac_f16_e32 v22, s38, v23
	global_store_b16 v[20:21], v22, off offset:32
	s_wait_xcnt 0x0
	s_or_b32 exec_lo, exec_lo, s22
	s_and_b32 exec_lo, exec_lo, s5
	s_cbranch_execz .LBB355_2
.LBB355_31:                             ;   in Loop: Header=BB355_4 Depth=1
	v_lshl_add_u64 v[16:17], s[10:11], 1, v[16:17]
	v_lshl_add_u64 v[18:19], s[6:7], 1, v[18:19]
	s_delay_alu instid0(VALU_DEP_2) | instskip(NEXT) | instid1(VALU_DEP_2)
	v_add_nc_u64_e32 v[16:17], v[16:17], v[14:15]
	v_add_nc_u64_e32 v[14:15], v[18:19], v[14:15]
	s_and_saveexec_b32 s22, s3
	s_cbranch_execz .LBB355_33
; %bb.32:                               ;   in Loop: Header=BB355_4 Depth=1
	global_load_u16 v18, v[16:17], off
	s_wait_loadcnt 0x0
	v_mul_f16_e32 v18, s39, v18
	s_delay_alu instid0(VALU_DEP_1)
	v_fmac_f16_e32 v18, s38, v28
	global_store_b16 v[14:15], v18, off
.LBB355_33:                             ;   in Loop: Header=BB355_4 Depth=1
	s_wait_xcnt 0x0
	s_or_b32 exec_lo, exec_lo, s22
	s_delay_alu instid0(SALU_CYCLE_1)
	s_and_b32 exec_lo, exec_lo, s4
	s_cbranch_execz .LBB355_2
; %bb.34:                               ;   in Loop: Header=BB355_4 Depth=1
	global_load_u16 v16, v[16:17], off offset:32
	s_wait_xcnt 0x0
	v_lshrrev_b32_e32 v17, 16, v28
	s_wait_loadcnt 0x0
	v_mul_f16_e32 v16, s39, v16
	s_delay_alu instid0(VALU_DEP_1)
	v_fmac_f16_e32 v16, s38, v17
	global_store_b16 v[14:15], v16, off offset:32
	s_branch .LBB355_2
.LBB355_35:
	s_endpgm
	.section	.rodata,"a",@progbits
	.p2align	6, 0x0
	.amdhsa_kernel _ZN12_GLOBAL__N_135rocblas_gemm_batched_general_kernelIDF16_Li16ELi16ELi32ELi32ELi8ELi32ELi8ELi8ELi32ELc78ELc84EKDF16_S1_DF16_EEvlllT_PT11_llS4_llS2_PT12_llPT13_lli
		.amdhsa_group_segment_fixed_size 1024
		.amdhsa_private_segment_fixed_size 0
		.amdhsa_kernarg_size 140
		.amdhsa_user_sgpr_count 2
		.amdhsa_user_sgpr_dispatch_ptr 0
		.amdhsa_user_sgpr_queue_ptr 0
		.amdhsa_user_sgpr_kernarg_segment_ptr 1
		.amdhsa_user_sgpr_dispatch_id 0
		.amdhsa_user_sgpr_kernarg_preload_length 0
		.amdhsa_user_sgpr_kernarg_preload_offset 0
		.amdhsa_user_sgpr_private_segment_size 0
		.amdhsa_wavefront_size32 1
		.amdhsa_uses_dynamic_stack 0
		.amdhsa_enable_private_segment 0
		.amdhsa_system_sgpr_workgroup_id_x 1
		.amdhsa_system_sgpr_workgroup_id_y 1
		.amdhsa_system_sgpr_workgroup_id_z 1
		.amdhsa_system_sgpr_workgroup_info 0
		.amdhsa_system_vgpr_workitem_id 1
		.amdhsa_next_free_vgpr 43
		.amdhsa_next_free_sgpr 44
		.amdhsa_named_barrier_count 0
		.amdhsa_reserve_vcc 1
		.amdhsa_float_round_mode_32 0
		.amdhsa_float_round_mode_16_64 0
		.amdhsa_float_denorm_mode_32 3
		.amdhsa_float_denorm_mode_16_64 3
		.amdhsa_fp16_overflow 0
		.amdhsa_memory_ordered 1
		.amdhsa_forward_progress 1
		.amdhsa_inst_pref_size 15
		.amdhsa_round_robin_scheduling 0
		.amdhsa_exception_fp_ieee_invalid_op 0
		.amdhsa_exception_fp_denorm_src 0
		.amdhsa_exception_fp_ieee_div_zero 0
		.amdhsa_exception_fp_ieee_overflow 0
		.amdhsa_exception_fp_ieee_underflow 0
		.amdhsa_exception_fp_ieee_inexact 0
		.amdhsa_exception_int_div_zero 0
	.end_amdhsa_kernel
	.section	.text._ZN12_GLOBAL__N_135rocblas_gemm_batched_general_kernelIDF16_Li16ELi16ELi32ELi32ELi8ELi32ELi8ELi8ELi32ELc78ELc84EKDF16_S1_DF16_EEvlllT_PT11_llS4_llS2_PT12_llPT13_lli,"axG",@progbits,_ZN12_GLOBAL__N_135rocblas_gemm_batched_general_kernelIDF16_Li16ELi16ELi32ELi32ELi8ELi32ELi8ELi8ELi32ELc78ELc84EKDF16_S1_DF16_EEvlllT_PT11_llS4_llS2_PT12_llPT13_lli,comdat
.Lfunc_end355:
	.size	_ZN12_GLOBAL__N_135rocblas_gemm_batched_general_kernelIDF16_Li16ELi16ELi32ELi32ELi8ELi32ELi8ELi8ELi32ELc78ELc84EKDF16_S1_DF16_EEvlllT_PT11_llS4_llS2_PT12_llPT13_lli, .Lfunc_end355-_ZN12_GLOBAL__N_135rocblas_gemm_batched_general_kernelIDF16_Li16ELi16ELi32ELi32ELi8ELi32ELi8ELi8ELi32ELc78ELc84EKDF16_S1_DF16_EEvlllT_PT11_llS4_llS2_PT12_llPT13_lli
                                        ; -- End function
	.set _ZN12_GLOBAL__N_135rocblas_gemm_batched_general_kernelIDF16_Li16ELi16ELi32ELi32ELi8ELi32ELi8ELi8ELi32ELc78ELc84EKDF16_S1_DF16_EEvlllT_PT11_llS4_llS2_PT12_llPT13_lli.num_vgpr, 43
	.set _ZN12_GLOBAL__N_135rocblas_gemm_batched_general_kernelIDF16_Li16ELi16ELi32ELi32ELi8ELi32ELi8ELi8ELi32ELc78ELc84EKDF16_S1_DF16_EEvlllT_PT11_llS4_llS2_PT12_llPT13_lli.num_agpr, 0
	.set _ZN12_GLOBAL__N_135rocblas_gemm_batched_general_kernelIDF16_Li16ELi16ELi32ELi32ELi8ELi32ELi8ELi8ELi32ELc78ELc84EKDF16_S1_DF16_EEvlllT_PT11_llS4_llS2_PT12_llPT13_lli.numbered_sgpr, 44
	.set _ZN12_GLOBAL__N_135rocblas_gemm_batched_general_kernelIDF16_Li16ELi16ELi32ELi32ELi8ELi32ELi8ELi8ELi32ELc78ELc84EKDF16_S1_DF16_EEvlllT_PT11_llS4_llS2_PT12_llPT13_lli.num_named_barrier, 0
	.set _ZN12_GLOBAL__N_135rocblas_gemm_batched_general_kernelIDF16_Li16ELi16ELi32ELi32ELi8ELi32ELi8ELi8ELi32ELc78ELc84EKDF16_S1_DF16_EEvlllT_PT11_llS4_llS2_PT12_llPT13_lli.private_seg_size, 0
	.set _ZN12_GLOBAL__N_135rocblas_gemm_batched_general_kernelIDF16_Li16ELi16ELi32ELi32ELi8ELi32ELi8ELi8ELi32ELc78ELc84EKDF16_S1_DF16_EEvlllT_PT11_llS4_llS2_PT12_llPT13_lli.uses_vcc, 1
	.set _ZN12_GLOBAL__N_135rocblas_gemm_batched_general_kernelIDF16_Li16ELi16ELi32ELi32ELi8ELi32ELi8ELi8ELi32ELc78ELc84EKDF16_S1_DF16_EEvlllT_PT11_llS4_llS2_PT12_llPT13_lli.uses_flat_scratch, 0
	.set _ZN12_GLOBAL__N_135rocblas_gemm_batched_general_kernelIDF16_Li16ELi16ELi32ELi32ELi8ELi32ELi8ELi8ELi32ELc78ELc84EKDF16_S1_DF16_EEvlllT_PT11_llS4_llS2_PT12_llPT13_lli.has_dyn_sized_stack, 0
	.set _ZN12_GLOBAL__N_135rocblas_gemm_batched_general_kernelIDF16_Li16ELi16ELi32ELi32ELi8ELi32ELi8ELi8ELi32ELc78ELc84EKDF16_S1_DF16_EEvlllT_PT11_llS4_llS2_PT12_llPT13_lli.has_recursion, 0
	.set _ZN12_GLOBAL__N_135rocblas_gemm_batched_general_kernelIDF16_Li16ELi16ELi32ELi32ELi8ELi32ELi8ELi8ELi32ELc78ELc84EKDF16_S1_DF16_EEvlllT_PT11_llS4_llS2_PT12_llPT13_lli.has_indirect_call, 0
	.section	.AMDGPU.csdata,"",@progbits
; Kernel info:
; codeLenInByte = 1856
; TotalNumSgprs: 46
; NumVgprs: 43
; ScratchSize: 0
; MemoryBound: 0
; FloatMode: 240
; IeeeMode: 1
; LDSByteSize: 1024 bytes/workgroup (compile time only)
; SGPRBlocks: 0
; VGPRBlocks: 2
; NumSGPRsForWavesPerEU: 46
; NumVGPRsForWavesPerEU: 43
; NamedBarCnt: 0
; Occupancy: 16
; WaveLimiterHint : 0
; COMPUTE_PGM_RSRC2:SCRATCH_EN: 0
; COMPUTE_PGM_RSRC2:USER_SGPR: 2
; COMPUTE_PGM_RSRC2:TRAP_HANDLER: 0
; COMPUTE_PGM_RSRC2:TGID_X_EN: 1
; COMPUTE_PGM_RSRC2:TGID_Y_EN: 1
; COMPUTE_PGM_RSRC2:TGID_Z_EN: 1
; COMPUTE_PGM_RSRC2:TIDIG_COMP_CNT: 1
	.section	.text._ZN12_GLOBAL__N_135rocblas_gemm_batched_general_kernelIDF16_Li16ELi16ELi32ELi32ELi8ELi32ELi8ELi8ELi32ELc84ELc84EKDF16_S1_DF16_EEvlllT_PT11_llS4_llS2_PT12_llPT13_lli,"axG",@progbits,_ZN12_GLOBAL__N_135rocblas_gemm_batched_general_kernelIDF16_Li16ELi16ELi32ELi32ELi8ELi32ELi8ELi8ELi32ELc84ELc84EKDF16_S1_DF16_EEvlllT_PT11_llS4_llS2_PT12_llPT13_lli,comdat
	.globl	_ZN12_GLOBAL__N_135rocblas_gemm_batched_general_kernelIDF16_Li16ELi16ELi32ELi32ELi8ELi32ELi8ELi8ELi32ELc84ELc84EKDF16_S1_DF16_EEvlllT_PT11_llS4_llS2_PT12_llPT13_lli ; -- Begin function _ZN12_GLOBAL__N_135rocblas_gemm_batched_general_kernelIDF16_Li16ELi16ELi32ELi32ELi8ELi32ELi8ELi8ELi32ELc84ELc84EKDF16_S1_DF16_EEvlllT_PT11_llS4_llS2_PT12_llPT13_lli
	.p2align	8
	.type	_ZN12_GLOBAL__N_135rocblas_gemm_batched_general_kernelIDF16_Li16ELi16ELi32ELi32ELi8ELi32ELi8ELi8ELi32ELc84ELc84EKDF16_S1_DF16_EEvlllT_PT11_llS4_llS2_PT12_llPT13_lli,@function
_ZN12_GLOBAL__N_135rocblas_gemm_batched_general_kernelIDF16_Li16ELi16ELi32ELi32ELi8ELi32ELi8ELi8ELi32ELc84ELc84EKDF16_S1_DF16_EEvlllT_PT11_llS4_llS2_PT12_llPT13_lli: ; @_ZN12_GLOBAL__N_135rocblas_gemm_batched_general_kernelIDF16_Li16ELi16ELi32ELi32ELi8ELi32ELi8ELi8ELi32ELc84ELc84EKDF16_S1_DF16_EEvlllT_PT11_llS4_llS2_PT12_llPT13_lli
; %bb.0:
	s_load_b32 s33, s[0:1], 0x88
	s_bfe_u32 s2, ttmp6, 0x40014
	s_lshr_b32 s3, ttmp7, 16
	s_add_co_i32 s2, s2, 1
	s_bfe_u32 s5, ttmp6, 0x40008
	s_mul_i32 s4, s3, s2
	s_getreg_b32 s2, hwreg(HW_REG_IB_STS2, 6, 4)
	s_add_co_i32 s5, s5, s4
	s_cmp_eq_u32 s2, 0
	s_mov_b32 s35, 0
	s_cselect_b32 s34, s3, s5
	s_wait_kmcnt 0x0
	s_cmp_ge_i32 s34, s33
	s_cbranch_scc1 .LBB356_35
; %bb.1:
	s_clause 0x4
	s_load_b128 s[4:7], s[0:1], 0x0
	s_load_b256 s[16:23], s[0:1], 0x20
	s_load_b128 s[28:31], s[0:1], 0x40
	s_load_b32 s39, s[0:1], 0x50
	s_load_b256 s[8:15], s[0:1], 0x58
	v_bfe_u32 v8, v0, 10, 10
	v_and_b32_e32 v10, 0x3ff, v0
	s_bfe_u32 s3, ttmp6, 0x4000c
	v_mov_b32_e32 v9, 0
	s_bfe_u32 s25, ttmp6, 0x40010
	v_lshlrev_b32_e32 v22, 4, v8
	s_add_co_i32 s3, s3, 1
	s_and_b32 s26, ttmp7, 0xffff
	s_add_co_i32 s25, s25, 1
	s_and_b32 s24, ttmp6, 15
	s_mul_i32 s3, ttmp9, s3
	s_mul_i32 s25, s26, s25
	s_bfe_u32 s27, ttmp6, 0x40004
	v_dual_add_nc_u32 v2, v22, v10 :: v_dual_bitop2_b32 v0, 7, v0 bitop3:0x40
	v_mov_b32_e32 v1, v9
	s_add_co_i32 s24, s24, s3
	s_add_co_i32 s27, s27, s25
	s_cmp_eq_u32 s2, 0
	v_and_b32_e32 v3, 31, v2
	s_cselect_b32 s2, ttmp9, s24
	s_wait_kmcnt 0x0
	v_mul_u64_e32 v[12:13], s[28:29], v[0:1]
	s_cselect_b32 s42, s26, s27
	s_ashr_i32 s3, s2, 31
	s_clause 0x1
	s_load_b128 s[24:27], s[0:1], 0x78
	s_load_b96 s[36:38], s[0:1], 0x10
	s_lshl_b64 s[2:3], s[2:3], 5
	s_lshl_b32 s40, s42, 5
	v_dual_mov_b32 v5, s3 :: v_dual_bitop2_b32 v4, s2, v3 bitop3:0x54
	s_mov_b32 s41, s35
	v_dual_mov_b32 v17, v9 :: v_dual_lshrrev_b32 v16, 3, v2
	v_add_nc_u64_e32 v[14:15], s[40:41], v[8:9]
	s_delay_alu instid0(VALU_DEP_3)
	v_mul_u64_e32 v[18:19], s[18:19], v[4:5]
	v_dual_mov_b32 v11, v9 :: v_dual_lshrrev_b32 v2, 5, v2
	v_dual_mov_b32 v3, v9 :: v_dual_lshlrev_b32 v8, 1, v3
	v_add_nc_u64_e32 v[6:7], s[40:41], v[16:17]
	v_mul_u64_e32 v[20:21], s[10:11], v[14:15]
	s_wait_xcnt 0x0
	v_cmp_gt_i64_e64 s0, s[4:5], v[4:5]
	v_dual_lshlrev_b32 v17, 1, v0 :: v_dual_lshlrev_b32 v26, 1, v10
	s_wait_kmcnt 0x0
	v_mul_u64_e32 v[4:5], s[24:25], v[14:15]
	s_cmp_eq_f16 s39, 0
	v_lshl_or_b32 v24, v2, 6, v8
	v_lshl_or_b32 v8, v16, 4, v17
	v_cmp_gt_i64_e64 s1, s[6:7], v[6:7]
	s_cselect_b32 s40, -1, 0
	v_add_nc_u64_e32 v[6:7], s[2:3], v[10:11]
	s_lshl_b32 s2, s42, 6
	s_mov_b32 s3, s35
	v_add_nc_u32_e32 v25, 0x200, v8
	v_lshl_add_u64 v[12:13], v[12:13], 1, s[2:3]
	v_lshlrev_b32_e32 v8, 1, v16
	v_add_nc_u64_e32 v[16:17], 16, v[14:15]
	v_add_nc_u64_e32 v[10:11], 16, v[6:7]
	v_cmp_gt_i64_e64 s2, s[6:7], v[14:15]
	v_cmp_gt_i64_e64 s3, s[4:5], v[6:7]
	v_add_nc_u64_e32 v[12:13], v[12:13], v[8:9]
	v_lshlrev_b32_e32 v8, 1, v2
	v_add_nc_u32_e32 v27, 0x200, v22
	s_lshl_b64 s[10:11], s[10:11], 4
	v_cmp_gt_i64_e64 s4, s[4:5], v[10:11]
	v_cmp_gt_i64_e64 s5, s[6:7], v[16:17]
	v_lshl_add_u64 v[14:15], v[18:19], 1, v[8:9]
	v_add_nc_u64_e32 v[10:11], s[22:23], v[12:13]
	v_cmp_gt_i64_e64 s22, s[36:37], 0
	s_lshl_b64 s[6:7], s[24:25], 4
	s_lshl_b64 s[18:19], s[20:21], 1
	v_add_nc_u64_e32 v[12:13], s[16:17], v[14:15]
	v_lshl_add_u64 v[8:9], v[20:21], 1, s[8:9]
	s_lshl_b64 s[8:9], s[30:31], 1
	s_lshl_b64 s[16:17], s[28:29], 4
	s_branch .LBB356_4
.LBB356_2:                              ;   in Loop: Header=BB356_4 Depth=1
	s_wait_xcnt 0x0
	s_or_b32 exec_lo, exec_lo, s23
.LBB356_3:                              ;   in Loop: Header=BB356_4 Depth=1
	s_add_co_i32 s34, s34, 0x10000
	s_delay_alu instid0(SALU_CYCLE_1)
	s_cmp_lt_i32 s34, s33
	s_cbranch_scc0 .LBB356_35
.LBB356_4:                              ; =>This Loop Header: Depth=1
                                        ;     Child Loop BB356_7 Depth 2
	s_and_not1_b32 vcc_lo, exec_lo, s22
	s_cbranch_vccnz .LBB356_11
; %bb.5:                                ;   in Loop: Header=BB356_4 Depth=1
	v_mad_nc_u64_u32 v[14:15], s8, s34, v[10:11]
	v_mad_nc_u64_u32 v[16:17], s18, s34, v[12:13]
	v_dual_mov_b32 v29, 0 :: v_dual_mov_b32 v28, 0
	s_mov_b64 s[20:21], 0
	s_delay_alu instid0(VALU_DEP_3) | instskip(NEXT) | instid1(VALU_DEP_3)
	v_mad_u32 v15, s9, s34, v15
	v_mad_u32 v17, s19, s34, v17
	s_branch .LBB356_7
.LBB356_6:                              ;   in Loop: Header=BB356_7 Depth=2
	s_wait_xcnt 0x0
	s_or_b32 exec_lo, exec_lo, s23
	s_wait_loadcnt 0x0
	ds_store_b16 v25, v19
	s_wait_dscnt 0x0
	s_barrier_signal -1
	s_barrier_wait -1
	ds_load_u16 v22, v26
	ds_load_u16 v23, v26 offset:32
	ds_load_u16 v34, v26 offset:64
	;; [unrolled: 1-line block ×3, first 2 shown]
	ds_load_b128 v[18:21], v27
	ds_load_b128 v[30:33], v27 offset:256
	ds_load_u16 v36, v26 offset:128
	ds_load_u16 v37, v26 offset:160
	;; [unrolled: 1-line block ×6, first 2 shown]
	s_add_nc_u64 s[20:21], s[20:21], 8
	v_add_nc_u64_e32 v[14:15], s[16:17], v[14:15]
	v_cmp_lt_i64_e64 s23, s[20:21], s[36:37]
	v_add_nc_u64_e32 v[16:17], 16, v[16:17]
	s_wait_dscnt 0xa
	v_perm_b32 v22, v23, v22, 0x5040100
	ds_load_u16 v23, v26 offset:320
	ds_load_u16 v42, v26 offset:352
	s_wait_dscnt 0xa
	v_perm_b32 v34, v35, v34, 0x5040100
	s_and_b32 vcc_lo, exec_lo, s23
	s_wait_dscnt 0x9
	v_pk_fma_f16 v29, v22, v18, v29 op_sel_hi:[1,0,1]
	s_wait_dscnt 0x8
	v_pk_fma_f16 v22, v22, v30, v28 op_sel_hi:[1,0,1]
	ds_load_u16 v28, v26 offset:384
	ds_load_u16 v35, v26 offset:416
	s_wait_dscnt 0x8
	v_perm_b32 v36, v37, v36, 0x5040100
	v_pk_fma_f16 v18, v34, v18, v29 op_sel:[0,1,0]
	v_pk_fma_f16 v22, v34, v30, v22 op_sel:[0,1,0]
	ds_load_u16 v29, v26 offset:448
	ds_load_u16 v30, v26 offset:480
	s_wait_dscnt 0x8
	v_perm_b32 v34, v39, v38, 0x5040100
	s_wait_dscnt 0x0
	v_pk_fma_f16 v18, v36, v19, v18 op_sel_hi:[1,0,1]
	v_pk_fma_f16 v22, v36, v31, v22 op_sel_hi:[1,0,1]
	v_perm_b32 v36, v41, v40, 0x5040100
	s_barrier_signal -1
	s_barrier_wait -1
	v_pk_fma_f16 v18, v34, v19, v18 op_sel:[0,1,0]
	v_pk_fma_f16 v19, v34, v31, v22 op_sel:[0,1,0]
	v_perm_b32 v22, v42, v23, 0x5040100
	s_delay_alu instid0(VALU_DEP_3) | instskip(NEXT) | instid1(VALU_DEP_3)
	v_pk_fma_f16 v18, v36, v20, v18 op_sel_hi:[1,0,1]
	v_pk_fma_f16 v19, v36, v32, v19 op_sel_hi:[1,0,1]
	v_perm_b32 v23, v35, v28, 0x5040100
	s_delay_alu instid0(VALU_DEP_3) | instskip(NEXT) | instid1(VALU_DEP_3)
	v_pk_fma_f16 v18, v22, v20, v18 op_sel:[0,1,0]
	v_pk_fma_f16 v19, v22, v32, v19 op_sel:[0,1,0]
	v_perm_b32 v20, v30, v29, 0x5040100
	s_delay_alu instid0(VALU_DEP_3) | instskip(NEXT) | instid1(VALU_DEP_3)
	v_pk_fma_f16 v18, v23, v21, v18 op_sel_hi:[1,0,1]
	v_pk_fma_f16 v19, v23, v33, v19 op_sel_hi:[1,0,1]
	s_delay_alu instid0(VALU_DEP_2) | instskip(NEXT) | instid1(VALU_DEP_2)
	v_pk_fma_f16 v29, v20, v21, v18 op_sel:[0,1,0]
	v_pk_fma_f16 v28, v20, v33, v19 op_sel:[0,1,0]
	s_cbranch_vccz .LBB356_12
.LBB356_7:                              ;   Parent Loop BB356_4 Depth=1
                                        ; =>  This Inner Loop Header: Depth=2
	v_add_nc_u64_e32 v[18:19], s[20:21], v[2:3]
	s_delay_alu instid0(VALU_DEP_1) | instskip(SKIP_2) | instid1(SALU_CYCLE_1)
	v_cmp_gt_i64_e32 vcc_lo, s[36:37], v[18:19]
	v_mov_b32_e32 v18, 0
	s_and_b32 s24, s0, vcc_lo
	s_and_saveexec_b32 s23, s24
	s_cbranch_execz .LBB356_9
; %bb.8:                                ;   in Loop: Header=BB356_7 Depth=2
	global_load_u16 v18, v[16:17], off
.LBB356_9:                              ;   in Loop: Header=BB356_7 Depth=2
	s_wait_xcnt 0x0
	s_or_b32 exec_lo, exec_lo, s23
	v_add_nc_u64_e32 v[20:21], s[20:21], v[0:1]
	v_mov_b32_e32 v19, 0
	s_wait_loadcnt 0x0
	ds_store_b16 v24, v18
	v_cmp_gt_i64_e32 vcc_lo, s[36:37], v[20:21]
	s_and_b32 s24, vcc_lo, s1
	s_delay_alu instid0(SALU_CYCLE_1)
	s_and_saveexec_b32 s23, s24
	s_cbranch_execz .LBB356_6
; %bb.10:                               ;   in Loop: Header=BB356_7 Depth=2
	global_load_u16 v19, v[14:15], off
	s_branch .LBB356_6
.LBB356_11:                             ;   in Loop: Header=BB356_4 Depth=1
	v_dual_mov_b32 v28, 0 :: v_dual_mov_b32 v29, 0
.LBB356_12:                             ;   in Loop: Header=BB356_4 Depth=1
	s_mul_u64 s[20:21], s[26:27], s[34:35]
	s_and_not1_b32 vcc_lo, exec_lo, s40
	s_lshl_b64 s[20:21], s[20:21], 1
	s_delay_alu instid0(SALU_CYCLE_1)
	s_add_nc_u64 s[20:21], s[14:15], s[20:21]
	s_cbranch_vccnz .LBB356_17
; %bb.13:                               ;   in Loop: Header=BB356_4 Depth=1
	s_and_saveexec_b32 s23, s2
	s_cbranch_execz .LBB356_24
; %bb.14:                               ;   in Loop: Header=BB356_4 Depth=1
	v_lshl_add_u64 v[14:15], v[4:5], 1, s[20:21]
	s_delay_alu instid0(VALU_DEP_1)
	v_lshl_add_u64 v[16:17], v[6:7], 1, v[14:15]
	s_and_saveexec_b32 s24, s3
	s_cbranch_execnz .LBB356_18
; %bb.15:                               ;   in Loop: Header=BB356_4 Depth=1
	s_or_b32 exec_lo, exec_lo, s24
	s_and_saveexec_b32 s24, s4
	s_cbranch_execnz .LBB356_19
.LBB356_16:                             ;   in Loop: Header=BB356_4 Depth=1
	s_or_b32 exec_lo, exec_lo, s24
	s_delay_alu instid0(SALU_CYCLE_1)
	s_and_b32 exec_lo, exec_lo, s5
	s_cbranch_execnz .LBB356_20
	s_branch .LBB356_24
.LBB356_17:                             ;   in Loop: Header=BB356_4 Depth=1
	s_branch .LBB356_25
.LBB356_18:                             ;   in Loop: Header=BB356_4 Depth=1
	v_mul_f16_e32 v18, s38, v29
	global_store_b16 v[16:17], v18, off
	s_wait_xcnt 0x0
	s_or_b32 exec_lo, exec_lo, s24
	s_and_saveexec_b32 s24, s4
	s_cbranch_execz .LBB356_16
.LBB356_19:                             ;   in Loop: Header=BB356_4 Depth=1
	v_lshrrev_b32_e32 v18, 16, v29
	s_delay_alu instid0(VALU_DEP_1) | instskip(SKIP_3) | instid1(SALU_CYCLE_1)
	v_mul_f16_e32 v18, s38, v18
	global_store_b16 v[16:17], v18, off offset:32
	s_wait_xcnt 0x0
	s_or_b32 exec_lo, exec_lo, s24
	s_and_b32 exec_lo, exec_lo, s5
	s_cbranch_execz .LBB356_24
.LBB356_20:                             ;   in Loop: Header=BB356_4 Depth=1
	v_lshl_add_u64 v[14:15], s[6:7], 1, v[14:15]
	s_delay_alu instid0(VALU_DEP_1)
	v_lshl_add_u64 v[14:15], v[6:7], 1, v[14:15]
	s_and_saveexec_b32 s24, s3
	s_cbranch_execz .LBB356_22
; %bb.21:                               ;   in Loop: Header=BB356_4 Depth=1
	v_mul_f16_e32 v16, s38, v28
	global_store_b16 v[14:15], v16, off
.LBB356_22:                             ;   in Loop: Header=BB356_4 Depth=1
	s_wait_xcnt 0x0
	s_or_b32 exec_lo, exec_lo, s24
	s_delay_alu instid0(SALU_CYCLE_1)
	s_and_b32 exec_lo, exec_lo, s4
	s_cbranch_execz .LBB356_24
; %bb.23:                               ;   in Loop: Header=BB356_4 Depth=1
	v_lshrrev_b32_e32 v16, 16, v28
	s_delay_alu instid0(VALU_DEP_1)
	v_mul_f16_e32 v16, s38, v16
	global_store_b16 v[14:15], v16, off offset:32
.LBB356_24:                             ;   in Loop: Header=BB356_4 Depth=1
	s_wait_xcnt 0x0
	s_or_b32 exec_lo, exec_lo, s23
	s_cbranch_execnz .LBB356_3
.LBB356_25:                             ;   in Loop: Header=BB356_4 Depth=1
	s_and_saveexec_b32 s23, s2
	s_cbranch_execz .LBB356_2
; %bb.26:                               ;   in Loop: Header=BB356_4 Depth=1
	s_mul_u64 s[24:25], s[12:13], s[34:35]
	v_lshlrev_b64_e32 v[14:15], 1, v[6:7]
	v_lshl_add_u64 v[16:17], s[24:25], 1, v[8:9]
	v_lshl_add_u64 v[18:19], v[4:5], 1, s[20:21]
	s_delay_alu instid0(VALU_DEP_2) | instskip(NEXT) | instid1(VALU_DEP_2)
	v_add_nc_u64_e32 v[22:23], v[16:17], v[14:15]
	v_add_nc_u64_e32 v[20:21], v[18:19], v[14:15]
	s_and_saveexec_b32 s20, s3
	s_cbranch_execnz .LBB356_29
; %bb.27:                               ;   in Loop: Header=BB356_4 Depth=1
	s_or_b32 exec_lo, exec_lo, s20
	s_and_saveexec_b32 s20, s4
	s_cbranch_execnz .LBB356_30
.LBB356_28:                             ;   in Loop: Header=BB356_4 Depth=1
	s_or_b32 exec_lo, exec_lo, s20
	s_delay_alu instid0(SALU_CYCLE_1)
	s_and_b32 exec_lo, exec_lo, s5
	s_cbranch_execz .LBB356_2
	s_branch .LBB356_31
.LBB356_29:                             ;   in Loop: Header=BB356_4 Depth=1
	global_load_u16 v30, v[22:23], off
	s_wait_loadcnt 0x0
	v_mul_f16_e32 v30, s39, v30
	s_delay_alu instid0(VALU_DEP_1)
	v_fmac_f16_e32 v30, s38, v29
	global_store_b16 v[20:21], v30, off
	s_wait_xcnt 0x0
	s_or_b32 exec_lo, exec_lo, s20
	s_and_saveexec_b32 s20, s4
	s_cbranch_execz .LBB356_28
.LBB356_30:                             ;   in Loop: Header=BB356_4 Depth=1
	global_load_u16 v22, v[22:23], off offset:32
	s_wait_xcnt 0x0
	v_lshrrev_b32_e32 v23, 16, v29
	s_wait_loadcnt 0x0
	v_mul_f16_e32 v22, s39, v22
	s_delay_alu instid0(VALU_DEP_1) | instskip(SKIP_3) | instid1(SALU_CYCLE_1)
	v_fmac_f16_e32 v22, s38, v23
	global_store_b16 v[20:21], v22, off offset:32
	s_wait_xcnt 0x0
	s_or_b32 exec_lo, exec_lo, s20
	s_and_b32 exec_lo, exec_lo, s5
	s_cbranch_execz .LBB356_2
.LBB356_31:                             ;   in Loop: Header=BB356_4 Depth=1
	v_lshl_add_u64 v[16:17], s[10:11], 1, v[16:17]
	v_lshl_add_u64 v[18:19], s[6:7], 1, v[18:19]
	s_delay_alu instid0(VALU_DEP_2) | instskip(NEXT) | instid1(VALU_DEP_2)
	v_add_nc_u64_e32 v[16:17], v[16:17], v[14:15]
	v_add_nc_u64_e32 v[14:15], v[18:19], v[14:15]
	s_and_saveexec_b32 s20, s3
	s_cbranch_execz .LBB356_33
; %bb.32:                               ;   in Loop: Header=BB356_4 Depth=1
	global_load_u16 v18, v[16:17], off
	s_wait_loadcnt 0x0
	v_mul_f16_e32 v18, s39, v18
	s_delay_alu instid0(VALU_DEP_1)
	v_fmac_f16_e32 v18, s38, v28
	global_store_b16 v[14:15], v18, off
.LBB356_33:                             ;   in Loop: Header=BB356_4 Depth=1
	s_wait_xcnt 0x0
	s_or_b32 exec_lo, exec_lo, s20
	s_delay_alu instid0(SALU_CYCLE_1)
	s_and_b32 exec_lo, exec_lo, s4
	s_cbranch_execz .LBB356_2
; %bb.34:                               ;   in Loop: Header=BB356_4 Depth=1
	global_load_u16 v16, v[16:17], off offset:32
	s_wait_xcnt 0x0
	v_lshrrev_b32_e32 v17, 16, v28
	s_wait_loadcnt 0x0
	v_mul_f16_e32 v16, s39, v16
	s_delay_alu instid0(VALU_DEP_1)
	v_fmac_f16_e32 v16, s38, v17
	global_store_b16 v[14:15], v16, off offset:32
	s_branch .LBB356_2
.LBB356_35:
	s_endpgm
	.section	.rodata,"a",@progbits
	.p2align	6, 0x0
	.amdhsa_kernel _ZN12_GLOBAL__N_135rocblas_gemm_batched_general_kernelIDF16_Li16ELi16ELi32ELi32ELi8ELi32ELi8ELi8ELi32ELc84ELc84EKDF16_S1_DF16_EEvlllT_PT11_llS4_llS2_PT12_llPT13_lli
		.amdhsa_group_segment_fixed_size 1024
		.amdhsa_private_segment_fixed_size 0
		.amdhsa_kernarg_size 140
		.amdhsa_user_sgpr_count 2
		.amdhsa_user_sgpr_dispatch_ptr 0
		.amdhsa_user_sgpr_queue_ptr 0
		.amdhsa_user_sgpr_kernarg_segment_ptr 1
		.amdhsa_user_sgpr_dispatch_id 0
		.amdhsa_user_sgpr_kernarg_preload_length 0
		.amdhsa_user_sgpr_kernarg_preload_offset 0
		.amdhsa_user_sgpr_private_segment_size 0
		.amdhsa_wavefront_size32 1
		.amdhsa_uses_dynamic_stack 0
		.amdhsa_enable_private_segment 0
		.amdhsa_system_sgpr_workgroup_id_x 1
		.amdhsa_system_sgpr_workgroup_id_y 1
		.amdhsa_system_sgpr_workgroup_id_z 1
		.amdhsa_system_sgpr_workgroup_info 0
		.amdhsa_system_vgpr_workitem_id 1
		.amdhsa_next_free_vgpr 43
		.amdhsa_next_free_sgpr 43
		.amdhsa_named_barrier_count 0
		.amdhsa_reserve_vcc 1
		.amdhsa_float_round_mode_32 0
		.amdhsa_float_round_mode_16_64 0
		.amdhsa_float_denorm_mode_32 3
		.amdhsa_float_denorm_mode_16_64 3
		.amdhsa_fp16_overflow 0
		.amdhsa_memory_ordered 1
		.amdhsa_forward_progress 1
		.amdhsa_inst_pref_size 15
		.amdhsa_round_robin_scheduling 0
		.amdhsa_exception_fp_ieee_invalid_op 0
		.amdhsa_exception_fp_denorm_src 0
		.amdhsa_exception_fp_ieee_div_zero 0
		.amdhsa_exception_fp_ieee_overflow 0
		.amdhsa_exception_fp_ieee_underflow 0
		.amdhsa_exception_fp_ieee_inexact 0
		.amdhsa_exception_int_div_zero 0
	.end_amdhsa_kernel
	.section	.text._ZN12_GLOBAL__N_135rocblas_gemm_batched_general_kernelIDF16_Li16ELi16ELi32ELi32ELi8ELi32ELi8ELi8ELi32ELc84ELc84EKDF16_S1_DF16_EEvlllT_PT11_llS4_llS2_PT12_llPT13_lli,"axG",@progbits,_ZN12_GLOBAL__N_135rocblas_gemm_batched_general_kernelIDF16_Li16ELi16ELi32ELi32ELi8ELi32ELi8ELi8ELi32ELc84ELc84EKDF16_S1_DF16_EEvlllT_PT11_llS4_llS2_PT12_llPT13_lli,comdat
.Lfunc_end356:
	.size	_ZN12_GLOBAL__N_135rocblas_gemm_batched_general_kernelIDF16_Li16ELi16ELi32ELi32ELi8ELi32ELi8ELi8ELi32ELc84ELc84EKDF16_S1_DF16_EEvlllT_PT11_llS4_llS2_PT12_llPT13_lli, .Lfunc_end356-_ZN12_GLOBAL__N_135rocblas_gemm_batched_general_kernelIDF16_Li16ELi16ELi32ELi32ELi8ELi32ELi8ELi8ELi32ELc84ELc84EKDF16_S1_DF16_EEvlllT_PT11_llS4_llS2_PT12_llPT13_lli
                                        ; -- End function
	.set _ZN12_GLOBAL__N_135rocblas_gemm_batched_general_kernelIDF16_Li16ELi16ELi32ELi32ELi8ELi32ELi8ELi8ELi32ELc84ELc84EKDF16_S1_DF16_EEvlllT_PT11_llS4_llS2_PT12_llPT13_lli.num_vgpr, 43
	.set _ZN12_GLOBAL__N_135rocblas_gemm_batched_general_kernelIDF16_Li16ELi16ELi32ELi32ELi8ELi32ELi8ELi8ELi32ELc84ELc84EKDF16_S1_DF16_EEvlllT_PT11_llS4_llS2_PT12_llPT13_lli.num_agpr, 0
	.set _ZN12_GLOBAL__N_135rocblas_gemm_batched_general_kernelIDF16_Li16ELi16ELi32ELi32ELi8ELi32ELi8ELi8ELi32ELc84ELc84EKDF16_S1_DF16_EEvlllT_PT11_llS4_llS2_PT12_llPT13_lli.numbered_sgpr, 43
	.set _ZN12_GLOBAL__N_135rocblas_gemm_batched_general_kernelIDF16_Li16ELi16ELi32ELi32ELi8ELi32ELi8ELi8ELi32ELc84ELc84EKDF16_S1_DF16_EEvlllT_PT11_llS4_llS2_PT12_llPT13_lli.num_named_barrier, 0
	.set _ZN12_GLOBAL__N_135rocblas_gemm_batched_general_kernelIDF16_Li16ELi16ELi32ELi32ELi8ELi32ELi8ELi8ELi32ELc84ELc84EKDF16_S1_DF16_EEvlllT_PT11_llS4_llS2_PT12_llPT13_lli.private_seg_size, 0
	.set _ZN12_GLOBAL__N_135rocblas_gemm_batched_general_kernelIDF16_Li16ELi16ELi32ELi32ELi8ELi32ELi8ELi8ELi32ELc84ELc84EKDF16_S1_DF16_EEvlllT_PT11_llS4_llS2_PT12_llPT13_lli.uses_vcc, 1
	.set _ZN12_GLOBAL__N_135rocblas_gemm_batched_general_kernelIDF16_Li16ELi16ELi32ELi32ELi8ELi32ELi8ELi8ELi32ELc84ELc84EKDF16_S1_DF16_EEvlllT_PT11_llS4_llS2_PT12_llPT13_lli.uses_flat_scratch, 0
	.set _ZN12_GLOBAL__N_135rocblas_gemm_batched_general_kernelIDF16_Li16ELi16ELi32ELi32ELi8ELi32ELi8ELi8ELi32ELc84ELc84EKDF16_S1_DF16_EEvlllT_PT11_llS4_llS2_PT12_llPT13_lli.has_dyn_sized_stack, 0
	.set _ZN12_GLOBAL__N_135rocblas_gemm_batched_general_kernelIDF16_Li16ELi16ELi32ELi32ELi8ELi32ELi8ELi8ELi32ELc84ELc84EKDF16_S1_DF16_EEvlllT_PT11_llS4_llS2_PT12_llPT13_lli.has_recursion, 0
	.set _ZN12_GLOBAL__N_135rocblas_gemm_batched_general_kernelIDF16_Li16ELi16ELi32ELi32ELi8ELi32ELi8ELi8ELi32ELc84ELc84EKDF16_S1_DF16_EEvlllT_PT11_llS4_llS2_PT12_llPT13_lli.has_indirect_call, 0
	.section	.AMDGPU.csdata,"",@progbits
; Kernel info:
; codeLenInByte = 1840
; TotalNumSgprs: 45
; NumVgprs: 43
; ScratchSize: 0
; MemoryBound: 0
; FloatMode: 240
; IeeeMode: 1
; LDSByteSize: 1024 bytes/workgroup (compile time only)
; SGPRBlocks: 0
; VGPRBlocks: 2
; NumSGPRsForWavesPerEU: 45
; NumVGPRsForWavesPerEU: 43
; NamedBarCnt: 0
; Occupancy: 16
; WaveLimiterHint : 0
; COMPUTE_PGM_RSRC2:SCRATCH_EN: 0
; COMPUTE_PGM_RSRC2:USER_SGPR: 2
; COMPUTE_PGM_RSRC2:TRAP_HANDLER: 0
; COMPUTE_PGM_RSRC2:TGID_X_EN: 1
; COMPUTE_PGM_RSRC2:TGID_Y_EN: 1
; COMPUTE_PGM_RSRC2:TGID_Z_EN: 1
; COMPUTE_PGM_RSRC2:TIDIG_COMP_CNT: 1
	.section	.text._ZN12_GLOBAL__N_135rocblas_gemm_batched_general_kernelIDF16_Li16ELi16ELi32ELi32ELi8ELi32ELi8ELi8ELi32ELc67ELc67EKDF16_S1_DF16_EEvlllT_PT11_llS4_llS2_PT12_llPT13_lli,"axG",@progbits,_ZN12_GLOBAL__N_135rocblas_gemm_batched_general_kernelIDF16_Li16ELi16ELi32ELi32ELi8ELi32ELi8ELi8ELi32ELc67ELc67EKDF16_S1_DF16_EEvlllT_PT11_llS4_llS2_PT12_llPT13_lli,comdat
	.globl	_ZN12_GLOBAL__N_135rocblas_gemm_batched_general_kernelIDF16_Li16ELi16ELi32ELi32ELi8ELi32ELi8ELi8ELi32ELc67ELc67EKDF16_S1_DF16_EEvlllT_PT11_llS4_llS2_PT12_llPT13_lli ; -- Begin function _ZN12_GLOBAL__N_135rocblas_gemm_batched_general_kernelIDF16_Li16ELi16ELi32ELi32ELi8ELi32ELi8ELi8ELi32ELc67ELc67EKDF16_S1_DF16_EEvlllT_PT11_llS4_llS2_PT12_llPT13_lli
	.p2align	8
	.type	_ZN12_GLOBAL__N_135rocblas_gemm_batched_general_kernelIDF16_Li16ELi16ELi32ELi32ELi8ELi32ELi8ELi8ELi32ELc67ELc67EKDF16_S1_DF16_EEvlllT_PT11_llS4_llS2_PT12_llPT13_lli,@function
_ZN12_GLOBAL__N_135rocblas_gemm_batched_general_kernelIDF16_Li16ELi16ELi32ELi32ELi8ELi32ELi8ELi8ELi32ELc67ELc67EKDF16_S1_DF16_EEvlllT_PT11_llS4_llS2_PT12_llPT13_lli: ; @_ZN12_GLOBAL__N_135rocblas_gemm_batched_general_kernelIDF16_Li16ELi16ELi32ELi32ELi8ELi32ELi8ELi8ELi32ELc67ELc67EKDF16_S1_DF16_EEvlllT_PT11_llS4_llS2_PT12_llPT13_lli
; %bb.0:
	s_load_b32 s33, s[0:1], 0x88
	s_bfe_u32 s2, ttmp6, 0x40014
	s_lshr_b32 s3, ttmp7, 16
	s_add_co_i32 s2, s2, 1
	s_bfe_u32 s5, ttmp6, 0x40008
	s_mul_i32 s4, s3, s2
	s_getreg_b32 s2, hwreg(HW_REG_IB_STS2, 6, 4)
	s_add_co_i32 s5, s5, s4
	s_cmp_eq_u32 s2, 0
	s_mov_b32 s35, 0
	s_cselect_b32 s34, s3, s5
	s_wait_kmcnt 0x0
	s_cmp_ge_i32 s34, s33
	s_cbranch_scc1 .LBB357_35
; %bb.1:
	s_clause 0x4
	s_load_b128 s[4:7], s[0:1], 0x0
	s_load_b256 s[16:23], s[0:1], 0x20
	s_load_b128 s[28:31], s[0:1], 0x40
	s_load_b32 s39, s[0:1], 0x50
	s_load_b256 s[8:15], s[0:1], 0x58
	v_bfe_u32 v8, v0, 10, 10
	v_and_b32_e32 v10, 0x3ff, v0
	s_bfe_u32 s3, ttmp6, 0x4000c
	v_mov_b32_e32 v9, 0
	s_bfe_u32 s25, ttmp6, 0x40010
	v_lshlrev_b32_e32 v22, 4, v8
	s_add_co_i32 s3, s3, 1
	s_and_b32 s26, ttmp7, 0xffff
	s_add_co_i32 s25, s25, 1
	s_and_b32 s24, ttmp6, 15
	s_mul_i32 s3, ttmp9, s3
	s_mul_i32 s25, s26, s25
	s_bfe_u32 s27, ttmp6, 0x40004
	v_dual_add_nc_u32 v2, v22, v10 :: v_dual_bitop2_b32 v0, 7, v0 bitop3:0x40
	v_mov_b32_e32 v1, v9
	s_add_co_i32 s24, s24, s3
	s_add_co_i32 s27, s27, s25
	s_cmp_eq_u32 s2, 0
	v_and_b32_e32 v3, 31, v2
	s_cselect_b32 s2, ttmp9, s24
	s_wait_kmcnt 0x0
	v_mul_u64_e32 v[12:13], s[28:29], v[0:1]
	s_cselect_b32 s42, s26, s27
	s_ashr_i32 s3, s2, 31
	s_clause 0x1
	s_load_b128 s[24:27], s[0:1], 0x78
	s_load_b96 s[36:38], s[0:1], 0x10
	s_lshl_b64 s[2:3], s[2:3], 5
	s_lshl_b32 s40, s42, 5
	v_dual_mov_b32 v5, s3 :: v_dual_bitop2_b32 v4, s2, v3 bitop3:0x54
	s_mov_b32 s41, s35
	v_dual_mov_b32 v17, v9 :: v_dual_lshrrev_b32 v16, 3, v2
	v_add_nc_u64_e32 v[14:15], s[40:41], v[8:9]
	s_delay_alu instid0(VALU_DEP_3)
	v_mul_u64_e32 v[18:19], s[18:19], v[4:5]
	v_dual_mov_b32 v11, v9 :: v_dual_lshrrev_b32 v2, 5, v2
	v_dual_mov_b32 v3, v9 :: v_dual_lshlrev_b32 v8, 1, v3
	v_add_nc_u64_e32 v[6:7], s[40:41], v[16:17]
	v_mul_u64_e32 v[20:21], s[10:11], v[14:15]
	s_wait_xcnt 0x0
	v_cmp_gt_i64_e64 s0, s[4:5], v[4:5]
	v_dual_lshlrev_b32 v17, 1, v0 :: v_dual_lshlrev_b32 v26, 1, v10
	s_wait_kmcnt 0x0
	v_mul_u64_e32 v[4:5], s[24:25], v[14:15]
	s_cmp_eq_f16 s39, 0
	v_lshl_or_b32 v24, v2, 6, v8
	v_lshl_or_b32 v8, v16, 4, v17
	v_cmp_gt_i64_e64 s1, s[6:7], v[6:7]
	s_cselect_b32 s40, -1, 0
	v_add_nc_u64_e32 v[6:7], s[2:3], v[10:11]
	s_lshl_b32 s2, s42, 6
	s_mov_b32 s3, s35
	v_add_nc_u32_e32 v25, 0x200, v8
	v_lshl_add_u64 v[12:13], v[12:13], 1, s[2:3]
	v_lshlrev_b32_e32 v8, 1, v16
	v_add_nc_u64_e32 v[16:17], 16, v[14:15]
	v_add_nc_u64_e32 v[10:11], 16, v[6:7]
	v_cmp_gt_i64_e64 s2, s[6:7], v[14:15]
	v_cmp_gt_i64_e64 s3, s[4:5], v[6:7]
	v_add_nc_u64_e32 v[12:13], v[12:13], v[8:9]
	v_lshlrev_b32_e32 v8, 1, v2
	v_add_nc_u32_e32 v27, 0x200, v22
	s_lshl_b64 s[10:11], s[10:11], 4
	v_cmp_gt_i64_e64 s4, s[4:5], v[10:11]
	v_cmp_gt_i64_e64 s5, s[6:7], v[16:17]
	v_lshl_add_u64 v[14:15], v[18:19], 1, v[8:9]
	v_add_nc_u64_e32 v[10:11], s[22:23], v[12:13]
	v_cmp_gt_i64_e64 s22, s[36:37], 0
	s_lshl_b64 s[6:7], s[24:25], 4
	s_lshl_b64 s[18:19], s[20:21], 1
	v_add_nc_u64_e32 v[12:13], s[16:17], v[14:15]
	v_lshl_add_u64 v[8:9], v[20:21], 1, s[8:9]
	s_lshl_b64 s[8:9], s[30:31], 1
	s_lshl_b64 s[16:17], s[28:29], 4
	s_branch .LBB357_4
.LBB357_2:                              ;   in Loop: Header=BB357_4 Depth=1
	s_wait_xcnt 0x0
	s_or_b32 exec_lo, exec_lo, s23
.LBB357_3:                              ;   in Loop: Header=BB357_4 Depth=1
	s_add_co_i32 s34, s34, 0x10000
	s_delay_alu instid0(SALU_CYCLE_1)
	s_cmp_lt_i32 s34, s33
	s_cbranch_scc0 .LBB357_35
.LBB357_4:                              ; =>This Loop Header: Depth=1
                                        ;     Child Loop BB357_7 Depth 2
	s_and_not1_b32 vcc_lo, exec_lo, s22
	s_cbranch_vccnz .LBB357_11
; %bb.5:                                ;   in Loop: Header=BB357_4 Depth=1
	v_mad_nc_u64_u32 v[14:15], s8, s34, v[10:11]
	v_mad_nc_u64_u32 v[16:17], s18, s34, v[12:13]
	v_dual_mov_b32 v29, 0 :: v_dual_mov_b32 v28, 0
	s_mov_b64 s[20:21], 0
	s_delay_alu instid0(VALU_DEP_3) | instskip(NEXT) | instid1(VALU_DEP_3)
	v_mad_u32 v15, s9, s34, v15
	v_mad_u32 v17, s19, s34, v17
	s_branch .LBB357_7
.LBB357_6:                              ;   in Loop: Header=BB357_7 Depth=2
	s_wait_xcnt 0x0
	s_or_b32 exec_lo, exec_lo, s23
	s_wait_loadcnt 0x0
	ds_store_b16 v25, v19
	s_wait_dscnt 0x0
	s_barrier_signal -1
	s_barrier_wait -1
	ds_load_u16 v22, v26
	ds_load_u16 v23, v26 offset:32
	ds_load_u16 v34, v26 offset:64
	;; [unrolled: 1-line block ×3, first 2 shown]
	ds_load_b128 v[18:21], v27
	ds_load_b128 v[30:33], v27 offset:256
	ds_load_u16 v36, v26 offset:128
	ds_load_u16 v37, v26 offset:160
	;; [unrolled: 1-line block ×6, first 2 shown]
	s_add_nc_u64 s[20:21], s[20:21], 8
	v_add_nc_u64_e32 v[14:15], s[16:17], v[14:15]
	v_cmp_lt_i64_e64 s23, s[20:21], s[36:37]
	v_add_nc_u64_e32 v[16:17], 16, v[16:17]
	s_wait_dscnt 0xa
	v_perm_b32 v22, v23, v22, 0x5040100
	ds_load_u16 v23, v26 offset:320
	ds_load_u16 v42, v26 offset:352
	s_wait_dscnt 0xa
	v_perm_b32 v34, v35, v34, 0x5040100
	s_and_b32 vcc_lo, exec_lo, s23
	s_wait_dscnt 0x9
	v_pk_fma_f16 v29, v22, v18, v29 op_sel_hi:[1,0,1]
	s_wait_dscnt 0x8
	v_pk_fma_f16 v22, v22, v30, v28 op_sel_hi:[1,0,1]
	ds_load_u16 v28, v26 offset:384
	ds_load_u16 v35, v26 offset:416
	s_wait_dscnt 0x8
	v_perm_b32 v36, v37, v36, 0x5040100
	v_pk_fma_f16 v18, v34, v18, v29 op_sel:[0,1,0]
	v_pk_fma_f16 v22, v34, v30, v22 op_sel:[0,1,0]
	ds_load_u16 v29, v26 offset:448
	ds_load_u16 v30, v26 offset:480
	s_wait_dscnt 0x8
	v_perm_b32 v34, v39, v38, 0x5040100
	s_wait_dscnt 0x0
	v_pk_fma_f16 v18, v36, v19, v18 op_sel_hi:[1,0,1]
	v_pk_fma_f16 v22, v36, v31, v22 op_sel_hi:[1,0,1]
	v_perm_b32 v36, v41, v40, 0x5040100
	s_barrier_signal -1
	s_barrier_wait -1
	v_pk_fma_f16 v18, v34, v19, v18 op_sel:[0,1,0]
	v_pk_fma_f16 v19, v34, v31, v22 op_sel:[0,1,0]
	v_perm_b32 v22, v42, v23, 0x5040100
	s_delay_alu instid0(VALU_DEP_3) | instskip(NEXT) | instid1(VALU_DEP_3)
	v_pk_fma_f16 v18, v36, v20, v18 op_sel_hi:[1,0,1]
	v_pk_fma_f16 v19, v36, v32, v19 op_sel_hi:[1,0,1]
	v_perm_b32 v23, v35, v28, 0x5040100
	s_delay_alu instid0(VALU_DEP_3) | instskip(NEXT) | instid1(VALU_DEP_3)
	v_pk_fma_f16 v18, v22, v20, v18 op_sel:[0,1,0]
	v_pk_fma_f16 v19, v22, v32, v19 op_sel:[0,1,0]
	v_perm_b32 v20, v30, v29, 0x5040100
	s_delay_alu instid0(VALU_DEP_3) | instskip(NEXT) | instid1(VALU_DEP_3)
	v_pk_fma_f16 v18, v23, v21, v18 op_sel_hi:[1,0,1]
	v_pk_fma_f16 v19, v23, v33, v19 op_sel_hi:[1,0,1]
	s_delay_alu instid0(VALU_DEP_2) | instskip(NEXT) | instid1(VALU_DEP_2)
	v_pk_fma_f16 v29, v20, v21, v18 op_sel:[0,1,0]
	v_pk_fma_f16 v28, v20, v33, v19 op_sel:[0,1,0]
	s_cbranch_vccz .LBB357_12
.LBB357_7:                              ;   Parent Loop BB357_4 Depth=1
                                        ; =>  This Inner Loop Header: Depth=2
	v_add_nc_u64_e32 v[18:19], s[20:21], v[2:3]
	s_delay_alu instid0(VALU_DEP_1) | instskip(SKIP_2) | instid1(SALU_CYCLE_1)
	v_cmp_gt_i64_e32 vcc_lo, s[36:37], v[18:19]
	v_mov_b32_e32 v18, 0
	s_and_b32 s24, s0, vcc_lo
	s_and_saveexec_b32 s23, s24
	s_cbranch_execz .LBB357_9
; %bb.8:                                ;   in Loop: Header=BB357_7 Depth=2
	global_load_u16 v18, v[16:17], off
.LBB357_9:                              ;   in Loop: Header=BB357_7 Depth=2
	s_wait_xcnt 0x0
	s_or_b32 exec_lo, exec_lo, s23
	v_add_nc_u64_e32 v[20:21], s[20:21], v[0:1]
	v_mov_b32_e32 v19, 0
	s_wait_loadcnt 0x0
	ds_store_b16 v24, v18
	v_cmp_gt_i64_e32 vcc_lo, s[36:37], v[20:21]
	s_and_b32 s24, vcc_lo, s1
	s_delay_alu instid0(SALU_CYCLE_1)
	s_and_saveexec_b32 s23, s24
	s_cbranch_execz .LBB357_6
; %bb.10:                               ;   in Loop: Header=BB357_7 Depth=2
	global_load_u16 v19, v[14:15], off
	s_branch .LBB357_6
.LBB357_11:                             ;   in Loop: Header=BB357_4 Depth=1
	v_dual_mov_b32 v28, 0 :: v_dual_mov_b32 v29, 0
.LBB357_12:                             ;   in Loop: Header=BB357_4 Depth=1
	s_mul_u64 s[20:21], s[26:27], s[34:35]
	s_and_not1_b32 vcc_lo, exec_lo, s40
	s_lshl_b64 s[20:21], s[20:21], 1
	s_delay_alu instid0(SALU_CYCLE_1)
	s_add_nc_u64 s[20:21], s[14:15], s[20:21]
	s_cbranch_vccnz .LBB357_17
; %bb.13:                               ;   in Loop: Header=BB357_4 Depth=1
	s_and_saveexec_b32 s23, s2
	s_cbranch_execz .LBB357_24
; %bb.14:                               ;   in Loop: Header=BB357_4 Depth=1
	v_lshl_add_u64 v[14:15], v[4:5], 1, s[20:21]
	s_delay_alu instid0(VALU_DEP_1)
	v_lshl_add_u64 v[16:17], v[6:7], 1, v[14:15]
	s_and_saveexec_b32 s24, s3
	s_cbranch_execnz .LBB357_18
; %bb.15:                               ;   in Loop: Header=BB357_4 Depth=1
	s_or_b32 exec_lo, exec_lo, s24
	s_and_saveexec_b32 s24, s4
	s_cbranch_execnz .LBB357_19
.LBB357_16:                             ;   in Loop: Header=BB357_4 Depth=1
	s_or_b32 exec_lo, exec_lo, s24
	s_delay_alu instid0(SALU_CYCLE_1)
	s_and_b32 exec_lo, exec_lo, s5
	s_cbranch_execnz .LBB357_20
	s_branch .LBB357_24
.LBB357_17:                             ;   in Loop: Header=BB357_4 Depth=1
	s_branch .LBB357_25
.LBB357_18:                             ;   in Loop: Header=BB357_4 Depth=1
	v_mul_f16_e32 v18, s38, v29
	global_store_b16 v[16:17], v18, off
	s_wait_xcnt 0x0
	s_or_b32 exec_lo, exec_lo, s24
	s_and_saveexec_b32 s24, s4
	s_cbranch_execz .LBB357_16
.LBB357_19:                             ;   in Loop: Header=BB357_4 Depth=1
	v_lshrrev_b32_e32 v18, 16, v29
	s_delay_alu instid0(VALU_DEP_1) | instskip(SKIP_3) | instid1(SALU_CYCLE_1)
	v_mul_f16_e32 v18, s38, v18
	global_store_b16 v[16:17], v18, off offset:32
	s_wait_xcnt 0x0
	s_or_b32 exec_lo, exec_lo, s24
	s_and_b32 exec_lo, exec_lo, s5
	s_cbranch_execz .LBB357_24
.LBB357_20:                             ;   in Loop: Header=BB357_4 Depth=1
	v_lshl_add_u64 v[14:15], s[6:7], 1, v[14:15]
	s_delay_alu instid0(VALU_DEP_1)
	v_lshl_add_u64 v[14:15], v[6:7], 1, v[14:15]
	s_and_saveexec_b32 s24, s3
	s_cbranch_execz .LBB357_22
; %bb.21:                               ;   in Loop: Header=BB357_4 Depth=1
	v_mul_f16_e32 v16, s38, v28
	global_store_b16 v[14:15], v16, off
.LBB357_22:                             ;   in Loop: Header=BB357_4 Depth=1
	s_wait_xcnt 0x0
	s_or_b32 exec_lo, exec_lo, s24
	s_delay_alu instid0(SALU_CYCLE_1)
	s_and_b32 exec_lo, exec_lo, s4
	s_cbranch_execz .LBB357_24
; %bb.23:                               ;   in Loop: Header=BB357_4 Depth=1
	v_lshrrev_b32_e32 v16, 16, v28
	s_delay_alu instid0(VALU_DEP_1)
	v_mul_f16_e32 v16, s38, v16
	global_store_b16 v[14:15], v16, off offset:32
.LBB357_24:                             ;   in Loop: Header=BB357_4 Depth=1
	s_wait_xcnt 0x0
	s_or_b32 exec_lo, exec_lo, s23
	s_cbranch_execnz .LBB357_3
.LBB357_25:                             ;   in Loop: Header=BB357_4 Depth=1
	s_and_saveexec_b32 s23, s2
	s_cbranch_execz .LBB357_2
; %bb.26:                               ;   in Loop: Header=BB357_4 Depth=1
	s_mul_u64 s[24:25], s[12:13], s[34:35]
	v_lshlrev_b64_e32 v[14:15], 1, v[6:7]
	v_lshl_add_u64 v[16:17], s[24:25], 1, v[8:9]
	v_lshl_add_u64 v[18:19], v[4:5], 1, s[20:21]
	s_delay_alu instid0(VALU_DEP_2) | instskip(NEXT) | instid1(VALU_DEP_2)
	v_add_nc_u64_e32 v[22:23], v[16:17], v[14:15]
	v_add_nc_u64_e32 v[20:21], v[18:19], v[14:15]
	s_and_saveexec_b32 s20, s3
	s_cbranch_execnz .LBB357_29
; %bb.27:                               ;   in Loop: Header=BB357_4 Depth=1
	s_or_b32 exec_lo, exec_lo, s20
	s_and_saveexec_b32 s20, s4
	s_cbranch_execnz .LBB357_30
.LBB357_28:                             ;   in Loop: Header=BB357_4 Depth=1
	s_or_b32 exec_lo, exec_lo, s20
	s_delay_alu instid0(SALU_CYCLE_1)
	s_and_b32 exec_lo, exec_lo, s5
	s_cbranch_execz .LBB357_2
	s_branch .LBB357_31
.LBB357_29:                             ;   in Loop: Header=BB357_4 Depth=1
	global_load_u16 v30, v[22:23], off
	s_wait_loadcnt 0x0
	v_mul_f16_e32 v30, s39, v30
	s_delay_alu instid0(VALU_DEP_1)
	v_fmac_f16_e32 v30, s38, v29
	global_store_b16 v[20:21], v30, off
	s_wait_xcnt 0x0
	s_or_b32 exec_lo, exec_lo, s20
	s_and_saveexec_b32 s20, s4
	s_cbranch_execz .LBB357_28
.LBB357_30:                             ;   in Loop: Header=BB357_4 Depth=1
	global_load_u16 v22, v[22:23], off offset:32
	s_wait_xcnt 0x0
	v_lshrrev_b32_e32 v23, 16, v29
	s_wait_loadcnt 0x0
	v_mul_f16_e32 v22, s39, v22
	s_delay_alu instid0(VALU_DEP_1) | instskip(SKIP_3) | instid1(SALU_CYCLE_1)
	v_fmac_f16_e32 v22, s38, v23
	global_store_b16 v[20:21], v22, off offset:32
	s_wait_xcnt 0x0
	s_or_b32 exec_lo, exec_lo, s20
	s_and_b32 exec_lo, exec_lo, s5
	s_cbranch_execz .LBB357_2
.LBB357_31:                             ;   in Loop: Header=BB357_4 Depth=1
	v_lshl_add_u64 v[16:17], s[10:11], 1, v[16:17]
	v_lshl_add_u64 v[18:19], s[6:7], 1, v[18:19]
	s_delay_alu instid0(VALU_DEP_2) | instskip(NEXT) | instid1(VALU_DEP_2)
	v_add_nc_u64_e32 v[16:17], v[16:17], v[14:15]
	v_add_nc_u64_e32 v[14:15], v[18:19], v[14:15]
	s_and_saveexec_b32 s20, s3
	s_cbranch_execz .LBB357_33
; %bb.32:                               ;   in Loop: Header=BB357_4 Depth=1
	global_load_u16 v18, v[16:17], off
	s_wait_loadcnt 0x0
	v_mul_f16_e32 v18, s39, v18
	s_delay_alu instid0(VALU_DEP_1)
	v_fmac_f16_e32 v18, s38, v28
	global_store_b16 v[14:15], v18, off
.LBB357_33:                             ;   in Loop: Header=BB357_4 Depth=1
	s_wait_xcnt 0x0
	s_or_b32 exec_lo, exec_lo, s20
	s_delay_alu instid0(SALU_CYCLE_1)
	s_and_b32 exec_lo, exec_lo, s4
	s_cbranch_execz .LBB357_2
; %bb.34:                               ;   in Loop: Header=BB357_4 Depth=1
	global_load_u16 v16, v[16:17], off offset:32
	s_wait_xcnt 0x0
	v_lshrrev_b32_e32 v17, 16, v28
	s_wait_loadcnt 0x0
	v_mul_f16_e32 v16, s39, v16
	s_delay_alu instid0(VALU_DEP_1)
	v_fmac_f16_e32 v16, s38, v17
	global_store_b16 v[14:15], v16, off offset:32
	s_branch .LBB357_2
.LBB357_35:
	s_endpgm
	.section	.rodata,"a",@progbits
	.p2align	6, 0x0
	.amdhsa_kernel _ZN12_GLOBAL__N_135rocblas_gemm_batched_general_kernelIDF16_Li16ELi16ELi32ELi32ELi8ELi32ELi8ELi8ELi32ELc67ELc67EKDF16_S1_DF16_EEvlllT_PT11_llS4_llS2_PT12_llPT13_lli
		.amdhsa_group_segment_fixed_size 1024
		.amdhsa_private_segment_fixed_size 0
		.amdhsa_kernarg_size 140
		.amdhsa_user_sgpr_count 2
		.amdhsa_user_sgpr_dispatch_ptr 0
		.amdhsa_user_sgpr_queue_ptr 0
		.amdhsa_user_sgpr_kernarg_segment_ptr 1
		.amdhsa_user_sgpr_dispatch_id 0
		.amdhsa_user_sgpr_kernarg_preload_length 0
		.amdhsa_user_sgpr_kernarg_preload_offset 0
		.amdhsa_user_sgpr_private_segment_size 0
		.amdhsa_wavefront_size32 1
		.amdhsa_uses_dynamic_stack 0
		.amdhsa_enable_private_segment 0
		.amdhsa_system_sgpr_workgroup_id_x 1
		.amdhsa_system_sgpr_workgroup_id_y 1
		.amdhsa_system_sgpr_workgroup_id_z 1
		.amdhsa_system_sgpr_workgroup_info 0
		.amdhsa_system_vgpr_workitem_id 1
		.amdhsa_next_free_vgpr 43
		.amdhsa_next_free_sgpr 43
		.amdhsa_named_barrier_count 0
		.amdhsa_reserve_vcc 1
		.amdhsa_float_round_mode_32 0
		.amdhsa_float_round_mode_16_64 0
		.amdhsa_float_denorm_mode_32 3
		.amdhsa_float_denorm_mode_16_64 3
		.amdhsa_fp16_overflow 0
		.amdhsa_memory_ordered 1
		.amdhsa_forward_progress 1
		.amdhsa_inst_pref_size 15
		.amdhsa_round_robin_scheduling 0
		.amdhsa_exception_fp_ieee_invalid_op 0
		.amdhsa_exception_fp_denorm_src 0
		.amdhsa_exception_fp_ieee_div_zero 0
		.amdhsa_exception_fp_ieee_overflow 0
		.amdhsa_exception_fp_ieee_underflow 0
		.amdhsa_exception_fp_ieee_inexact 0
		.amdhsa_exception_int_div_zero 0
	.end_amdhsa_kernel
	.section	.text._ZN12_GLOBAL__N_135rocblas_gemm_batched_general_kernelIDF16_Li16ELi16ELi32ELi32ELi8ELi32ELi8ELi8ELi32ELc67ELc67EKDF16_S1_DF16_EEvlllT_PT11_llS4_llS2_PT12_llPT13_lli,"axG",@progbits,_ZN12_GLOBAL__N_135rocblas_gemm_batched_general_kernelIDF16_Li16ELi16ELi32ELi32ELi8ELi32ELi8ELi8ELi32ELc67ELc67EKDF16_S1_DF16_EEvlllT_PT11_llS4_llS2_PT12_llPT13_lli,comdat
.Lfunc_end357:
	.size	_ZN12_GLOBAL__N_135rocblas_gemm_batched_general_kernelIDF16_Li16ELi16ELi32ELi32ELi8ELi32ELi8ELi8ELi32ELc67ELc67EKDF16_S1_DF16_EEvlllT_PT11_llS4_llS2_PT12_llPT13_lli, .Lfunc_end357-_ZN12_GLOBAL__N_135rocblas_gemm_batched_general_kernelIDF16_Li16ELi16ELi32ELi32ELi8ELi32ELi8ELi8ELi32ELc67ELc67EKDF16_S1_DF16_EEvlllT_PT11_llS4_llS2_PT12_llPT13_lli
                                        ; -- End function
	.set _ZN12_GLOBAL__N_135rocblas_gemm_batched_general_kernelIDF16_Li16ELi16ELi32ELi32ELi8ELi32ELi8ELi8ELi32ELc67ELc67EKDF16_S1_DF16_EEvlllT_PT11_llS4_llS2_PT12_llPT13_lli.num_vgpr, 43
	.set _ZN12_GLOBAL__N_135rocblas_gemm_batched_general_kernelIDF16_Li16ELi16ELi32ELi32ELi8ELi32ELi8ELi8ELi32ELc67ELc67EKDF16_S1_DF16_EEvlllT_PT11_llS4_llS2_PT12_llPT13_lli.num_agpr, 0
	.set _ZN12_GLOBAL__N_135rocblas_gemm_batched_general_kernelIDF16_Li16ELi16ELi32ELi32ELi8ELi32ELi8ELi8ELi32ELc67ELc67EKDF16_S1_DF16_EEvlllT_PT11_llS4_llS2_PT12_llPT13_lli.numbered_sgpr, 43
	.set _ZN12_GLOBAL__N_135rocblas_gemm_batched_general_kernelIDF16_Li16ELi16ELi32ELi32ELi8ELi32ELi8ELi8ELi32ELc67ELc67EKDF16_S1_DF16_EEvlllT_PT11_llS4_llS2_PT12_llPT13_lli.num_named_barrier, 0
	.set _ZN12_GLOBAL__N_135rocblas_gemm_batched_general_kernelIDF16_Li16ELi16ELi32ELi32ELi8ELi32ELi8ELi8ELi32ELc67ELc67EKDF16_S1_DF16_EEvlllT_PT11_llS4_llS2_PT12_llPT13_lli.private_seg_size, 0
	.set _ZN12_GLOBAL__N_135rocblas_gemm_batched_general_kernelIDF16_Li16ELi16ELi32ELi32ELi8ELi32ELi8ELi8ELi32ELc67ELc67EKDF16_S1_DF16_EEvlllT_PT11_llS4_llS2_PT12_llPT13_lli.uses_vcc, 1
	.set _ZN12_GLOBAL__N_135rocblas_gemm_batched_general_kernelIDF16_Li16ELi16ELi32ELi32ELi8ELi32ELi8ELi8ELi32ELc67ELc67EKDF16_S1_DF16_EEvlllT_PT11_llS4_llS2_PT12_llPT13_lli.uses_flat_scratch, 0
	.set _ZN12_GLOBAL__N_135rocblas_gemm_batched_general_kernelIDF16_Li16ELi16ELi32ELi32ELi8ELi32ELi8ELi8ELi32ELc67ELc67EKDF16_S1_DF16_EEvlllT_PT11_llS4_llS2_PT12_llPT13_lli.has_dyn_sized_stack, 0
	.set _ZN12_GLOBAL__N_135rocblas_gemm_batched_general_kernelIDF16_Li16ELi16ELi32ELi32ELi8ELi32ELi8ELi8ELi32ELc67ELc67EKDF16_S1_DF16_EEvlllT_PT11_llS4_llS2_PT12_llPT13_lli.has_recursion, 0
	.set _ZN12_GLOBAL__N_135rocblas_gemm_batched_general_kernelIDF16_Li16ELi16ELi32ELi32ELi8ELi32ELi8ELi8ELi32ELc67ELc67EKDF16_S1_DF16_EEvlllT_PT11_llS4_llS2_PT12_llPT13_lli.has_indirect_call, 0
	.section	.AMDGPU.csdata,"",@progbits
; Kernel info:
; codeLenInByte = 1840
; TotalNumSgprs: 45
; NumVgprs: 43
; ScratchSize: 0
; MemoryBound: 0
; FloatMode: 240
; IeeeMode: 1
; LDSByteSize: 1024 bytes/workgroup (compile time only)
; SGPRBlocks: 0
; VGPRBlocks: 2
; NumSGPRsForWavesPerEU: 45
; NumVGPRsForWavesPerEU: 43
; NamedBarCnt: 0
; Occupancy: 16
; WaveLimiterHint : 0
; COMPUTE_PGM_RSRC2:SCRATCH_EN: 0
; COMPUTE_PGM_RSRC2:USER_SGPR: 2
; COMPUTE_PGM_RSRC2:TRAP_HANDLER: 0
; COMPUTE_PGM_RSRC2:TGID_X_EN: 1
; COMPUTE_PGM_RSRC2:TGID_Y_EN: 1
; COMPUTE_PGM_RSRC2:TGID_Z_EN: 1
; COMPUTE_PGM_RSRC2:TIDIG_COMP_CNT: 1
	.section	.text._ZN12_GLOBAL__N_135rocblas_gemm_batched_general_kernelIDF16_Li16ELi16ELi32ELi32ELi8ELi32ELi8ELi8ELi32ELc67ELc78EKDF16_S1_DF16_EEvlllT_PT11_llS4_llS2_PT12_llPT13_lli,"axG",@progbits,_ZN12_GLOBAL__N_135rocblas_gemm_batched_general_kernelIDF16_Li16ELi16ELi32ELi32ELi8ELi32ELi8ELi8ELi32ELc67ELc78EKDF16_S1_DF16_EEvlllT_PT11_llS4_llS2_PT12_llPT13_lli,comdat
	.globl	_ZN12_GLOBAL__N_135rocblas_gemm_batched_general_kernelIDF16_Li16ELi16ELi32ELi32ELi8ELi32ELi8ELi8ELi32ELc67ELc78EKDF16_S1_DF16_EEvlllT_PT11_llS4_llS2_PT12_llPT13_lli ; -- Begin function _ZN12_GLOBAL__N_135rocblas_gemm_batched_general_kernelIDF16_Li16ELi16ELi32ELi32ELi8ELi32ELi8ELi8ELi32ELc67ELc78EKDF16_S1_DF16_EEvlllT_PT11_llS4_llS2_PT12_llPT13_lli
	.p2align	8
	.type	_ZN12_GLOBAL__N_135rocblas_gemm_batched_general_kernelIDF16_Li16ELi16ELi32ELi32ELi8ELi32ELi8ELi8ELi32ELc67ELc78EKDF16_S1_DF16_EEvlllT_PT11_llS4_llS2_PT12_llPT13_lli,@function
_ZN12_GLOBAL__N_135rocblas_gemm_batched_general_kernelIDF16_Li16ELi16ELi32ELi32ELi8ELi32ELi8ELi8ELi32ELc67ELc78EKDF16_S1_DF16_EEvlllT_PT11_llS4_llS2_PT12_llPT13_lli: ; @_ZN12_GLOBAL__N_135rocblas_gemm_batched_general_kernelIDF16_Li16ELi16ELi32ELi32ELi8ELi32ELi8ELi8ELi32ELc67ELc78EKDF16_S1_DF16_EEvlllT_PT11_llS4_llS2_PT12_llPT13_lli
; %bb.0:
	s_load_b32 s33, s[0:1], 0x88
	s_bfe_u32 s2, ttmp6, 0x40014
	s_lshr_b32 s3, ttmp7, 16
	s_add_co_i32 s2, s2, 1
	s_bfe_u32 s5, ttmp6, 0x40008
	s_mul_i32 s4, s3, s2
	s_getreg_b32 s2, hwreg(HW_REG_IB_STS2, 6, 4)
	s_add_co_i32 s5, s5, s4
	s_cmp_eq_u32 s2, 0
	s_mov_b32 s35, 0
	s_cselect_b32 s34, s3, s5
	s_wait_kmcnt 0x0
	s_cmp_ge_i32 s34, s33
	s_cbranch_scc1 .LBB358_35
; %bb.1:
	v_bfe_u32 v8, v0, 10, 10
	v_and_b32_e32 v10, 0x3ff, v0
	s_clause 0x1
	s_load_b256 s[16:23], s[0:1], 0x20
	s_load_b128 s[4:7], s[0:1], 0x40
	s_bfe_u32 s28, ttmp6, 0x4000c
	s_bfe_u32 s30, ttmp6, 0x40010
	v_dual_lshlrev_b32 v27, 4, v8 :: v_dual_mov_b32 v9, 0
	s_and_b32 s29, ttmp7, 0xffff
	s_add_co_i32 s28, s28, 1
	s_add_co_i32 s30, s30, 1
	s_delay_alu instid0(VALU_DEP_1)
	v_dual_add_nc_u32 v1, v27, v10 :: v_dual_mov_b32 v7, v9
	s_and_b32 s3, ttmp6, 15
	s_mul_i32 s28, ttmp9, s28
	s_mul_i32 s30, s29, s30
	s_bfe_u32 s31, ttmp6, 0x40004
	s_add_co_i32 s3, s3, s28
	s_add_co_i32 s31, s31, s30
	s_clause 0x1
	s_load_b128 s[24:27], s[0:1], 0x78
	s_load_b256 s[8:15], s[0:1], 0x58
	s_cmp_eq_u32 s2, 0
	v_dual_lshrrev_b32 v6, 3, v1 :: v_dual_bitop2_b32 v4, 31, v1 bitop3:0x40
	s_cselect_b32 s2, ttmp9, s3
	s_cselect_b32 s28, s29, s31
	s_ashr_i32 s3, s2, 31
	s_lshl_b32 s36, s28, 5
	s_mov_b32 s37, s35
	s_lshl_b64 s[2:3], s[2:3], 5
	v_add_nc_u64_e32 v[12:13], s[36:37], v[6:7]
	v_dual_mov_b32 v15, s3 :: v_dual_bitop2_b32 v14, s2, v4 bitop3:0x54
	v_add_nc_u64_e32 v[16:17], s[36:37], v[8:9]
	v_dual_mov_b32 v11, v9 :: v_dual_bitop2_b32 v0, 7, v0 bitop3:0x40
	s_clause 0x1
	s_load_b128 s[28:31], s[0:1], 0x0
	s_load_b96 s[36:38], s[0:1], 0x10
	s_wait_kmcnt 0x0
	v_mul_u64_e32 v[18:19], s[4:5], v[12:13]
	v_mul_u64_e32 v[20:21], s[18:19], v[14:15]
	;; [unrolled: 1-line block ×3, first 2 shown]
	v_dual_mov_b32 v3, v9 :: v_dual_lshlrev_b32 v8, 1, v4
	v_mul_u64_e32 v[4:5], s[24:25], v[16:17]
	v_dual_lshrrev_b32 v2, 5, v1 :: v_dual_lshlrev_b32 v28, 1, v0
	s_load_b32 s39, s[0:1], 0x50
	v_dual_mov_b32 v1, v9 :: v_dual_lshlrev_b32 v26, 1, v10
	s_delay_alu instid0(VALU_DEP_2) | instskip(NEXT) | instid1(VALU_DEP_3)
	v_lshl_or_b32 v24, v2, 6, v8
	v_lshl_or_b32 v25, v6, 4, v28
	v_add_nc_u64_e32 v[6:7], s[2:3], v[10:11]
	v_dual_mov_b32 v29, v9 :: v_dual_lshlrev_b32 v8, 1, v2
	v_add_nc_u32_e32 v27, 0x200, v27
	s_delay_alu instid0(VALU_DEP_4)
	v_add_nc_u32_e32 v25, 0x200, v25
	s_wait_xcnt 0x0
	v_cmp_gt_i64_e64 s1, s[30:31], v[12:13]
	v_add_nc_u64_e32 v[12:13], 16, v[16:17]
	v_add_nc_u64_e32 v[10:11], 16, v[6:7]
	v_cmp_gt_i64_e64 s0, s[28:29], v[14:15]
	v_cmp_gt_i64_e64 s2, s[30:31], v[16:17]
	;; [unrolled: 1-line block ×5, first 2 shown]
	s_wait_kmcnt 0x0
	s_cmp_eq_f16 s39, 0
	v_lshl_add_u64 v[10:11], v[18:19], 1, v[28:29]
	v_lshl_add_u64 v[14:15], v[20:21], 1, v[8:9]
	v_lshl_add_u64 v[8:9], v[22:23], 1, s[8:9]
	s_cselect_b32 s40, -1, 0
	s_lshl_b64 s[18:19], s[24:25], 4
	v_add_nc_u64_e32 v[10:11], s[22:23], v[10:11]
	v_add_nc_u64_e32 v[12:13], s[16:17], v[14:15]
	v_cmp_gt_i64_e64 s22, s[36:37], 0
	s_lshl_b64 s[8:9], s[10:11], 4
	s_lshl_b64 s[6:7], s[6:7], 1
	;; [unrolled: 1-line block ×3, first 2 shown]
	s_branch .LBB358_4
.LBB358_2:                              ;   in Loop: Header=BB358_4 Depth=1
	s_wait_xcnt 0x0
	s_or_b32 exec_lo, exec_lo, s20
.LBB358_3:                              ;   in Loop: Header=BB358_4 Depth=1
	s_add_co_i32 s34, s34, 0x10000
	s_delay_alu instid0(SALU_CYCLE_1)
	s_cmp_lt_i32 s34, s33
	s_cbranch_scc0 .LBB358_35
.LBB358_4:                              ; =>This Loop Header: Depth=1
                                        ;     Child Loop BB358_7 Depth 2
	s_and_not1_b32 vcc_lo, exec_lo, s22
	s_cbranch_vccnz .LBB358_11
; %bb.5:                                ;   in Loop: Header=BB358_4 Depth=1
	v_mad_nc_u64_u32 v[14:15], s6, s34, v[10:11]
	v_mad_nc_u64_u32 v[16:17], s10, s34, v[12:13]
	v_dual_mov_b32 v29, 0 :: v_dual_mov_b32 v28, 0
	s_mov_b64 s[16:17], 0
	s_delay_alu instid0(VALU_DEP_3) | instskip(NEXT) | instid1(VALU_DEP_3)
	v_mad_u32 v15, s7, s34, v15
	v_mad_u32 v17, s11, s34, v17
	s_branch .LBB358_7
.LBB358_6:                              ;   in Loop: Header=BB358_7 Depth=2
	s_wait_xcnt 0x0
	s_or_b32 exec_lo, exec_lo, s20
	s_wait_loadcnt 0x0
	ds_store_b16 v25, v19
	s_wait_dscnt 0x0
	s_barrier_signal -1
	s_barrier_wait -1
	ds_load_u16 v22, v26
	ds_load_u16 v23, v26 offset:32
	ds_load_u16 v34, v26 offset:64
	;; [unrolled: 1-line block ×3, first 2 shown]
	ds_load_b128 v[18:21], v27
	ds_load_b128 v[30:33], v27 offset:256
	ds_load_u16 v36, v26 offset:128
	ds_load_u16 v37, v26 offset:160
	;; [unrolled: 1-line block ×6, first 2 shown]
	s_add_nc_u64 s[16:17], s[16:17], 8
	v_add_nc_u64_e32 v[14:15], 16, v[14:15]
	v_cmp_lt_i64_e64 s20, s[16:17], s[36:37]
	v_add_nc_u64_e32 v[16:17], 16, v[16:17]
	s_wait_dscnt 0xa
	v_perm_b32 v22, v23, v22, 0x5040100
	ds_load_u16 v23, v26 offset:320
	ds_load_u16 v42, v26 offset:352
	s_wait_dscnt 0xa
	v_perm_b32 v34, v35, v34, 0x5040100
	s_and_b32 vcc_lo, exec_lo, s20
	s_wait_dscnt 0x9
	v_pk_fma_f16 v29, v22, v18, v29 op_sel_hi:[1,0,1]
	s_wait_dscnt 0x8
	v_pk_fma_f16 v22, v22, v30, v28 op_sel_hi:[1,0,1]
	ds_load_u16 v28, v26 offset:384
	ds_load_u16 v35, v26 offset:416
	s_wait_dscnt 0x8
	v_perm_b32 v36, v37, v36, 0x5040100
	v_pk_fma_f16 v18, v34, v18, v29 op_sel:[0,1,0]
	v_pk_fma_f16 v22, v34, v30, v22 op_sel:[0,1,0]
	ds_load_u16 v29, v26 offset:448
	ds_load_u16 v30, v26 offset:480
	s_wait_dscnt 0x8
	v_perm_b32 v34, v39, v38, 0x5040100
	s_wait_dscnt 0x0
	v_pk_fma_f16 v18, v36, v19, v18 op_sel_hi:[1,0,1]
	v_pk_fma_f16 v22, v36, v31, v22 op_sel_hi:[1,0,1]
	v_perm_b32 v36, v41, v40, 0x5040100
	s_barrier_signal -1
	s_barrier_wait -1
	v_pk_fma_f16 v18, v34, v19, v18 op_sel:[0,1,0]
	v_pk_fma_f16 v19, v34, v31, v22 op_sel:[0,1,0]
	v_perm_b32 v22, v42, v23, 0x5040100
	s_delay_alu instid0(VALU_DEP_3) | instskip(NEXT) | instid1(VALU_DEP_3)
	v_pk_fma_f16 v18, v36, v20, v18 op_sel_hi:[1,0,1]
	v_pk_fma_f16 v19, v36, v32, v19 op_sel_hi:[1,0,1]
	v_perm_b32 v23, v35, v28, 0x5040100
	s_delay_alu instid0(VALU_DEP_3) | instskip(NEXT) | instid1(VALU_DEP_3)
	v_pk_fma_f16 v18, v22, v20, v18 op_sel:[0,1,0]
	v_pk_fma_f16 v19, v22, v32, v19 op_sel:[0,1,0]
	v_perm_b32 v20, v30, v29, 0x5040100
	s_delay_alu instid0(VALU_DEP_3) | instskip(NEXT) | instid1(VALU_DEP_3)
	v_pk_fma_f16 v18, v23, v21, v18 op_sel_hi:[1,0,1]
	v_pk_fma_f16 v19, v23, v33, v19 op_sel_hi:[1,0,1]
	s_delay_alu instid0(VALU_DEP_2) | instskip(NEXT) | instid1(VALU_DEP_2)
	v_pk_fma_f16 v29, v20, v21, v18 op_sel:[0,1,0]
	v_pk_fma_f16 v28, v20, v33, v19 op_sel:[0,1,0]
	s_cbranch_vccz .LBB358_12
.LBB358_7:                              ;   Parent Loop BB358_4 Depth=1
                                        ; =>  This Inner Loop Header: Depth=2
	v_add_nc_u64_e32 v[18:19], s[16:17], v[2:3]
	s_delay_alu instid0(VALU_DEP_1) | instskip(SKIP_2) | instid1(SALU_CYCLE_1)
	v_cmp_gt_i64_e32 vcc_lo, s[36:37], v[18:19]
	v_mov_b32_e32 v18, 0
	s_and_b32 s21, s0, vcc_lo
	s_and_saveexec_b32 s20, s21
	s_cbranch_execz .LBB358_9
; %bb.8:                                ;   in Loop: Header=BB358_7 Depth=2
	global_load_u16 v18, v[16:17], off
.LBB358_9:                              ;   in Loop: Header=BB358_7 Depth=2
	s_wait_xcnt 0x0
	s_or_b32 exec_lo, exec_lo, s20
	v_add_nc_u64_e32 v[20:21], s[16:17], v[0:1]
	v_mov_b32_e32 v19, 0
	s_wait_loadcnt 0x0
	ds_store_b16 v24, v18
	v_cmp_gt_i64_e32 vcc_lo, s[36:37], v[20:21]
	s_and_b32 s21, vcc_lo, s1
	s_delay_alu instid0(SALU_CYCLE_1)
	s_and_saveexec_b32 s20, s21
	s_cbranch_execz .LBB358_6
; %bb.10:                               ;   in Loop: Header=BB358_7 Depth=2
	global_load_u16 v19, v[14:15], off
	s_branch .LBB358_6
.LBB358_11:                             ;   in Loop: Header=BB358_4 Depth=1
	v_dual_mov_b32 v28, 0 :: v_dual_mov_b32 v29, 0
.LBB358_12:                             ;   in Loop: Header=BB358_4 Depth=1
	s_mul_u64 s[16:17], s[26:27], s[34:35]
	s_and_not1_b32 vcc_lo, exec_lo, s40
	s_lshl_b64 s[16:17], s[16:17], 1
	s_delay_alu instid0(SALU_CYCLE_1)
	s_add_nc_u64 s[16:17], s[14:15], s[16:17]
	s_cbranch_vccnz .LBB358_17
; %bb.13:                               ;   in Loop: Header=BB358_4 Depth=1
	s_and_saveexec_b32 s20, s2
	s_cbranch_execz .LBB358_24
; %bb.14:                               ;   in Loop: Header=BB358_4 Depth=1
	v_lshl_add_u64 v[14:15], v[4:5], 1, s[16:17]
	s_delay_alu instid0(VALU_DEP_1)
	v_lshl_add_u64 v[16:17], v[6:7], 1, v[14:15]
	s_and_saveexec_b32 s21, s3
	s_cbranch_execnz .LBB358_18
; %bb.15:                               ;   in Loop: Header=BB358_4 Depth=1
	s_or_b32 exec_lo, exec_lo, s21
	s_and_saveexec_b32 s21, s4
	s_cbranch_execnz .LBB358_19
.LBB358_16:                             ;   in Loop: Header=BB358_4 Depth=1
	s_or_b32 exec_lo, exec_lo, s21
	s_delay_alu instid0(SALU_CYCLE_1)
	s_and_b32 exec_lo, exec_lo, s5
	s_cbranch_execnz .LBB358_20
	s_branch .LBB358_24
.LBB358_17:                             ;   in Loop: Header=BB358_4 Depth=1
	s_branch .LBB358_25
.LBB358_18:                             ;   in Loop: Header=BB358_4 Depth=1
	v_mul_f16_e32 v18, s38, v29
	global_store_b16 v[16:17], v18, off
	s_wait_xcnt 0x0
	s_or_b32 exec_lo, exec_lo, s21
	s_and_saveexec_b32 s21, s4
	s_cbranch_execz .LBB358_16
.LBB358_19:                             ;   in Loop: Header=BB358_4 Depth=1
	v_lshrrev_b32_e32 v18, 16, v29
	s_delay_alu instid0(VALU_DEP_1) | instskip(SKIP_3) | instid1(SALU_CYCLE_1)
	v_mul_f16_e32 v18, s38, v18
	global_store_b16 v[16:17], v18, off offset:32
	s_wait_xcnt 0x0
	s_or_b32 exec_lo, exec_lo, s21
	s_and_b32 exec_lo, exec_lo, s5
	s_cbranch_execz .LBB358_24
.LBB358_20:                             ;   in Loop: Header=BB358_4 Depth=1
	v_lshl_add_u64 v[14:15], s[18:19], 1, v[14:15]
	s_delay_alu instid0(VALU_DEP_1)
	v_lshl_add_u64 v[14:15], v[6:7], 1, v[14:15]
	s_and_saveexec_b32 s21, s3
	s_cbranch_execz .LBB358_22
; %bb.21:                               ;   in Loop: Header=BB358_4 Depth=1
	v_mul_f16_e32 v16, s38, v28
	global_store_b16 v[14:15], v16, off
.LBB358_22:                             ;   in Loop: Header=BB358_4 Depth=1
	s_wait_xcnt 0x0
	s_or_b32 exec_lo, exec_lo, s21
	s_delay_alu instid0(SALU_CYCLE_1)
	s_and_b32 exec_lo, exec_lo, s4
	s_cbranch_execz .LBB358_24
; %bb.23:                               ;   in Loop: Header=BB358_4 Depth=1
	v_lshrrev_b32_e32 v16, 16, v28
	s_delay_alu instid0(VALU_DEP_1)
	v_mul_f16_e32 v16, s38, v16
	global_store_b16 v[14:15], v16, off offset:32
.LBB358_24:                             ;   in Loop: Header=BB358_4 Depth=1
	s_wait_xcnt 0x0
	s_or_b32 exec_lo, exec_lo, s20
	s_cbranch_execnz .LBB358_3
.LBB358_25:                             ;   in Loop: Header=BB358_4 Depth=1
	s_and_saveexec_b32 s20, s2
	s_cbranch_execz .LBB358_2
; %bb.26:                               ;   in Loop: Header=BB358_4 Depth=1
	s_mul_u64 s[24:25], s[12:13], s[34:35]
	v_lshlrev_b64_e32 v[14:15], 1, v[6:7]
	v_lshl_add_u64 v[16:17], s[24:25], 1, v[8:9]
	v_lshl_add_u64 v[18:19], v[4:5], 1, s[16:17]
	s_delay_alu instid0(VALU_DEP_2) | instskip(NEXT) | instid1(VALU_DEP_2)
	v_add_nc_u64_e32 v[22:23], v[16:17], v[14:15]
	v_add_nc_u64_e32 v[20:21], v[18:19], v[14:15]
	s_and_saveexec_b32 s16, s3
	s_cbranch_execnz .LBB358_29
; %bb.27:                               ;   in Loop: Header=BB358_4 Depth=1
	s_or_b32 exec_lo, exec_lo, s16
	s_and_saveexec_b32 s16, s4
	s_cbranch_execnz .LBB358_30
.LBB358_28:                             ;   in Loop: Header=BB358_4 Depth=1
	s_or_b32 exec_lo, exec_lo, s16
	s_delay_alu instid0(SALU_CYCLE_1)
	s_and_b32 exec_lo, exec_lo, s5
	s_cbranch_execz .LBB358_2
	s_branch .LBB358_31
.LBB358_29:                             ;   in Loop: Header=BB358_4 Depth=1
	global_load_u16 v30, v[22:23], off
	s_wait_loadcnt 0x0
	v_mul_f16_e32 v30, s39, v30
	s_delay_alu instid0(VALU_DEP_1)
	v_fmac_f16_e32 v30, s38, v29
	global_store_b16 v[20:21], v30, off
	s_wait_xcnt 0x0
	s_or_b32 exec_lo, exec_lo, s16
	s_and_saveexec_b32 s16, s4
	s_cbranch_execz .LBB358_28
.LBB358_30:                             ;   in Loop: Header=BB358_4 Depth=1
	global_load_u16 v22, v[22:23], off offset:32
	s_wait_xcnt 0x0
	v_lshrrev_b32_e32 v23, 16, v29
	s_wait_loadcnt 0x0
	v_mul_f16_e32 v22, s39, v22
	s_delay_alu instid0(VALU_DEP_1) | instskip(SKIP_3) | instid1(SALU_CYCLE_1)
	v_fmac_f16_e32 v22, s38, v23
	global_store_b16 v[20:21], v22, off offset:32
	s_wait_xcnt 0x0
	s_or_b32 exec_lo, exec_lo, s16
	s_and_b32 exec_lo, exec_lo, s5
	s_cbranch_execz .LBB358_2
.LBB358_31:                             ;   in Loop: Header=BB358_4 Depth=1
	v_lshl_add_u64 v[16:17], s[8:9], 1, v[16:17]
	v_lshl_add_u64 v[18:19], s[18:19], 1, v[18:19]
	s_delay_alu instid0(VALU_DEP_2) | instskip(NEXT) | instid1(VALU_DEP_2)
	v_add_nc_u64_e32 v[16:17], v[16:17], v[14:15]
	v_add_nc_u64_e32 v[14:15], v[18:19], v[14:15]
	s_and_saveexec_b32 s16, s3
	s_cbranch_execz .LBB358_33
; %bb.32:                               ;   in Loop: Header=BB358_4 Depth=1
	global_load_u16 v18, v[16:17], off
	s_wait_loadcnt 0x0
	v_mul_f16_e32 v18, s39, v18
	s_delay_alu instid0(VALU_DEP_1)
	v_fmac_f16_e32 v18, s38, v28
	global_store_b16 v[14:15], v18, off
.LBB358_33:                             ;   in Loop: Header=BB358_4 Depth=1
	s_wait_xcnt 0x0
	s_or_b32 exec_lo, exec_lo, s16
	s_delay_alu instid0(SALU_CYCLE_1)
	s_and_b32 exec_lo, exec_lo, s4
	s_cbranch_execz .LBB358_2
; %bb.34:                               ;   in Loop: Header=BB358_4 Depth=1
	global_load_u16 v16, v[16:17], off offset:32
	s_wait_xcnt 0x0
	v_lshrrev_b32_e32 v17, 16, v28
	s_wait_loadcnt 0x0
	v_mul_f16_e32 v16, s39, v16
	s_delay_alu instid0(VALU_DEP_1)
	v_fmac_f16_e32 v16, s38, v17
	global_store_b16 v[14:15], v16, off offset:32
	s_branch .LBB358_2
.LBB358_35:
	s_endpgm
	.section	.rodata,"a",@progbits
	.p2align	6, 0x0
	.amdhsa_kernel _ZN12_GLOBAL__N_135rocblas_gemm_batched_general_kernelIDF16_Li16ELi16ELi32ELi32ELi8ELi32ELi8ELi8ELi32ELc67ELc78EKDF16_S1_DF16_EEvlllT_PT11_llS4_llS2_PT12_llPT13_lli
		.amdhsa_group_segment_fixed_size 1024
		.amdhsa_private_segment_fixed_size 0
		.amdhsa_kernarg_size 140
		.amdhsa_user_sgpr_count 2
		.amdhsa_user_sgpr_dispatch_ptr 0
		.amdhsa_user_sgpr_queue_ptr 0
		.amdhsa_user_sgpr_kernarg_segment_ptr 1
		.amdhsa_user_sgpr_dispatch_id 0
		.amdhsa_user_sgpr_kernarg_preload_length 0
		.amdhsa_user_sgpr_kernarg_preload_offset 0
		.amdhsa_user_sgpr_private_segment_size 0
		.amdhsa_wavefront_size32 1
		.amdhsa_uses_dynamic_stack 0
		.amdhsa_enable_private_segment 0
		.amdhsa_system_sgpr_workgroup_id_x 1
		.amdhsa_system_sgpr_workgroup_id_y 1
		.amdhsa_system_sgpr_workgroup_id_z 1
		.amdhsa_system_sgpr_workgroup_info 0
		.amdhsa_system_vgpr_workitem_id 1
		.amdhsa_next_free_vgpr 43
		.amdhsa_next_free_sgpr 41
		.amdhsa_named_barrier_count 0
		.amdhsa_reserve_vcc 1
		.amdhsa_float_round_mode_32 0
		.amdhsa_float_round_mode_16_64 0
		.amdhsa_float_denorm_mode_32 3
		.amdhsa_float_denorm_mode_16_64 3
		.amdhsa_fp16_overflow 0
		.amdhsa_memory_ordered 1
		.amdhsa_forward_progress 1
		.amdhsa_inst_pref_size 15
		.amdhsa_round_robin_scheduling 0
		.amdhsa_exception_fp_ieee_invalid_op 0
		.amdhsa_exception_fp_denorm_src 0
		.amdhsa_exception_fp_ieee_div_zero 0
		.amdhsa_exception_fp_ieee_overflow 0
		.amdhsa_exception_fp_ieee_underflow 0
		.amdhsa_exception_fp_ieee_inexact 0
		.amdhsa_exception_int_div_zero 0
	.end_amdhsa_kernel
	.section	.text._ZN12_GLOBAL__N_135rocblas_gemm_batched_general_kernelIDF16_Li16ELi16ELi32ELi32ELi8ELi32ELi8ELi8ELi32ELc67ELc78EKDF16_S1_DF16_EEvlllT_PT11_llS4_llS2_PT12_llPT13_lli,"axG",@progbits,_ZN12_GLOBAL__N_135rocblas_gemm_batched_general_kernelIDF16_Li16ELi16ELi32ELi32ELi8ELi32ELi8ELi8ELi32ELc67ELc78EKDF16_S1_DF16_EEvlllT_PT11_llS4_llS2_PT12_llPT13_lli,comdat
.Lfunc_end358:
	.size	_ZN12_GLOBAL__N_135rocblas_gemm_batched_general_kernelIDF16_Li16ELi16ELi32ELi32ELi8ELi32ELi8ELi8ELi32ELc67ELc78EKDF16_S1_DF16_EEvlllT_PT11_llS4_llS2_PT12_llPT13_lli, .Lfunc_end358-_ZN12_GLOBAL__N_135rocblas_gemm_batched_general_kernelIDF16_Li16ELi16ELi32ELi32ELi8ELi32ELi8ELi8ELi32ELc67ELc78EKDF16_S1_DF16_EEvlllT_PT11_llS4_llS2_PT12_llPT13_lli
                                        ; -- End function
	.set _ZN12_GLOBAL__N_135rocblas_gemm_batched_general_kernelIDF16_Li16ELi16ELi32ELi32ELi8ELi32ELi8ELi8ELi32ELc67ELc78EKDF16_S1_DF16_EEvlllT_PT11_llS4_llS2_PT12_llPT13_lli.num_vgpr, 43
	.set _ZN12_GLOBAL__N_135rocblas_gemm_batched_general_kernelIDF16_Li16ELi16ELi32ELi32ELi8ELi32ELi8ELi8ELi32ELc67ELc78EKDF16_S1_DF16_EEvlllT_PT11_llS4_llS2_PT12_llPT13_lli.num_agpr, 0
	.set _ZN12_GLOBAL__N_135rocblas_gemm_batched_general_kernelIDF16_Li16ELi16ELi32ELi32ELi8ELi32ELi8ELi8ELi32ELc67ELc78EKDF16_S1_DF16_EEvlllT_PT11_llS4_llS2_PT12_llPT13_lli.numbered_sgpr, 41
	.set _ZN12_GLOBAL__N_135rocblas_gemm_batched_general_kernelIDF16_Li16ELi16ELi32ELi32ELi8ELi32ELi8ELi8ELi32ELc67ELc78EKDF16_S1_DF16_EEvlllT_PT11_llS4_llS2_PT12_llPT13_lli.num_named_barrier, 0
	.set _ZN12_GLOBAL__N_135rocblas_gemm_batched_general_kernelIDF16_Li16ELi16ELi32ELi32ELi8ELi32ELi8ELi8ELi32ELc67ELc78EKDF16_S1_DF16_EEvlllT_PT11_llS4_llS2_PT12_llPT13_lli.private_seg_size, 0
	.set _ZN12_GLOBAL__N_135rocblas_gemm_batched_general_kernelIDF16_Li16ELi16ELi32ELi32ELi8ELi32ELi8ELi8ELi32ELc67ELc78EKDF16_S1_DF16_EEvlllT_PT11_llS4_llS2_PT12_llPT13_lli.uses_vcc, 1
	.set _ZN12_GLOBAL__N_135rocblas_gemm_batched_general_kernelIDF16_Li16ELi16ELi32ELi32ELi8ELi32ELi8ELi8ELi32ELc67ELc78EKDF16_S1_DF16_EEvlllT_PT11_llS4_llS2_PT12_llPT13_lli.uses_flat_scratch, 0
	.set _ZN12_GLOBAL__N_135rocblas_gemm_batched_general_kernelIDF16_Li16ELi16ELi32ELi32ELi8ELi32ELi8ELi8ELi32ELc67ELc78EKDF16_S1_DF16_EEvlllT_PT11_llS4_llS2_PT12_llPT13_lli.has_dyn_sized_stack, 0
	.set _ZN12_GLOBAL__N_135rocblas_gemm_batched_general_kernelIDF16_Li16ELi16ELi32ELi32ELi8ELi32ELi8ELi8ELi32ELc67ELc78EKDF16_S1_DF16_EEvlllT_PT11_llS4_llS2_PT12_llPT13_lli.has_recursion, 0
	.set _ZN12_GLOBAL__N_135rocblas_gemm_batched_general_kernelIDF16_Li16ELi16ELi32ELi32ELi8ELi32ELi8ELi8ELi32ELc67ELc78EKDF16_S1_DF16_EEvlllT_PT11_llS4_llS2_PT12_llPT13_lli.has_indirect_call, 0
	.section	.AMDGPU.csdata,"",@progbits
; Kernel info:
; codeLenInByte = 1848
; TotalNumSgprs: 43
; NumVgprs: 43
; ScratchSize: 0
; MemoryBound: 0
; FloatMode: 240
; IeeeMode: 1
; LDSByteSize: 1024 bytes/workgroup (compile time only)
; SGPRBlocks: 0
; VGPRBlocks: 2
; NumSGPRsForWavesPerEU: 43
; NumVGPRsForWavesPerEU: 43
; NamedBarCnt: 0
; Occupancy: 16
; WaveLimiterHint : 0
; COMPUTE_PGM_RSRC2:SCRATCH_EN: 0
; COMPUTE_PGM_RSRC2:USER_SGPR: 2
; COMPUTE_PGM_RSRC2:TRAP_HANDLER: 0
; COMPUTE_PGM_RSRC2:TGID_X_EN: 1
; COMPUTE_PGM_RSRC2:TGID_Y_EN: 1
; COMPUTE_PGM_RSRC2:TGID_Z_EN: 1
; COMPUTE_PGM_RSRC2:TIDIG_COMP_CNT: 1
	.section	.text._ZN12_GLOBAL__N_135rocblas_gemm_batched_general_kernelIDF16_Li16ELi16ELi32ELi32ELi8ELi32ELi8ELi8ELi32ELc67ELc84EKDF16_S1_DF16_EEvlllT_PT11_llS4_llS2_PT12_llPT13_lli,"axG",@progbits,_ZN12_GLOBAL__N_135rocblas_gemm_batched_general_kernelIDF16_Li16ELi16ELi32ELi32ELi8ELi32ELi8ELi8ELi32ELc67ELc84EKDF16_S1_DF16_EEvlllT_PT11_llS4_llS2_PT12_llPT13_lli,comdat
	.globl	_ZN12_GLOBAL__N_135rocblas_gemm_batched_general_kernelIDF16_Li16ELi16ELi32ELi32ELi8ELi32ELi8ELi8ELi32ELc67ELc84EKDF16_S1_DF16_EEvlllT_PT11_llS4_llS2_PT12_llPT13_lli ; -- Begin function _ZN12_GLOBAL__N_135rocblas_gemm_batched_general_kernelIDF16_Li16ELi16ELi32ELi32ELi8ELi32ELi8ELi8ELi32ELc67ELc84EKDF16_S1_DF16_EEvlllT_PT11_llS4_llS2_PT12_llPT13_lli
	.p2align	8
	.type	_ZN12_GLOBAL__N_135rocblas_gemm_batched_general_kernelIDF16_Li16ELi16ELi32ELi32ELi8ELi32ELi8ELi8ELi32ELc67ELc84EKDF16_S1_DF16_EEvlllT_PT11_llS4_llS2_PT12_llPT13_lli,@function
_ZN12_GLOBAL__N_135rocblas_gemm_batched_general_kernelIDF16_Li16ELi16ELi32ELi32ELi8ELi32ELi8ELi8ELi32ELc67ELc84EKDF16_S1_DF16_EEvlllT_PT11_llS4_llS2_PT12_llPT13_lli: ; @_ZN12_GLOBAL__N_135rocblas_gemm_batched_general_kernelIDF16_Li16ELi16ELi32ELi32ELi8ELi32ELi8ELi8ELi32ELc67ELc84EKDF16_S1_DF16_EEvlllT_PT11_llS4_llS2_PT12_llPT13_lli
; %bb.0:
	s_load_b32 s33, s[0:1], 0x88
	s_bfe_u32 s2, ttmp6, 0x40014
	s_lshr_b32 s3, ttmp7, 16
	s_add_co_i32 s2, s2, 1
	s_bfe_u32 s5, ttmp6, 0x40008
	s_mul_i32 s4, s3, s2
	s_getreg_b32 s2, hwreg(HW_REG_IB_STS2, 6, 4)
	s_add_co_i32 s5, s5, s4
	s_cmp_eq_u32 s2, 0
	s_mov_b32 s35, 0
	s_cselect_b32 s34, s3, s5
	s_wait_kmcnt 0x0
	s_cmp_ge_i32 s34, s33
	s_cbranch_scc1 .LBB359_35
; %bb.1:
	s_clause 0x4
	s_load_b128 s[4:7], s[0:1], 0x0
	s_load_b256 s[16:23], s[0:1], 0x20
	s_load_b128 s[28:31], s[0:1], 0x40
	s_load_b32 s39, s[0:1], 0x50
	s_load_b256 s[8:15], s[0:1], 0x58
	v_bfe_u32 v8, v0, 10, 10
	v_and_b32_e32 v10, 0x3ff, v0
	s_bfe_u32 s3, ttmp6, 0x4000c
	v_mov_b32_e32 v9, 0
	s_bfe_u32 s25, ttmp6, 0x40010
	v_lshlrev_b32_e32 v22, 4, v8
	s_add_co_i32 s3, s3, 1
	s_and_b32 s26, ttmp7, 0xffff
	s_add_co_i32 s25, s25, 1
	s_and_b32 s24, ttmp6, 15
	s_mul_i32 s3, ttmp9, s3
	s_mul_i32 s25, s26, s25
	s_bfe_u32 s27, ttmp6, 0x40004
	v_dual_add_nc_u32 v2, v22, v10 :: v_dual_bitop2_b32 v0, 7, v0 bitop3:0x40
	v_mov_b32_e32 v1, v9
	s_add_co_i32 s24, s24, s3
	s_add_co_i32 s27, s27, s25
	s_cmp_eq_u32 s2, 0
	v_and_b32_e32 v3, 31, v2
	s_cselect_b32 s2, ttmp9, s24
	s_wait_kmcnt 0x0
	v_mul_u64_e32 v[12:13], s[28:29], v[0:1]
	s_cselect_b32 s42, s26, s27
	s_ashr_i32 s3, s2, 31
	s_clause 0x1
	s_load_b128 s[24:27], s[0:1], 0x78
	s_load_b96 s[36:38], s[0:1], 0x10
	s_lshl_b64 s[2:3], s[2:3], 5
	s_lshl_b32 s40, s42, 5
	v_dual_mov_b32 v5, s3 :: v_dual_bitop2_b32 v4, s2, v3 bitop3:0x54
	s_mov_b32 s41, s35
	v_dual_mov_b32 v17, v9 :: v_dual_lshrrev_b32 v16, 3, v2
	v_add_nc_u64_e32 v[14:15], s[40:41], v[8:9]
	s_delay_alu instid0(VALU_DEP_3)
	v_mul_u64_e32 v[18:19], s[18:19], v[4:5]
	v_dual_mov_b32 v11, v9 :: v_dual_lshrrev_b32 v2, 5, v2
	v_dual_mov_b32 v3, v9 :: v_dual_lshlrev_b32 v8, 1, v3
	v_add_nc_u64_e32 v[6:7], s[40:41], v[16:17]
	v_mul_u64_e32 v[20:21], s[10:11], v[14:15]
	s_wait_xcnt 0x0
	v_cmp_gt_i64_e64 s0, s[4:5], v[4:5]
	v_dual_lshlrev_b32 v17, 1, v0 :: v_dual_lshlrev_b32 v26, 1, v10
	s_wait_kmcnt 0x0
	v_mul_u64_e32 v[4:5], s[24:25], v[14:15]
	s_cmp_eq_f16 s39, 0
	v_lshl_or_b32 v24, v2, 6, v8
	v_lshl_or_b32 v8, v16, 4, v17
	v_cmp_gt_i64_e64 s1, s[6:7], v[6:7]
	s_cselect_b32 s40, -1, 0
	v_add_nc_u64_e32 v[6:7], s[2:3], v[10:11]
	s_lshl_b32 s2, s42, 6
	s_mov_b32 s3, s35
	v_add_nc_u32_e32 v25, 0x200, v8
	v_lshl_add_u64 v[12:13], v[12:13], 1, s[2:3]
	v_lshlrev_b32_e32 v8, 1, v16
	v_add_nc_u64_e32 v[16:17], 16, v[14:15]
	v_add_nc_u64_e32 v[10:11], 16, v[6:7]
	v_cmp_gt_i64_e64 s2, s[6:7], v[14:15]
	v_cmp_gt_i64_e64 s3, s[4:5], v[6:7]
	v_add_nc_u64_e32 v[12:13], v[12:13], v[8:9]
	v_lshlrev_b32_e32 v8, 1, v2
	v_add_nc_u32_e32 v27, 0x200, v22
	s_lshl_b64 s[10:11], s[10:11], 4
	v_cmp_gt_i64_e64 s4, s[4:5], v[10:11]
	v_cmp_gt_i64_e64 s5, s[6:7], v[16:17]
	v_lshl_add_u64 v[14:15], v[18:19], 1, v[8:9]
	v_add_nc_u64_e32 v[10:11], s[22:23], v[12:13]
	v_cmp_gt_i64_e64 s22, s[36:37], 0
	s_lshl_b64 s[6:7], s[24:25], 4
	s_lshl_b64 s[18:19], s[20:21], 1
	v_add_nc_u64_e32 v[12:13], s[16:17], v[14:15]
	v_lshl_add_u64 v[8:9], v[20:21], 1, s[8:9]
	s_lshl_b64 s[8:9], s[30:31], 1
	s_lshl_b64 s[16:17], s[28:29], 4
	s_branch .LBB359_4
.LBB359_2:                              ;   in Loop: Header=BB359_4 Depth=1
	s_wait_xcnt 0x0
	s_or_b32 exec_lo, exec_lo, s23
.LBB359_3:                              ;   in Loop: Header=BB359_4 Depth=1
	s_add_co_i32 s34, s34, 0x10000
	s_delay_alu instid0(SALU_CYCLE_1)
	s_cmp_lt_i32 s34, s33
	s_cbranch_scc0 .LBB359_35
.LBB359_4:                              ; =>This Loop Header: Depth=1
                                        ;     Child Loop BB359_7 Depth 2
	s_and_not1_b32 vcc_lo, exec_lo, s22
	s_cbranch_vccnz .LBB359_11
; %bb.5:                                ;   in Loop: Header=BB359_4 Depth=1
	v_mad_nc_u64_u32 v[14:15], s8, s34, v[10:11]
	v_mad_nc_u64_u32 v[16:17], s18, s34, v[12:13]
	v_dual_mov_b32 v29, 0 :: v_dual_mov_b32 v28, 0
	s_mov_b64 s[20:21], 0
	s_delay_alu instid0(VALU_DEP_3) | instskip(NEXT) | instid1(VALU_DEP_3)
	v_mad_u32 v15, s9, s34, v15
	v_mad_u32 v17, s19, s34, v17
	s_branch .LBB359_7
.LBB359_6:                              ;   in Loop: Header=BB359_7 Depth=2
	s_wait_xcnt 0x0
	s_or_b32 exec_lo, exec_lo, s23
	s_wait_loadcnt 0x0
	ds_store_b16 v25, v19
	s_wait_dscnt 0x0
	s_barrier_signal -1
	s_barrier_wait -1
	ds_load_u16 v22, v26
	ds_load_u16 v23, v26 offset:32
	ds_load_u16 v34, v26 offset:64
	;; [unrolled: 1-line block ×3, first 2 shown]
	ds_load_b128 v[18:21], v27
	ds_load_b128 v[30:33], v27 offset:256
	ds_load_u16 v36, v26 offset:128
	ds_load_u16 v37, v26 offset:160
	;; [unrolled: 1-line block ×6, first 2 shown]
	s_add_nc_u64 s[20:21], s[20:21], 8
	v_add_nc_u64_e32 v[14:15], s[16:17], v[14:15]
	v_cmp_lt_i64_e64 s23, s[20:21], s[36:37]
	v_add_nc_u64_e32 v[16:17], 16, v[16:17]
	s_wait_dscnt 0xa
	v_perm_b32 v22, v23, v22, 0x5040100
	ds_load_u16 v23, v26 offset:320
	ds_load_u16 v42, v26 offset:352
	s_wait_dscnt 0xa
	v_perm_b32 v34, v35, v34, 0x5040100
	s_and_b32 vcc_lo, exec_lo, s23
	s_wait_dscnt 0x9
	v_pk_fma_f16 v29, v22, v18, v29 op_sel_hi:[1,0,1]
	s_wait_dscnt 0x8
	v_pk_fma_f16 v22, v22, v30, v28 op_sel_hi:[1,0,1]
	ds_load_u16 v28, v26 offset:384
	ds_load_u16 v35, v26 offset:416
	s_wait_dscnt 0x8
	v_perm_b32 v36, v37, v36, 0x5040100
	v_pk_fma_f16 v18, v34, v18, v29 op_sel:[0,1,0]
	v_pk_fma_f16 v22, v34, v30, v22 op_sel:[0,1,0]
	ds_load_u16 v29, v26 offset:448
	ds_load_u16 v30, v26 offset:480
	s_wait_dscnt 0x8
	v_perm_b32 v34, v39, v38, 0x5040100
	s_wait_dscnt 0x0
	v_pk_fma_f16 v18, v36, v19, v18 op_sel_hi:[1,0,1]
	v_pk_fma_f16 v22, v36, v31, v22 op_sel_hi:[1,0,1]
	v_perm_b32 v36, v41, v40, 0x5040100
	s_barrier_signal -1
	s_barrier_wait -1
	v_pk_fma_f16 v18, v34, v19, v18 op_sel:[0,1,0]
	v_pk_fma_f16 v19, v34, v31, v22 op_sel:[0,1,0]
	v_perm_b32 v22, v42, v23, 0x5040100
	s_delay_alu instid0(VALU_DEP_3) | instskip(NEXT) | instid1(VALU_DEP_3)
	v_pk_fma_f16 v18, v36, v20, v18 op_sel_hi:[1,0,1]
	v_pk_fma_f16 v19, v36, v32, v19 op_sel_hi:[1,0,1]
	v_perm_b32 v23, v35, v28, 0x5040100
	s_delay_alu instid0(VALU_DEP_3) | instskip(NEXT) | instid1(VALU_DEP_3)
	v_pk_fma_f16 v18, v22, v20, v18 op_sel:[0,1,0]
	v_pk_fma_f16 v19, v22, v32, v19 op_sel:[0,1,0]
	v_perm_b32 v20, v30, v29, 0x5040100
	s_delay_alu instid0(VALU_DEP_3) | instskip(NEXT) | instid1(VALU_DEP_3)
	v_pk_fma_f16 v18, v23, v21, v18 op_sel_hi:[1,0,1]
	v_pk_fma_f16 v19, v23, v33, v19 op_sel_hi:[1,0,1]
	s_delay_alu instid0(VALU_DEP_2) | instskip(NEXT) | instid1(VALU_DEP_2)
	v_pk_fma_f16 v29, v20, v21, v18 op_sel:[0,1,0]
	v_pk_fma_f16 v28, v20, v33, v19 op_sel:[0,1,0]
	s_cbranch_vccz .LBB359_12
.LBB359_7:                              ;   Parent Loop BB359_4 Depth=1
                                        ; =>  This Inner Loop Header: Depth=2
	v_add_nc_u64_e32 v[18:19], s[20:21], v[2:3]
	s_delay_alu instid0(VALU_DEP_1) | instskip(SKIP_2) | instid1(SALU_CYCLE_1)
	v_cmp_gt_i64_e32 vcc_lo, s[36:37], v[18:19]
	v_mov_b32_e32 v18, 0
	s_and_b32 s24, s0, vcc_lo
	s_and_saveexec_b32 s23, s24
	s_cbranch_execz .LBB359_9
; %bb.8:                                ;   in Loop: Header=BB359_7 Depth=2
	global_load_u16 v18, v[16:17], off
.LBB359_9:                              ;   in Loop: Header=BB359_7 Depth=2
	s_wait_xcnt 0x0
	s_or_b32 exec_lo, exec_lo, s23
	v_add_nc_u64_e32 v[20:21], s[20:21], v[0:1]
	v_mov_b32_e32 v19, 0
	s_wait_loadcnt 0x0
	ds_store_b16 v24, v18
	v_cmp_gt_i64_e32 vcc_lo, s[36:37], v[20:21]
	s_and_b32 s24, vcc_lo, s1
	s_delay_alu instid0(SALU_CYCLE_1)
	s_and_saveexec_b32 s23, s24
	s_cbranch_execz .LBB359_6
; %bb.10:                               ;   in Loop: Header=BB359_7 Depth=2
	global_load_u16 v19, v[14:15], off
	s_branch .LBB359_6
.LBB359_11:                             ;   in Loop: Header=BB359_4 Depth=1
	v_dual_mov_b32 v28, 0 :: v_dual_mov_b32 v29, 0
.LBB359_12:                             ;   in Loop: Header=BB359_4 Depth=1
	s_mul_u64 s[20:21], s[26:27], s[34:35]
	s_and_not1_b32 vcc_lo, exec_lo, s40
	s_lshl_b64 s[20:21], s[20:21], 1
	s_delay_alu instid0(SALU_CYCLE_1)
	s_add_nc_u64 s[20:21], s[14:15], s[20:21]
	s_cbranch_vccnz .LBB359_17
; %bb.13:                               ;   in Loop: Header=BB359_4 Depth=1
	s_and_saveexec_b32 s23, s2
	s_cbranch_execz .LBB359_24
; %bb.14:                               ;   in Loop: Header=BB359_4 Depth=1
	v_lshl_add_u64 v[14:15], v[4:5], 1, s[20:21]
	s_delay_alu instid0(VALU_DEP_1)
	v_lshl_add_u64 v[16:17], v[6:7], 1, v[14:15]
	s_and_saveexec_b32 s24, s3
	s_cbranch_execnz .LBB359_18
; %bb.15:                               ;   in Loop: Header=BB359_4 Depth=1
	s_or_b32 exec_lo, exec_lo, s24
	s_and_saveexec_b32 s24, s4
	s_cbranch_execnz .LBB359_19
.LBB359_16:                             ;   in Loop: Header=BB359_4 Depth=1
	s_or_b32 exec_lo, exec_lo, s24
	s_delay_alu instid0(SALU_CYCLE_1)
	s_and_b32 exec_lo, exec_lo, s5
	s_cbranch_execnz .LBB359_20
	s_branch .LBB359_24
.LBB359_17:                             ;   in Loop: Header=BB359_4 Depth=1
	s_branch .LBB359_25
.LBB359_18:                             ;   in Loop: Header=BB359_4 Depth=1
	v_mul_f16_e32 v18, s38, v29
	global_store_b16 v[16:17], v18, off
	s_wait_xcnt 0x0
	s_or_b32 exec_lo, exec_lo, s24
	s_and_saveexec_b32 s24, s4
	s_cbranch_execz .LBB359_16
.LBB359_19:                             ;   in Loop: Header=BB359_4 Depth=1
	v_lshrrev_b32_e32 v18, 16, v29
	s_delay_alu instid0(VALU_DEP_1) | instskip(SKIP_3) | instid1(SALU_CYCLE_1)
	v_mul_f16_e32 v18, s38, v18
	global_store_b16 v[16:17], v18, off offset:32
	s_wait_xcnt 0x0
	s_or_b32 exec_lo, exec_lo, s24
	s_and_b32 exec_lo, exec_lo, s5
	s_cbranch_execz .LBB359_24
.LBB359_20:                             ;   in Loop: Header=BB359_4 Depth=1
	v_lshl_add_u64 v[14:15], s[6:7], 1, v[14:15]
	s_delay_alu instid0(VALU_DEP_1)
	v_lshl_add_u64 v[14:15], v[6:7], 1, v[14:15]
	s_and_saveexec_b32 s24, s3
	s_cbranch_execz .LBB359_22
; %bb.21:                               ;   in Loop: Header=BB359_4 Depth=1
	v_mul_f16_e32 v16, s38, v28
	global_store_b16 v[14:15], v16, off
.LBB359_22:                             ;   in Loop: Header=BB359_4 Depth=1
	s_wait_xcnt 0x0
	s_or_b32 exec_lo, exec_lo, s24
	s_delay_alu instid0(SALU_CYCLE_1)
	s_and_b32 exec_lo, exec_lo, s4
	s_cbranch_execz .LBB359_24
; %bb.23:                               ;   in Loop: Header=BB359_4 Depth=1
	v_lshrrev_b32_e32 v16, 16, v28
	s_delay_alu instid0(VALU_DEP_1)
	v_mul_f16_e32 v16, s38, v16
	global_store_b16 v[14:15], v16, off offset:32
.LBB359_24:                             ;   in Loop: Header=BB359_4 Depth=1
	s_wait_xcnt 0x0
	s_or_b32 exec_lo, exec_lo, s23
	s_cbranch_execnz .LBB359_3
.LBB359_25:                             ;   in Loop: Header=BB359_4 Depth=1
	s_and_saveexec_b32 s23, s2
	s_cbranch_execz .LBB359_2
; %bb.26:                               ;   in Loop: Header=BB359_4 Depth=1
	s_mul_u64 s[24:25], s[12:13], s[34:35]
	v_lshlrev_b64_e32 v[14:15], 1, v[6:7]
	v_lshl_add_u64 v[16:17], s[24:25], 1, v[8:9]
	v_lshl_add_u64 v[18:19], v[4:5], 1, s[20:21]
	s_delay_alu instid0(VALU_DEP_2) | instskip(NEXT) | instid1(VALU_DEP_2)
	v_add_nc_u64_e32 v[22:23], v[16:17], v[14:15]
	v_add_nc_u64_e32 v[20:21], v[18:19], v[14:15]
	s_and_saveexec_b32 s20, s3
	s_cbranch_execnz .LBB359_29
; %bb.27:                               ;   in Loop: Header=BB359_4 Depth=1
	s_or_b32 exec_lo, exec_lo, s20
	s_and_saveexec_b32 s20, s4
	s_cbranch_execnz .LBB359_30
.LBB359_28:                             ;   in Loop: Header=BB359_4 Depth=1
	s_or_b32 exec_lo, exec_lo, s20
	s_delay_alu instid0(SALU_CYCLE_1)
	s_and_b32 exec_lo, exec_lo, s5
	s_cbranch_execz .LBB359_2
	s_branch .LBB359_31
.LBB359_29:                             ;   in Loop: Header=BB359_4 Depth=1
	global_load_u16 v30, v[22:23], off
	s_wait_loadcnt 0x0
	v_mul_f16_e32 v30, s39, v30
	s_delay_alu instid0(VALU_DEP_1)
	v_fmac_f16_e32 v30, s38, v29
	global_store_b16 v[20:21], v30, off
	s_wait_xcnt 0x0
	s_or_b32 exec_lo, exec_lo, s20
	s_and_saveexec_b32 s20, s4
	s_cbranch_execz .LBB359_28
.LBB359_30:                             ;   in Loop: Header=BB359_4 Depth=1
	global_load_u16 v22, v[22:23], off offset:32
	s_wait_xcnt 0x0
	v_lshrrev_b32_e32 v23, 16, v29
	s_wait_loadcnt 0x0
	v_mul_f16_e32 v22, s39, v22
	s_delay_alu instid0(VALU_DEP_1) | instskip(SKIP_3) | instid1(SALU_CYCLE_1)
	v_fmac_f16_e32 v22, s38, v23
	global_store_b16 v[20:21], v22, off offset:32
	s_wait_xcnt 0x0
	s_or_b32 exec_lo, exec_lo, s20
	s_and_b32 exec_lo, exec_lo, s5
	s_cbranch_execz .LBB359_2
.LBB359_31:                             ;   in Loop: Header=BB359_4 Depth=1
	v_lshl_add_u64 v[16:17], s[10:11], 1, v[16:17]
	v_lshl_add_u64 v[18:19], s[6:7], 1, v[18:19]
	s_delay_alu instid0(VALU_DEP_2) | instskip(NEXT) | instid1(VALU_DEP_2)
	v_add_nc_u64_e32 v[16:17], v[16:17], v[14:15]
	v_add_nc_u64_e32 v[14:15], v[18:19], v[14:15]
	s_and_saveexec_b32 s20, s3
	s_cbranch_execz .LBB359_33
; %bb.32:                               ;   in Loop: Header=BB359_4 Depth=1
	global_load_u16 v18, v[16:17], off
	s_wait_loadcnt 0x0
	v_mul_f16_e32 v18, s39, v18
	s_delay_alu instid0(VALU_DEP_1)
	v_fmac_f16_e32 v18, s38, v28
	global_store_b16 v[14:15], v18, off
.LBB359_33:                             ;   in Loop: Header=BB359_4 Depth=1
	s_wait_xcnt 0x0
	s_or_b32 exec_lo, exec_lo, s20
	s_delay_alu instid0(SALU_CYCLE_1)
	s_and_b32 exec_lo, exec_lo, s4
	s_cbranch_execz .LBB359_2
; %bb.34:                               ;   in Loop: Header=BB359_4 Depth=1
	global_load_u16 v16, v[16:17], off offset:32
	s_wait_xcnt 0x0
	v_lshrrev_b32_e32 v17, 16, v28
	s_wait_loadcnt 0x0
	v_mul_f16_e32 v16, s39, v16
	s_delay_alu instid0(VALU_DEP_1)
	v_fmac_f16_e32 v16, s38, v17
	global_store_b16 v[14:15], v16, off offset:32
	s_branch .LBB359_2
.LBB359_35:
	s_endpgm
	.section	.rodata,"a",@progbits
	.p2align	6, 0x0
	.amdhsa_kernel _ZN12_GLOBAL__N_135rocblas_gemm_batched_general_kernelIDF16_Li16ELi16ELi32ELi32ELi8ELi32ELi8ELi8ELi32ELc67ELc84EKDF16_S1_DF16_EEvlllT_PT11_llS4_llS2_PT12_llPT13_lli
		.amdhsa_group_segment_fixed_size 1024
		.amdhsa_private_segment_fixed_size 0
		.amdhsa_kernarg_size 140
		.amdhsa_user_sgpr_count 2
		.amdhsa_user_sgpr_dispatch_ptr 0
		.amdhsa_user_sgpr_queue_ptr 0
		.amdhsa_user_sgpr_kernarg_segment_ptr 1
		.amdhsa_user_sgpr_dispatch_id 0
		.amdhsa_user_sgpr_kernarg_preload_length 0
		.amdhsa_user_sgpr_kernarg_preload_offset 0
		.amdhsa_user_sgpr_private_segment_size 0
		.amdhsa_wavefront_size32 1
		.amdhsa_uses_dynamic_stack 0
		.amdhsa_enable_private_segment 0
		.amdhsa_system_sgpr_workgroup_id_x 1
		.amdhsa_system_sgpr_workgroup_id_y 1
		.amdhsa_system_sgpr_workgroup_id_z 1
		.amdhsa_system_sgpr_workgroup_info 0
		.amdhsa_system_vgpr_workitem_id 1
		.amdhsa_next_free_vgpr 43
		.amdhsa_next_free_sgpr 43
		.amdhsa_named_barrier_count 0
		.amdhsa_reserve_vcc 1
		.amdhsa_float_round_mode_32 0
		.amdhsa_float_round_mode_16_64 0
		.amdhsa_float_denorm_mode_32 3
		.amdhsa_float_denorm_mode_16_64 3
		.amdhsa_fp16_overflow 0
		.amdhsa_memory_ordered 1
		.amdhsa_forward_progress 1
		.amdhsa_inst_pref_size 15
		.amdhsa_round_robin_scheduling 0
		.amdhsa_exception_fp_ieee_invalid_op 0
		.amdhsa_exception_fp_denorm_src 0
		.amdhsa_exception_fp_ieee_div_zero 0
		.amdhsa_exception_fp_ieee_overflow 0
		.amdhsa_exception_fp_ieee_underflow 0
		.amdhsa_exception_fp_ieee_inexact 0
		.amdhsa_exception_int_div_zero 0
	.end_amdhsa_kernel
	.section	.text._ZN12_GLOBAL__N_135rocblas_gemm_batched_general_kernelIDF16_Li16ELi16ELi32ELi32ELi8ELi32ELi8ELi8ELi32ELc67ELc84EKDF16_S1_DF16_EEvlllT_PT11_llS4_llS2_PT12_llPT13_lli,"axG",@progbits,_ZN12_GLOBAL__N_135rocblas_gemm_batched_general_kernelIDF16_Li16ELi16ELi32ELi32ELi8ELi32ELi8ELi8ELi32ELc67ELc84EKDF16_S1_DF16_EEvlllT_PT11_llS4_llS2_PT12_llPT13_lli,comdat
.Lfunc_end359:
	.size	_ZN12_GLOBAL__N_135rocblas_gemm_batched_general_kernelIDF16_Li16ELi16ELi32ELi32ELi8ELi32ELi8ELi8ELi32ELc67ELc84EKDF16_S1_DF16_EEvlllT_PT11_llS4_llS2_PT12_llPT13_lli, .Lfunc_end359-_ZN12_GLOBAL__N_135rocblas_gemm_batched_general_kernelIDF16_Li16ELi16ELi32ELi32ELi8ELi32ELi8ELi8ELi32ELc67ELc84EKDF16_S1_DF16_EEvlllT_PT11_llS4_llS2_PT12_llPT13_lli
                                        ; -- End function
	.set _ZN12_GLOBAL__N_135rocblas_gemm_batched_general_kernelIDF16_Li16ELi16ELi32ELi32ELi8ELi32ELi8ELi8ELi32ELc67ELc84EKDF16_S1_DF16_EEvlllT_PT11_llS4_llS2_PT12_llPT13_lli.num_vgpr, 43
	.set _ZN12_GLOBAL__N_135rocblas_gemm_batched_general_kernelIDF16_Li16ELi16ELi32ELi32ELi8ELi32ELi8ELi8ELi32ELc67ELc84EKDF16_S1_DF16_EEvlllT_PT11_llS4_llS2_PT12_llPT13_lli.num_agpr, 0
	.set _ZN12_GLOBAL__N_135rocblas_gemm_batched_general_kernelIDF16_Li16ELi16ELi32ELi32ELi8ELi32ELi8ELi8ELi32ELc67ELc84EKDF16_S1_DF16_EEvlllT_PT11_llS4_llS2_PT12_llPT13_lli.numbered_sgpr, 43
	.set _ZN12_GLOBAL__N_135rocblas_gemm_batched_general_kernelIDF16_Li16ELi16ELi32ELi32ELi8ELi32ELi8ELi8ELi32ELc67ELc84EKDF16_S1_DF16_EEvlllT_PT11_llS4_llS2_PT12_llPT13_lli.num_named_barrier, 0
	.set _ZN12_GLOBAL__N_135rocblas_gemm_batched_general_kernelIDF16_Li16ELi16ELi32ELi32ELi8ELi32ELi8ELi8ELi32ELc67ELc84EKDF16_S1_DF16_EEvlllT_PT11_llS4_llS2_PT12_llPT13_lli.private_seg_size, 0
	.set _ZN12_GLOBAL__N_135rocblas_gemm_batched_general_kernelIDF16_Li16ELi16ELi32ELi32ELi8ELi32ELi8ELi8ELi32ELc67ELc84EKDF16_S1_DF16_EEvlllT_PT11_llS4_llS2_PT12_llPT13_lli.uses_vcc, 1
	.set _ZN12_GLOBAL__N_135rocblas_gemm_batched_general_kernelIDF16_Li16ELi16ELi32ELi32ELi8ELi32ELi8ELi8ELi32ELc67ELc84EKDF16_S1_DF16_EEvlllT_PT11_llS4_llS2_PT12_llPT13_lli.uses_flat_scratch, 0
	.set _ZN12_GLOBAL__N_135rocblas_gemm_batched_general_kernelIDF16_Li16ELi16ELi32ELi32ELi8ELi32ELi8ELi8ELi32ELc67ELc84EKDF16_S1_DF16_EEvlllT_PT11_llS4_llS2_PT12_llPT13_lli.has_dyn_sized_stack, 0
	.set _ZN12_GLOBAL__N_135rocblas_gemm_batched_general_kernelIDF16_Li16ELi16ELi32ELi32ELi8ELi32ELi8ELi8ELi32ELc67ELc84EKDF16_S1_DF16_EEvlllT_PT11_llS4_llS2_PT12_llPT13_lli.has_recursion, 0
	.set _ZN12_GLOBAL__N_135rocblas_gemm_batched_general_kernelIDF16_Li16ELi16ELi32ELi32ELi8ELi32ELi8ELi8ELi32ELc67ELc84EKDF16_S1_DF16_EEvlllT_PT11_llS4_llS2_PT12_llPT13_lli.has_indirect_call, 0
	.section	.AMDGPU.csdata,"",@progbits
; Kernel info:
; codeLenInByte = 1840
; TotalNumSgprs: 45
; NumVgprs: 43
; ScratchSize: 0
; MemoryBound: 0
; FloatMode: 240
; IeeeMode: 1
; LDSByteSize: 1024 bytes/workgroup (compile time only)
; SGPRBlocks: 0
; VGPRBlocks: 2
; NumSGPRsForWavesPerEU: 45
; NumVGPRsForWavesPerEU: 43
; NamedBarCnt: 0
; Occupancy: 16
; WaveLimiterHint : 0
; COMPUTE_PGM_RSRC2:SCRATCH_EN: 0
; COMPUTE_PGM_RSRC2:USER_SGPR: 2
; COMPUTE_PGM_RSRC2:TRAP_HANDLER: 0
; COMPUTE_PGM_RSRC2:TGID_X_EN: 1
; COMPUTE_PGM_RSRC2:TGID_Y_EN: 1
; COMPUTE_PGM_RSRC2:TGID_Z_EN: 1
; COMPUTE_PGM_RSRC2:TIDIG_COMP_CNT: 1
	.section	.text._ZN12_GLOBAL__N_135rocblas_gemm_batched_general_kernelIDF16_Li16ELi16ELi32ELi32ELi8ELi32ELi8ELi8ELi32ELc78ELc67EKDF16_S1_DF16_EEvlllT_PT11_llS4_llS2_PT12_llPT13_lli,"axG",@progbits,_ZN12_GLOBAL__N_135rocblas_gemm_batched_general_kernelIDF16_Li16ELi16ELi32ELi32ELi8ELi32ELi8ELi8ELi32ELc78ELc67EKDF16_S1_DF16_EEvlllT_PT11_llS4_llS2_PT12_llPT13_lli,comdat
	.globl	_ZN12_GLOBAL__N_135rocblas_gemm_batched_general_kernelIDF16_Li16ELi16ELi32ELi32ELi8ELi32ELi8ELi8ELi32ELc78ELc67EKDF16_S1_DF16_EEvlllT_PT11_llS4_llS2_PT12_llPT13_lli ; -- Begin function _ZN12_GLOBAL__N_135rocblas_gemm_batched_general_kernelIDF16_Li16ELi16ELi32ELi32ELi8ELi32ELi8ELi8ELi32ELc78ELc67EKDF16_S1_DF16_EEvlllT_PT11_llS4_llS2_PT12_llPT13_lli
	.p2align	8
	.type	_ZN12_GLOBAL__N_135rocblas_gemm_batched_general_kernelIDF16_Li16ELi16ELi32ELi32ELi8ELi32ELi8ELi8ELi32ELc78ELc67EKDF16_S1_DF16_EEvlllT_PT11_llS4_llS2_PT12_llPT13_lli,@function
_ZN12_GLOBAL__N_135rocblas_gemm_batched_general_kernelIDF16_Li16ELi16ELi32ELi32ELi8ELi32ELi8ELi8ELi32ELc78ELc67EKDF16_S1_DF16_EEvlllT_PT11_llS4_llS2_PT12_llPT13_lli: ; @_ZN12_GLOBAL__N_135rocblas_gemm_batched_general_kernelIDF16_Li16ELi16ELi32ELi32ELi8ELi32ELi8ELi8ELi32ELc78ELc67EKDF16_S1_DF16_EEvlllT_PT11_llS4_llS2_PT12_llPT13_lli
; %bb.0:
	s_load_b32 s33, s[0:1], 0x88
	s_bfe_u32 s2, ttmp6, 0x40014
	s_lshr_b32 s3, ttmp7, 16
	s_add_co_i32 s2, s2, 1
	s_bfe_u32 s5, ttmp6, 0x40008
	s_mul_i32 s4, s3, s2
	s_getreg_b32 s2, hwreg(HW_REG_IB_STS2, 6, 4)
	s_add_co_i32 s5, s5, s4
	s_cmp_eq_u32 s2, 0
	s_mov_b32 s35, 0
	s_cselect_b32 s34, s3, s5
	s_wait_kmcnt 0x0
	s_cmp_ge_i32 s34, s33
	s_cbranch_scc1 .LBB360_35
; %bb.1:
	v_bfe_u32 v8, v0, 10, 10
	s_clause 0x4
	s_load_b128 s[4:7], s[0:1], 0x0
	s_load_b256 s[16:23], s[0:1], 0x20
	s_load_b128 s[28:31], s[0:1], 0x40
	s_load_b32 s39, s[0:1], 0x50
	s_load_b128 s[24:27], s[0:1], 0x78
	v_and_b32_e32 v10, 0x3ff, v0
	s_bfe_u32 s3, ttmp6, 0x4000c
	v_dual_lshlrev_b32 v21, 4, v8 :: v_dual_mov_b32 v9, 0
	s_load_b256 s[8:15], s[0:1], 0x58
	s_add_co_i32 s3, s3, 1
	s_bfe_u32 s37, ttmp6, 0x40010
	s_delay_alu instid0(VALU_DEP_1) | instskip(SKIP_3) | instid1(VALU_DEP_2)
	v_dual_add_nc_u32 v1, v21, v10 :: v_dual_bitop2_b32 v0, 7, v0 bitop3:0x40
	v_mov_b32_e32 v3, v9
	s_and_b32 s36, ttmp6, 15
	s_mul_i32 s3, ttmp9, s3
	v_dual_lshrrev_b32 v2, 5, v1 :: v_dual_bitop2_b32 v11, 31, v1 bitop3:0x40
	v_dual_mov_b32 v1, v9 :: v_dual_lshrrev_b32 v12, 3, v1
	v_mov_b32_e32 v13, v9
	s_and_b32 s38, ttmp7, 0xffff
	s_add_co_i32 s37, s37, 1
	s_add_co_i32 s36, s36, s3
	s_mul_i32 s3, s38, s37
	s_bfe_u32 s37, ttmp6, 0x40004
	s_wait_kmcnt 0x0
	v_mul_u64_e32 v[14:15], s[28:29], v[0:1]
	s_add_co_i32 s37, s37, s3
	v_mul_u64_e32 v[16:17], s[18:19], v[2:3]
	s_cmp_eq_u32 s2, 0
	v_lshlrev_b32_e32 v20, 1, v11
	s_cselect_b32 s42, s38, s37
	s_cselect_b32 s2, ttmp9, s36
	s_lshl_b32 s36, s42, 5
	s_mov_b32 s37, s35
	s_ashr_i32 s3, s2, 31
	v_add_nc_u64_e32 v[18:19], s[36:37], v[8:9]
	v_add_nc_u64_e32 v[6:7], s[36:37], v[12:13]
	s_load_b96 s[36:38], s[0:1], 0x10
	v_lshlrev_b32_e32 v8, 1, v0
	s_lshl_b64 s[40:41], s[2:3], 5
	s_cmp_eq_f16 s39, 0
	v_dual_mov_b32 v5, s41 :: v_dual_bitop2_b32 v4, s40, v11 bitop3:0x54
	v_mul_u64_e32 v[22:23], s[10:11], v[18:19]
	s_wait_xcnt 0x0
	v_cmp_gt_i64_e64 s1, s[6:7], v[6:7]
	v_mul_u64_e32 v[6:7], s[24:25], v[18:19]
	v_dual_mov_b32 v11, v9 :: v_dual_lshlrev_b32 v26, 1, v10
	v_lshl_or_b32 v8, v12, 4, v8
	v_cmp_gt_i64_e64 s0, s[4:5], v[4:5]
	s_mov_b32 s43, s35
	v_add_nc_u64_e32 v[4:5], s[40:41], v[10:11]
	s_cselect_b32 s40, -1, 0
	s_lshl_b32 s42, s42, 6
	s_lshl_b64 s[2:3], s[2:3], 6
	v_add_nc_u32_e32 v25, 0x200, v8
	v_add_nc_u32_e32 v27, 0x200, v21
	v_lshl_add_u64 v[14:15], v[14:15], 1, s[42:43]
	v_dual_mov_b32 v21, v9 :: v_dual_lshlrev_b32 v8, 1, v12
	v_lshl_add_u64 v[12:13], v[16:17], 1, s[2:3]
	v_add_nc_u64_e32 v[10:11], 16, v[4:5]
	v_add_nc_u64_e32 v[28:29], 16, v[18:19]
	s_delay_alu instid0(VALU_DEP_4)
	v_add_nc_u64_e32 v[14:15], v[14:15], v[8:9]
	v_cmp_gt_i64_e64 s2, s[6:7], v[18:19]
	v_add_nc_u64_e32 v[12:13], v[12:13], v[20:21]
	v_cmp_gt_i64_e64 s3, s[4:5], v[4:5]
	v_lshl_or_b32 v24, v2, 6, v20
	v_cmp_gt_i64_e64 s4, s[4:5], v[10:11]
	v_cmp_gt_i64_e64 s5, s[6:7], v[28:29]
	s_lshl_b64 s[6:7], s[24:25], 4
	v_add_nc_u64_e32 v[10:11], s[22:23], v[14:15]
	v_add_nc_u64_e32 v[12:13], s[16:17], v[12:13]
	s_wait_kmcnt 0x0
	v_cmp_gt_i64_e64 s24, s[36:37], 0
	s_lshl_b64 s[10:11], s[10:11], 4
	v_lshl_add_u64 v[8:9], v[22:23], 1, s[8:9]
	s_lshl_b64 s[8:9], s[30:31], 1
	s_lshl_b64 s[16:17], s[28:29], 4
	;; [unrolled: 1-line block ×4, first 2 shown]
	s_branch .LBB360_4
.LBB360_2:                              ;   in Loop: Header=BB360_4 Depth=1
	s_wait_xcnt 0x0
	s_or_b32 exec_lo, exec_lo, s25
.LBB360_3:                              ;   in Loop: Header=BB360_4 Depth=1
	s_add_co_i32 s34, s34, 0x10000
	s_delay_alu instid0(SALU_CYCLE_1)
	s_cmp_lt_i32 s34, s33
	s_cbranch_scc0 .LBB360_35
.LBB360_4:                              ; =>This Loop Header: Depth=1
                                        ;     Child Loop BB360_7 Depth 2
	s_and_not1_b32 vcc_lo, exec_lo, s24
	s_cbranch_vccnz .LBB360_11
; %bb.5:                                ;   in Loop: Header=BB360_4 Depth=1
	v_mad_nc_u64_u32 v[14:15], s8, s34, v[10:11]
	v_mad_nc_u64_u32 v[16:17], s20, s34, v[12:13]
	v_dual_mov_b32 v29, 0 :: v_dual_mov_b32 v28, 0
	s_mov_b64 s[22:23], 0
	s_delay_alu instid0(VALU_DEP_3) | instskip(NEXT) | instid1(VALU_DEP_3)
	v_mad_u32 v15, s9, s34, v15
	v_mad_u32 v17, s21, s34, v17
	s_branch .LBB360_7
.LBB360_6:                              ;   in Loop: Header=BB360_7 Depth=2
	s_wait_xcnt 0x0
	s_or_b32 exec_lo, exec_lo, s25
	s_wait_loadcnt 0x0
	ds_store_b16 v25, v19
	s_wait_dscnt 0x0
	s_barrier_signal -1
	s_barrier_wait -1
	ds_load_u16 v22, v26
	ds_load_u16 v23, v26 offset:32
	ds_load_u16 v34, v26 offset:64
	;; [unrolled: 1-line block ×3, first 2 shown]
	ds_load_b128 v[18:21], v27
	ds_load_b128 v[30:33], v27 offset:256
	ds_load_u16 v36, v26 offset:128
	ds_load_u16 v37, v26 offset:160
	;; [unrolled: 1-line block ×6, first 2 shown]
	s_add_nc_u64 s[22:23], s[22:23], 8
	v_add_nc_u64_e32 v[14:15], s[16:17], v[14:15]
	v_cmp_lt_i64_e64 s25, s[22:23], s[36:37]
	v_add_nc_u64_e32 v[16:17], s[18:19], v[16:17]
	s_wait_dscnt 0xa
	v_perm_b32 v22, v23, v22, 0x5040100
	ds_load_u16 v23, v26 offset:320
	ds_load_u16 v42, v26 offset:352
	s_wait_dscnt 0xa
	v_perm_b32 v34, v35, v34, 0x5040100
	s_and_b32 vcc_lo, exec_lo, s25
	s_wait_dscnt 0x9
	v_pk_fma_f16 v29, v22, v18, v29 op_sel_hi:[1,0,1]
	s_wait_dscnt 0x8
	v_pk_fma_f16 v22, v22, v30, v28 op_sel_hi:[1,0,1]
	ds_load_u16 v28, v26 offset:384
	ds_load_u16 v35, v26 offset:416
	s_wait_dscnt 0x8
	v_perm_b32 v36, v37, v36, 0x5040100
	v_pk_fma_f16 v18, v34, v18, v29 op_sel:[0,1,0]
	v_pk_fma_f16 v22, v34, v30, v22 op_sel:[0,1,0]
	ds_load_u16 v29, v26 offset:448
	ds_load_u16 v30, v26 offset:480
	s_wait_dscnt 0x8
	v_perm_b32 v34, v39, v38, 0x5040100
	s_wait_dscnt 0x0
	v_pk_fma_f16 v18, v36, v19, v18 op_sel_hi:[1,0,1]
	v_pk_fma_f16 v22, v36, v31, v22 op_sel_hi:[1,0,1]
	v_perm_b32 v36, v41, v40, 0x5040100
	s_barrier_signal -1
	s_barrier_wait -1
	v_pk_fma_f16 v18, v34, v19, v18 op_sel:[0,1,0]
	v_pk_fma_f16 v19, v34, v31, v22 op_sel:[0,1,0]
	v_perm_b32 v22, v42, v23, 0x5040100
	s_delay_alu instid0(VALU_DEP_3) | instskip(NEXT) | instid1(VALU_DEP_3)
	v_pk_fma_f16 v18, v36, v20, v18 op_sel_hi:[1,0,1]
	v_pk_fma_f16 v19, v36, v32, v19 op_sel_hi:[1,0,1]
	v_perm_b32 v23, v35, v28, 0x5040100
	s_delay_alu instid0(VALU_DEP_3) | instskip(NEXT) | instid1(VALU_DEP_3)
	v_pk_fma_f16 v18, v22, v20, v18 op_sel:[0,1,0]
	v_pk_fma_f16 v19, v22, v32, v19 op_sel:[0,1,0]
	v_perm_b32 v20, v30, v29, 0x5040100
	s_delay_alu instid0(VALU_DEP_3) | instskip(NEXT) | instid1(VALU_DEP_3)
	v_pk_fma_f16 v18, v23, v21, v18 op_sel_hi:[1,0,1]
	v_pk_fma_f16 v19, v23, v33, v19 op_sel_hi:[1,0,1]
	s_delay_alu instid0(VALU_DEP_2) | instskip(NEXT) | instid1(VALU_DEP_2)
	v_pk_fma_f16 v29, v20, v21, v18 op_sel:[0,1,0]
	v_pk_fma_f16 v28, v20, v33, v19 op_sel:[0,1,0]
	s_cbranch_vccz .LBB360_12
.LBB360_7:                              ;   Parent Loop BB360_4 Depth=1
                                        ; =>  This Inner Loop Header: Depth=2
	v_add_nc_u64_e32 v[18:19], s[22:23], v[2:3]
	s_delay_alu instid0(VALU_DEP_1) | instskip(SKIP_2) | instid1(SALU_CYCLE_1)
	v_cmp_gt_i64_e32 vcc_lo, s[36:37], v[18:19]
	v_mov_b32_e32 v18, 0
	s_and_b32 s28, s0, vcc_lo
	s_and_saveexec_b32 s25, s28
	s_cbranch_execz .LBB360_9
; %bb.8:                                ;   in Loop: Header=BB360_7 Depth=2
	global_load_u16 v18, v[16:17], off
.LBB360_9:                              ;   in Loop: Header=BB360_7 Depth=2
	s_wait_xcnt 0x0
	s_or_b32 exec_lo, exec_lo, s25
	v_add_nc_u64_e32 v[20:21], s[22:23], v[0:1]
	v_mov_b32_e32 v19, 0
	s_wait_loadcnt 0x0
	ds_store_b16 v24, v18
	v_cmp_gt_i64_e32 vcc_lo, s[36:37], v[20:21]
	s_and_b32 s28, vcc_lo, s1
	s_delay_alu instid0(SALU_CYCLE_1)
	s_and_saveexec_b32 s25, s28
	s_cbranch_execz .LBB360_6
; %bb.10:                               ;   in Loop: Header=BB360_7 Depth=2
	global_load_u16 v19, v[14:15], off
	s_branch .LBB360_6
.LBB360_11:                             ;   in Loop: Header=BB360_4 Depth=1
	v_dual_mov_b32 v28, 0 :: v_dual_mov_b32 v29, 0
.LBB360_12:                             ;   in Loop: Header=BB360_4 Depth=1
	s_mul_u64 s[22:23], s[26:27], s[34:35]
	s_and_not1_b32 vcc_lo, exec_lo, s40
	s_lshl_b64 s[22:23], s[22:23], 1
	s_delay_alu instid0(SALU_CYCLE_1)
	s_add_nc_u64 s[22:23], s[14:15], s[22:23]
	s_cbranch_vccnz .LBB360_17
; %bb.13:                               ;   in Loop: Header=BB360_4 Depth=1
	s_and_saveexec_b32 s25, s2
	s_cbranch_execz .LBB360_24
; %bb.14:                               ;   in Loop: Header=BB360_4 Depth=1
	v_lshl_add_u64 v[14:15], v[6:7], 1, s[22:23]
	s_delay_alu instid0(VALU_DEP_1)
	v_lshl_add_u64 v[16:17], v[4:5], 1, v[14:15]
	s_and_saveexec_b32 s28, s3
	s_cbranch_execnz .LBB360_18
; %bb.15:                               ;   in Loop: Header=BB360_4 Depth=1
	s_or_b32 exec_lo, exec_lo, s28
	s_and_saveexec_b32 s28, s4
	s_cbranch_execnz .LBB360_19
.LBB360_16:                             ;   in Loop: Header=BB360_4 Depth=1
	s_or_b32 exec_lo, exec_lo, s28
	s_delay_alu instid0(SALU_CYCLE_1)
	s_and_b32 exec_lo, exec_lo, s5
	s_cbranch_execnz .LBB360_20
	s_branch .LBB360_24
.LBB360_17:                             ;   in Loop: Header=BB360_4 Depth=1
	s_branch .LBB360_25
.LBB360_18:                             ;   in Loop: Header=BB360_4 Depth=1
	v_mul_f16_e32 v18, s38, v29
	global_store_b16 v[16:17], v18, off
	s_wait_xcnt 0x0
	s_or_b32 exec_lo, exec_lo, s28
	s_and_saveexec_b32 s28, s4
	s_cbranch_execz .LBB360_16
.LBB360_19:                             ;   in Loop: Header=BB360_4 Depth=1
	v_lshrrev_b32_e32 v18, 16, v29
	s_delay_alu instid0(VALU_DEP_1) | instskip(SKIP_3) | instid1(SALU_CYCLE_1)
	v_mul_f16_e32 v18, s38, v18
	global_store_b16 v[16:17], v18, off offset:32
	s_wait_xcnt 0x0
	s_or_b32 exec_lo, exec_lo, s28
	s_and_b32 exec_lo, exec_lo, s5
	s_cbranch_execz .LBB360_24
.LBB360_20:                             ;   in Loop: Header=BB360_4 Depth=1
	v_lshl_add_u64 v[14:15], s[6:7], 1, v[14:15]
	s_delay_alu instid0(VALU_DEP_1)
	v_lshl_add_u64 v[14:15], v[4:5], 1, v[14:15]
	s_and_saveexec_b32 s28, s3
	s_cbranch_execz .LBB360_22
; %bb.21:                               ;   in Loop: Header=BB360_4 Depth=1
	v_mul_f16_e32 v16, s38, v28
	global_store_b16 v[14:15], v16, off
.LBB360_22:                             ;   in Loop: Header=BB360_4 Depth=1
	s_wait_xcnt 0x0
	s_or_b32 exec_lo, exec_lo, s28
	s_delay_alu instid0(SALU_CYCLE_1)
	s_and_b32 exec_lo, exec_lo, s4
	s_cbranch_execz .LBB360_24
; %bb.23:                               ;   in Loop: Header=BB360_4 Depth=1
	v_lshrrev_b32_e32 v16, 16, v28
	s_delay_alu instid0(VALU_DEP_1)
	v_mul_f16_e32 v16, s38, v16
	global_store_b16 v[14:15], v16, off offset:32
.LBB360_24:                             ;   in Loop: Header=BB360_4 Depth=1
	s_wait_xcnt 0x0
	s_or_b32 exec_lo, exec_lo, s25
	s_cbranch_execnz .LBB360_3
.LBB360_25:                             ;   in Loop: Header=BB360_4 Depth=1
	s_and_saveexec_b32 s25, s2
	s_cbranch_execz .LBB360_2
; %bb.26:                               ;   in Loop: Header=BB360_4 Depth=1
	s_mul_u64 s[28:29], s[12:13], s[34:35]
	v_lshlrev_b64_e32 v[14:15], 1, v[4:5]
	v_lshl_add_u64 v[16:17], s[28:29], 1, v[8:9]
	v_lshl_add_u64 v[18:19], v[6:7], 1, s[22:23]
	s_delay_alu instid0(VALU_DEP_2) | instskip(NEXT) | instid1(VALU_DEP_2)
	v_add_nc_u64_e32 v[22:23], v[16:17], v[14:15]
	v_add_nc_u64_e32 v[20:21], v[18:19], v[14:15]
	s_and_saveexec_b32 s22, s3
	s_cbranch_execnz .LBB360_29
; %bb.27:                               ;   in Loop: Header=BB360_4 Depth=1
	s_or_b32 exec_lo, exec_lo, s22
	s_and_saveexec_b32 s22, s4
	s_cbranch_execnz .LBB360_30
.LBB360_28:                             ;   in Loop: Header=BB360_4 Depth=1
	s_or_b32 exec_lo, exec_lo, s22
	s_delay_alu instid0(SALU_CYCLE_1)
	s_and_b32 exec_lo, exec_lo, s5
	s_cbranch_execz .LBB360_2
	s_branch .LBB360_31
.LBB360_29:                             ;   in Loop: Header=BB360_4 Depth=1
	global_load_u16 v30, v[22:23], off
	s_wait_loadcnt 0x0
	v_mul_f16_e32 v30, s39, v30
	s_delay_alu instid0(VALU_DEP_1)
	v_fmac_f16_e32 v30, s38, v29
	global_store_b16 v[20:21], v30, off
	s_wait_xcnt 0x0
	s_or_b32 exec_lo, exec_lo, s22
	s_and_saveexec_b32 s22, s4
	s_cbranch_execz .LBB360_28
.LBB360_30:                             ;   in Loop: Header=BB360_4 Depth=1
	global_load_u16 v22, v[22:23], off offset:32
	s_wait_xcnt 0x0
	v_lshrrev_b32_e32 v23, 16, v29
	s_wait_loadcnt 0x0
	v_mul_f16_e32 v22, s39, v22
	s_delay_alu instid0(VALU_DEP_1) | instskip(SKIP_3) | instid1(SALU_CYCLE_1)
	v_fmac_f16_e32 v22, s38, v23
	global_store_b16 v[20:21], v22, off offset:32
	s_wait_xcnt 0x0
	s_or_b32 exec_lo, exec_lo, s22
	s_and_b32 exec_lo, exec_lo, s5
	s_cbranch_execz .LBB360_2
.LBB360_31:                             ;   in Loop: Header=BB360_4 Depth=1
	v_lshl_add_u64 v[16:17], s[10:11], 1, v[16:17]
	v_lshl_add_u64 v[18:19], s[6:7], 1, v[18:19]
	s_delay_alu instid0(VALU_DEP_2) | instskip(NEXT) | instid1(VALU_DEP_2)
	v_add_nc_u64_e32 v[16:17], v[16:17], v[14:15]
	v_add_nc_u64_e32 v[14:15], v[18:19], v[14:15]
	s_and_saveexec_b32 s22, s3
	s_cbranch_execz .LBB360_33
; %bb.32:                               ;   in Loop: Header=BB360_4 Depth=1
	global_load_u16 v18, v[16:17], off
	s_wait_loadcnt 0x0
	v_mul_f16_e32 v18, s39, v18
	s_delay_alu instid0(VALU_DEP_1)
	v_fmac_f16_e32 v18, s38, v28
	global_store_b16 v[14:15], v18, off
.LBB360_33:                             ;   in Loop: Header=BB360_4 Depth=1
	s_wait_xcnt 0x0
	s_or_b32 exec_lo, exec_lo, s22
	s_delay_alu instid0(SALU_CYCLE_1)
	s_and_b32 exec_lo, exec_lo, s4
	s_cbranch_execz .LBB360_2
; %bb.34:                               ;   in Loop: Header=BB360_4 Depth=1
	global_load_u16 v16, v[16:17], off offset:32
	s_wait_xcnt 0x0
	v_lshrrev_b32_e32 v17, 16, v28
	s_wait_loadcnt 0x0
	v_mul_f16_e32 v16, s39, v16
	s_delay_alu instid0(VALU_DEP_1)
	v_fmac_f16_e32 v16, s38, v17
	global_store_b16 v[14:15], v16, off offset:32
	s_branch .LBB360_2
.LBB360_35:
	s_endpgm
	.section	.rodata,"a",@progbits
	.p2align	6, 0x0
	.amdhsa_kernel _ZN12_GLOBAL__N_135rocblas_gemm_batched_general_kernelIDF16_Li16ELi16ELi32ELi32ELi8ELi32ELi8ELi8ELi32ELc78ELc67EKDF16_S1_DF16_EEvlllT_PT11_llS4_llS2_PT12_llPT13_lli
		.amdhsa_group_segment_fixed_size 1024
		.amdhsa_private_segment_fixed_size 0
		.amdhsa_kernarg_size 140
		.amdhsa_user_sgpr_count 2
		.amdhsa_user_sgpr_dispatch_ptr 0
		.amdhsa_user_sgpr_queue_ptr 0
		.amdhsa_user_sgpr_kernarg_segment_ptr 1
		.amdhsa_user_sgpr_dispatch_id 0
		.amdhsa_user_sgpr_kernarg_preload_length 0
		.amdhsa_user_sgpr_kernarg_preload_offset 0
		.amdhsa_user_sgpr_private_segment_size 0
		.amdhsa_wavefront_size32 1
		.amdhsa_uses_dynamic_stack 0
		.amdhsa_enable_private_segment 0
		.amdhsa_system_sgpr_workgroup_id_x 1
		.amdhsa_system_sgpr_workgroup_id_y 1
		.amdhsa_system_sgpr_workgroup_id_z 1
		.amdhsa_system_sgpr_workgroup_info 0
		.amdhsa_system_vgpr_workitem_id 1
		.amdhsa_next_free_vgpr 43
		.amdhsa_next_free_sgpr 44
		.amdhsa_named_barrier_count 0
		.amdhsa_reserve_vcc 1
		.amdhsa_float_round_mode_32 0
		.amdhsa_float_round_mode_16_64 0
		.amdhsa_float_denorm_mode_32 3
		.amdhsa_float_denorm_mode_16_64 3
		.amdhsa_fp16_overflow 0
		.amdhsa_memory_ordered 1
		.amdhsa_forward_progress 1
		.amdhsa_inst_pref_size 15
		.amdhsa_round_robin_scheduling 0
		.amdhsa_exception_fp_ieee_invalid_op 0
		.amdhsa_exception_fp_denorm_src 0
		.amdhsa_exception_fp_ieee_div_zero 0
		.amdhsa_exception_fp_ieee_overflow 0
		.amdhsa_exception_fp_ieee_underflow 0
		.amdhsa_exception_fp_ieee_inexact 0
		.amdhsa_exception_int_div_zero 0
	.end_amdhsa_kernel
	.section	.text._ZN12_GLOBAL__N_135rocblas_gemm_batched_general_kernelIDF16_Li16ELi16ELi32ELi32ELi8ELi32ELi8ELi8ELi32ELc78ELc67EKDF16_S1_DF16_EEvlllT_PT11_llS4_llS2_PT12_llPT13_lli,"axG",@progbits,_ZN12_GLOBAL__N_135rocblas_gemm_batched_general_kernelIDF16_Li16ELi16ELi32ELi32ELi8ELi32ELi8ELi8ELi32ELc78ELc67EKDF16_S1_DF16_EEvlllT_PT11_llS4_llS2_PT12_llPT13_lli,comdat
.Lfunc_end360:
	.size	_ZN12_GLOBAL__N_135rocblas_gemm_batched_general_kernelIDF16_Li16ELi16ELi32ELi32ELi8ELi32ELi8ELi8ELi32ELc78ELc67EKDF16_S1_DF16_EEvlllT_PT11_llS4_llS2_PT12_llPT13_lli, .Lfunc_end360-_ZN12_GLOBAL__N_135rocblas_gemm_batched_general_kernelIDF16_Li16ELi16ELi32ELi32ELi8ELi32ELi8ELi8ELi32ELc78ELc67EKDF16_S1_DF16_EEvlllT_PT11_llS4_llS2_PT12_llPT13_lli
                                        ; -- End function
	.set _ZN12_GLOBAL__N_135rocblas_gemm_batched_general_kernelIDF16_Li16ELi16ELi32ELi32ELi8ELi32ELi8ELi8ELi32ELc78ELc67EKDF16_S1_DF16_EEvlllT_PT11_llS4_llS2_PT12_llPT13_lli.num_vgpr, 43
	.set _ZN12_GLOBAL__N_135rocblas_gemm_batched_general_kernelIDF16_Li16ELi16ELi32ELi32ELi8ELi32ELi8ELi8ELi32ELc78ELc67EKDF16_S1_DF16_EEvlllT_PT11_llS4_llS2_PT12_llPT13_lli.num_agpr, 0
	.set _ZN12_GLOBAL__N_135rocblas_gemm_batched_general_kernelIDF16_Li16ELi16ELi32ELi32ELi8ELi32ELi8ELi8ELi32ELc78ELc67EKDF16_S1_DF16_EEvlllT_PT11_llS4_llS2_PT12_llPT13_lli.numbered_sgpr, 44
	.set _ZN12_GLOBAL__N_135rocblas_gemm_batched_general_kernelIDF16_Li16ELi16ELi32ELi32ELi8ELi32ELi8ELi8ELi32ELc78ELc67EKDF16_S1_DF16_EEvlllT_PT11_llS4_llS2_PT12_llPT13_lli.num_named_barrier, 0
	.set _ZN12_GLOBAL__N_135rocblas_gemm_batched_general_kernelIDF16_Li16ELi16ELi32ELi32ELi8ELi32ELi8ELi8ELi32ELc78ELc67EKDF16_S1_DF16_EEvlllT_PT11_llS4_llS2_PT12_llPT13_lli.private_seg_size, 0
	.set _ZN12_GLOBAL__N_135rocblas_gemm_batched_general_kernelIDF16_Li16ELi16ELi32ELi32ELi8ELi32ELi8ELi8ELi32ELc78ELc67EKDF16_S1_DF16_EEvlllT_PT11_llS4_llS2_PT12_llPT13_lli.uses_vcc, 1
	.set _ZN12_GLOBAL__N_135rocblas_gemm_batched_general_kernelIDF16_Li16ELi16ELi32ELi32ELi8ELi32ELi8ELi8ELi32ELc78ELc67EKDF16_S1_DF16_EEvlllT_PT11_llS4_llS2_PT12_llPT13_lli.uses_flat_scratch, 0
	.set _ZN12_GLOBAL__N_135rocblas_gemm_batched_general_kernelIDF16_Li16ELi16ELi32ELi32ELi8ELi32ELi8ELi8ELi32ELc78ELc67EKDF16_S1_DF16_EEvlllT_PT11_llS4_llS2_PT12_llPT13_lli.has_dyn_sized_stack, 0
	.set _ZN12_GLOBAL__N_135rocblas_gemm_batched_general_kernelIDF16_Li16ELi16ELi32ELi32ELi8ELi32ELi8ELi8ELi32ELc78ELc67EKDF16_S1_DF16_EEvlllT_PT11_llS4_llS2_PT12_llPT13_lli.has_recursion, 0
	.set _ZN12_GLOBAL__N_135rocblas_gemm_batched_general_kernelIDF16_Li16ELi16ELi32ELi32ELi8ELi32ELi8ELi8ELi32ELc78ELc67EKDF16_S1_DF16_EEvlllT_PT11_llS4_llS2_PT12_llPT13_lli.has_indirect_call, 0
	.section	.AMDGPU.csdata,"",@progbits
; Kernel info:
; codeLenInByte = 1856
; TotalNumSgprs: 46
; NumVgprs: 43
; ScratchSize: 0
; MemoryBound: 0
; FloatMode: 240
; IeeeMode: 1
; LDSByteSize: 1024 bytes/workgroup (compile time only)
; SGPRBlocks: 0
; VGPRBlocks: 2
; NumSGPRsForWavesPerEU: 46
; NumVGPRsForWavesPerEU: 43
; NamedBarCnt: 0
; Occupancy: 16
; WaveLimiterHint : 0
; COMPUTE_PGM_RSRC2:SCRATCH_EN: 0
; COMPUTE_PGM_RSRC2:USER_SGPR: 2
; COMPUTE_PGM_RSRC2:TRAP_HANDLER: 0
; COMPUTE_PGM_RSRC2:TGID_X_EN: 1
; COMPUTE_PGM_RSRC2:TGID_Y_EN: 1
; COMPUTE_PGM_RSRC2:TGID_Z_EN: 1
; COMPUTE_PGM_RSRC2:TIDIG_COMP_CNT: 1
	.section	.text._ZN12_GLOBAL__N_135rocblas_gemm_batched_general_kernelIDF16_Li16ELi16ELi32ELi32ELi8ELi32ELi8ELi8ELi32ELc84ELc67EKDF16_S1_DF16_EEvlllT_PT11_llS4_llS2_PT12_llPT13_lli,"axG",@progbits,_ZN12_GLOBAL__N_135rocblas_gemm_batched_general_kernelIDF16_Li16ELi16ELi32ELi32ELi8ELi32ELi8ELi8ELi32ELc84ELc67EKDF16_S1_DF16_EEvlllT_PT11_llS4_llS2_PT12_llPT13_lli,comdat
	.globl	_ZN12_GLOBAL__N_135rocblas_gemm_batched_general_kernelIDF16_Li16ELi16ELi32ELi32ELi8ELi32ELi8ELi8ELi32ELc84ELc67EKDF16_S1_DF16_EEvlllT_PT11_llS4_llS2_PT12_llPT13_lli ; -- Begin function _ZN12_GLOBAL__N_135rocblas_gemm_batched_general_kernelIDF16_Li16ELi16ELi32ELi32ELi8ELi32ELi8ELi8ELi32ELc84ELc67EKDF16_S1_DF16_EEvlllT_PT11_llS4_llS2_PT12_llPT13_lli
	.p2align	8
	.type	_ZN12_GLOBAL__N_135rocblas_gemm_batched_general_kernelIDF16_Li16ELi16ELi32ELi32ELi8ELi32ELi8ELi8ELi32ELc84ELc67EKDF16_S1_DF16_EEvlllT_PT11_llS4_llS2_PT12_llPT13_lli,@function
_ZN12_GLOBAL__N_135rocblas_gemm_batched_general_kernelIDF16_Li16ELi16ELi32ELi32ELi8ELi32ELi8ELi8ELi32ELc84ELc67EKDF16_S1_DF16_EEvlllT_PT11_llS4_llS2_PT12_llPT13_lli: ; @_ZN12_GLOBAL__N_135rocblas_gemm_batched_general_kernelIDF16_Li16ELi16ELi32ELi32ELi8ELi32ELi8ELi8ELi32ELc84ELc67EKDF16_S1_DF16_EEvlllT_PT11_llS4_llS2_PT12_llPT13_lli
; %bb.0:
	s_load_b32 s33, s[0:1], 0x88
	s_bfe_u32 s2, ttmp6, 0x40014
	s_lshr_b32 s3, ttmp7, 16
	s_add_co_i32 s2, s2, 1
	s_bfe_u32 s5, ttmp6, 0x40008
	s_mul_i32 s4, s3, s2
	s_getreg_b32 s2, hwreg(HW_REG_IB_STS2, 6, 4)
	s_add_co_i32 s5, s5, s4
	s_cmp_eq_u32 s2, 0
	s_mov_b32 s35, 0
	s_cselect_b32 s34, s3, s5
	s_wait_kmcnt 0x0
	s_cmp_ge_i32 s34, s33
	s_cbranch_scc1 .LBB361_35
; %bb.1:
	s_clause 0x4
	s_load_b128 s[4:7], s[0:1], 0x0
	s_load_b256 s[16:23], s[0:1], 0x20
	s_load_b128 s[28:31], s[0:1], 0x40
	s_load_b32 s39, s[0:1], 0x50
	s_load_b256 s[8:15], s[0:1], 0x58
	v_bfe_u32 v8, v0, 10, 10
	v_and_b32_e32 v10, 0x3ff, v0
	s_bfe_u32 s3, ttmp6, 0x4000c
	v_mov_b32_e32 v9, 0
	s_bfe_u32 s25, ttmp6, 0x40010
	v_lshlrev_b32_e32 v22, 4, v8
	s_add_co_i32 s3, s3, 1
	s_and_b32 s26, ttmp7, 0xffff
	s_add_co_i32 s25, s25, 1
	s_and_b32 s24, ttmp6, 15
	s_mul_i32 s3, ttmp9, s3
	s_mul_i32 s25, s26, s25
	s_bfe_u32 s27, ttmp6, 0x40004
	v_dual_add_nc_u32 v2, v22, v10 :: v_dual_bitop2_b32 v0, 7, v0 bitop3:0x40
	v_mov_b32_e32 v1, v9
	s_add_co_i32 s24, s24, s3
	s_add_co_i32 s27, s27, s25
	s_cmp_eq_u32 s2, 0
	v_and_b32_e32 v3, 31, v2
	s_cselect_b32 s2, ttmp9, s24
	s_wait_kmcnt 0x0
	v_mul_u64_e32 v[12:13], s[28:29], v[0:1]
	s_cselect_b32 s42, s26, s27
	s_ashr_i32 s3, s2, 31
	s_clause 0x1
	s_load_b128 s[24:27], s[0:1], 0x78
	s_load_b96 s[36:38], s[0:1], 0x10
	s_lshl_b64 s[2:3], s[2:3], 5
	s_lshl_b32 s40, s42, 5
	v_dual_mov_b32 v5, s3 :: v_dual_bitop2_b32 v4, s2, v3 bitop3:0x54
	s_mov_b32 s41, s35
	v_dual_mov_b32 v17, v9 :: v_dual_lshrrev_b32 v16, 3, v2
	v_add_nc_u64_e32 v[14:15], s[40:41], v[8:9]
	s_delay_alu instid0(VALU_DEP_3)
	v_mul_u64_e32 v[18:19], s[18:19], v[4:5]
	v_dual_mov_b32 v11, v9 :: v_dual_lshrrev_b32 v2, 5, v2
	v_dual_mov_b32 v3, v9 :: v_dual_lshlrev_b32 v8, 1, v3
	v_add_nc_u64_e32 v[6:7], s[40:41], v[16:17]
	v_mul_u64_e32 v[20:21], s[10:11], v[14:15]
	s_wait_xcnt 0x0
	v_cmp_gt_i64_e64 s0, s[4:5], v[4:5]
	v_dual_lshlrev_b32 v17, 1, v0 :: v_dual_lshlrev_b32 v26, 1, v10
	s_wait_kmcnt 0x0
	v_mul_u64_e32 v[4:5], s[24:25], v[14:15]
	s_cmp_eq_f16 s39, 0
	v_lshl_or_b32 v24, v2, 6, v8
	v_lshl_or_b32 v8, v16, 4, v17
	v_cmp_gt_i64_e64 s1, s[6:7], v[6:7]
	s_cselect_b32 s40, -1, 0
	v_add_nc_u64_e32 v[6:7], s[2:3], v[10:11]
	s_lshl_b32 s2, s42, 6
	s_mov_b32 s3, s35
	v_add_nc_u32_e32 v25, 0x200, v8
	v_lshl_add_u64 v[12:13], v[12:13], 1, s[2:3]
	v_lshlrev_b32_e32 v8, 1, v16
	v_add_nc_u64_e32 v[16:17], 16, v[14:15]
	v_add_nc_u64_e32 v[10:11], 16, v[6:7]
	v_cmp_gt_i64_e64 s2, s[6:7], v[14:15]
	v_cmp_gt_i64_e64 s3, s[4:5], v[6:7]
	v_add_nc_u64_e32 v[12:13], v[12:13], v[8:9]
	v_lshlrev_b32_e32 v8, 1, v2
	v_add_nc_u32_e32 v27, 0x200, v22
	s_lshl_b64 s[10:11], s[10:11], 4
	v_cmp_gt_i64_e64 s4, s[4:5], v[10:11]
	v_cmp_gt_i64_e64 s5, s[6:7], v[16:17]
	v_lshl_add_u64 v[14:15], v[18:19], 1, v[8:9]
	v_add_nc_u64_e32 v[10:11], s[22:23], v[12:13]
	v_cmp_gt_i64_e64 s22, s[36:37], 0
	s_lshl_b64 s[6:7], s[24:25], 4
	s_lshl_b64 s[18:19], s[20:21], 1
	v_add_nc_u64_e32 v[12:13], s[16:17], v[14:15]
	v_lshl_add_u64 v[8:9], v[20:21], 1, s[8:9]
	s_lshl_b64 s[8:9], s[30:31], 1
	s_lshl_b64 s[16:17], s[28:29], 4
	s_branch .LBB361_4
.LBB361_2:                              ;   in Loop: Header=BB361_4 Depth=1
	s_wait_xcnt 0x0
	s_or_b32 exec_lo, exec_lo, s23
.LBB361_3:                              ;   in Loop: Header=BB361_4 Depth=1
	s_add_co_i32 s34, s34, 0x10000
	s_delay_alu instid0(SALU_CYCLE_1)
	s_cmp_lt_i32 s34, s33
	s_cbranch_scc0 .LBB361_35
.LBB361_4:                              ; =>This Loop Header: Depth=1
                                        ;     Child Loop BB361_7 Depth 2
	s_and_not1_b32 vcc_lo, exec_lo, s22
	s_cbranch_vccnz .LBB361_11
; %bb.5:                                ;   in Loop: Header=BB361_4 Depth=1
	v_mad_nc_u64_u32 v[14:15], s8, s34, v[10:11]
	v_mad_nc_u64_u32 v[16:17], s18, s34, v[12:13]
	v_dual_mov_b32 v29, 0 :: v_dual_mov_b32 v28, 0
	s_mov_b64 s[20:21], 0
	s_delay_alu instid0(VALU_DEP_3) | instskip(NEXT) | instid1(VALU_DEP_3)
	v_mad_u32 v15, s9, s34, v15
	v_mad_u32 v17, s19, s34, v17
	s_branch .LBB361_7
.LBB361_6:                              ;   in Loop: Header=BB361_7 Depth=2
	s_wait_xcnt 0x0
	s_or_b32 exec_lo, exec_lo, s23
	s_wait_loadcnt 0x0
	ds_store_b16 v25, v19
	s_wait_dscnt 0x0
	s_barrier_signal -1
	s_barrier_wait -1
	ds_load_u16 v22, v26
	ds_load_u16 v23, v26 offset:32
	ds_load_u16 v34, v26 offset:64
	;; [unrolled: 1-line block ×3, first 2 shown]
	ds_load_b128 v[18:21], v27
	ds_load_b128 v[30:33], v27 offset:256
	ds_load_u16 v36, v26 offset:128
	ds_load_u16 v37, v26 offset:160
	;; [unrolled: 1-line block ×6, first 2 shown]
	s_add_nc_u64 s[20:21], s[20:21], 8
	v_add_nc_u64_e32 v[14:15], s[16:17], v[14:15]
	v_cmp_lt_i64_e64 s23, s[20:21], s[36:37]
	v_add_nc_u64_e32 v[16:17], 16, v[16:17]
	s_wait_dscnt 0xa
	v_perm_b32 v22, v23, v22, 0x5040100
	ds_load_u16 v23, v26 offset:320
	ds_load_u16 v42, v26 offset:352
	s_wait_dscnt 0xa
	v_perm_b32 v34, v35, v34, 0x5040100
	s_and_b32 vcc_lo, exec_lo, s23
	s_wait_dscnt 0x9
	v_pk_fma_f16 v29, v22, v18, v29 op_sel_hi:[1,0,1]
	s_wait_dscnt 0x8
	v_pk_fma_f16 v22, v22, v30, v28 op_sel_hi:[1,0,1]
	ds_load_u16 v28, v26 offset:384
	ds_load_u16 v35, v26 offset:416
	s_wait_dscnt 0x8
	v_perm_b32 v36, v37, v36, 0x5040100
	v_pk_fma_f16 v18, v34, v18, v29 op_sel:[0,1,0]
	v_pk_fma_f16 v22, v34, v30, v22 op_sel:[0,1,0]
	ds_load_u16 v29, v26 offset:448
	ds_load_u16 v30, v26 offset:480
	s_wait_dscnt 0x8
	v_perm_b32 v34, v39, v38, 0x5040100
	s_wait_dscnt 0x0
	v_pk_fma_f16 v18, v36, v19, v18 op_sel_hi:[1,0,1]
	v_pk_fma_f16 v22, v36, v31, v22 op_sel_hi:[1,0,1]
	v_perm_b32 v36, v41, v40, 0x5040100
	s_barrier_signal -1
	s_barrier_wait -1
	v_pk_fma_f16 v18, v34, v19, v18 op_sel:[0,1,0]
	v_pk_fma_f16 v19, v34, v31, v22 op_sel:[0,1,0]
	v_perm_b32 v22, v42, v23, 0x5040100
	s_delay_alu instid0(VALU_DEP_3) | instskip(NEXT) | instid1(VALU_DEP_3)
	v_pk_fma_f16 v18, v36, v20, v18 op_sel_hi:[1,0,1]
	v_pk_fma_f16 v19, v36, v32, v19 op_sel_hi:[1,0,1]
	v_perm_b32 v23, v35, v28, 0x5040100
	s_delay_alu instid0(VALU_DEP_3) | instskip(NEXT) | instid1(VALU_DEP_3)
	v_pk_fma_f16 v18, v22, v20, v18 op_sel:[0,1,0]
	v_pk_fma_f16 v19, v22, v32, v19 op_sel:[0,1,0]
	v_perm_b32 v20, v30, v29, 0x5040100
	s_delay_alu instid0(VALU_DEP_3) | instskip(NEXT) | instid1(VALU_DEP_3)
	v_pk_fma_f16 v18, v23, v21, v18 op_sel_hi:[1,0,1]
	v_pk_fma_f16 v19, v23, v33, v19 op_sel_hi:[1,0,1]
	s_delay_alu instid0(VALU_DEP_2) | instskip(NEXT) | instid1(VALU_DEP_2)
	v_pk_fma_f16 v29, v20, v21, v18 op_sel:[0,1,0]
	v_pk_fma_f16 v28, v20, v33, v19 op_sel:[0,1,0]
	s_cbranch_vccz .LBB361_12
.LBB361_7:                              ;   Parent Loop BB361_4 Depth=1
                                        ; =>  This Inner Loop Header: Depth=2
	v_add_nc_u64_e32 v[18:19], s[20:21], v[2:3]
	s_delay_alu instid0(VALU_DEP_1) | instskip(SKIP_2) | instid1(SALU_CYCLE_1)
	v_cmp_gt_i64_e32 vcc_lo, s[36:37], v[18:19]
	v_mov_b32_e32 v18, 0
	s_and_b32 s24, s0, vcc_lo
	s_and_saveexec_b32 s23, s24
	s_cbranch_execz .LBB361_9
; %bb.8:                                ;   in Loop: Header=BB361_7 Depth=2
	global_load_u16 v18, v[16:17], off
.LBB361_9:                              ;   in Loop: Header=BB361_7 Depth=2
	s_wait_xcnt 0x0
	s_or_b32 exec_lo, exec_lo, s23
	v_add_nc_u64_e32 v[20:21], s[20:21], v[0:1]
	v_mov_b32_e32 v19, 0
	s_wait_loadcnt 0x0
	ds_store_b16 v24, v18
	v_cmp_gt_i64_e32 vcc_lo, s[36:37], v[20:21]
	s_and_b32 s24, vcc_lo, s1
	s_delay_alu instid0(SALU_CYCLE_1)
	s_and_saveexec_b32 s23, s24
	s_cbranch_execz .LBB361_6
; %bb.10:                               ;   in Loop: Header=BB361_7 Depth=2
	global_load_u16 v19, v[14:15], off
	s_branch .LBB361_6
.LBB361_11:                             ;   in Loop: Header=BB361_4 Depth=1
	v_dual_mov_b32 v28, 0 :: v_dual_mov_b32 v29, 0
.LBB361_12:                             ;   in Loop: Header=BB361_4 Depth=1
	s_mul_u64 s[20:21], s[26:27], s[34:35]
	s_and_not1_b32 vcc_lo, exec_lo, s40
	s_lshl_b64 s[20:21], s[20:21], 1
	s_delay_alu instid0(SALU_CYCLE_1)
	s_add_nc_u64 s[20:21], s[14:15], s[20:21]
	s_cbranch_vccnz .LBB361_17
; %bb.13:                               ;   in Loop: Header=BB361_4 Depth=1
	s_and_saveexec_b32 s23, s2
	s_cbranch_execz .LBB361_24
; %bb.14:                               ;   in Loop: Header=BB361_4 Depth=1
	v_lshl_add_u64 v[14:15], v[4:5], 1, s[20:21]
	s_delay_alu instid0(VALU_DEP_1)
	v_lshl_add_u64 v[16:17], v[6:7], 1, v[14:15]
	s_and_saveexec_b32 s24, s3
	s_cbranch_execnz .LBB361_18
; %bb.15:                               ;   in Loop: Header=BB361_4 Depth=1
	s_or_b32 exec_lo, exec_lo, s24
	s_and_saveexec_b32 s24, s4
	s_cbranch_execnz .LBB361_19
.LBB361_16:                             ;   in Loop: Header=BB361_4 Depth=1
	s_or_b32 exec_lo, exec_lo, s24
	s_delay_alu instid0(SALU_CYCLE_1)
	s_and_b32 exec_lo, exec_lo, s5
	s_cbranch_execnz .LBB361_20
	s_branch .LBB361_24
.LBB361_17:                             ;   in Loop: Header=BB361_4 Depth=1
	s_branch .LBB361_25
.LBB361_18:                             ;   in Loop: Header=BB361_4 Depth=1
	v_mul_f16_e32 v18, s38, v29
	global_store_b16 v[16:17], v18, off
	s_wait_xcnt 0x0
	s_or_b32 exec_lo, exec_lo, s24
	s_and_saveexec_b32 s24, s4
	s_cbranch_execz .LBB361_16
.LBB361_19:                             ;   in Loop: Header=BB361_4 Depth=1
	v_lshrrev_b32_e32 v18, 16, v29
	s_delay_alu instid0(VALU_DEP_1) | instskip(SKIP_3) | instid1(SALU_CYCLE_1)
	v_mul_f16_e32 v18, s38, v18
	global_store_b16 v[16:17], v18, off offset:32
	s_wait_xcnt 0x0
	s_or_b32 exec_lo, exec_lo, s24
	s_and_b32 exec_lo, exec_lo, s5
	s_cbranch_execz .LBB361_24
.LBB361_20:                             ;   in Loop: Header=BB361_4 Depth=1
	v_lshl_add_u64 v[14:15], s[6:7], 1, v[14:15]
	s_delay_alu instid0(VALU_DEP_1)
	v_lshl_add_u64 v[14:15], v[6:7], 1, v[14:15]
	s_and_saveexec_b32 s24, s3
	s_cbranch_execz .LBB361_22
; %bb.21:                               ;   in Loop: Header=BB361_4 Depth=1
	v_mul_f16_e32 v16, s38, v28
	global_store_b16 v[14:15], v16, off
.LBB361_22:                             ;   in Loop: Header=BB361_4 Depth=1
	s_wait_xcnt 0x0
	s_or_b32 exec_lo, exec_lo, s24
	s_delay_alu instid0(SALU_CYCLE_1)
	s_and_b32 exec_lo, exec_lo, s4
	s_cbranch_execz .LBB361_24
; %bb.23:                               ;   in Loop: Header=BB361_4 Depth=1
	v_lshrrev_b32_e32 v16, 16, v28
	s_delay_alu instid0(VALU_DEP_1)
	v_mul_f16_e32 v16, s38, v16
	global_store_b16 v[14:15], v16, off offset:32
.LBB361_24:                             ;   in Loop: Header=BB361_4 Depth=1
	s_wait_xcnt 0x0
	s_or_b32 exec_lo, exec_lo, s23
	s_cbranch_execnz .LBB361_3
.LBB361_25:                             ;   in Loop: Header=BB361_4 Depth=1
	s_and_saveexec_b32 s23, s2
	s_cbranch_execz .LBB361_2
; %bb.26:                               ;   in Loop: Header=BB361_4 Depth=1
	s_mul_u64 s[24:25], s[12:13], s[34:35]
	v_lshlrev_b64_e32 v[14:15], 1, v[6:7]
	v_lshl_add_u64 v[16:17], s[24:25], 1, v[8:9]
	v_lshl_add_u64 v[18:19], v[4:5], 1, s[20:21]
	s_delay_alu instid0(VALU_DEP_2) | instskip(NEXT) | instid1(VALU_DEP_2)
	v_add_nc_u64_e32 v[22:23], v[16:17], v[14:15]
	v_add_nc_u64_e32 v[20:21], v[18:19], v[14:15]
	s_and_saveexec_b32 s20, s3
	s_cbranch_execnz .LBB361_29
; %bb.27:                               ;   in Loop: Header=BB361_4 Depth=1
	s_or_b32 exec_lo, exec_lo, s20
	s_and_saveexec_b32 s20, s4
	s_cbranch_execnz .LBB361_30
.LBB361_28:                             ;   in Loop: Header=BB361_4 Depth=1
	s_or_b32 exec_lo, exec_lo, s20
	s_delay_alu instid0(SALU_CYCLE_1)
	s_and_b32 exec_lo, exec_lo, s5
	s_cbranch_execz .LBB361_2
	s_branch .LBB361_31
.LBB361_29:                             ;   in Loop: Header=BB361_4 Depth=1
	global_load_u16 v30, v[22:23], off
	s_wait_loadcnt 0x0
	v_mul_f16_e32 v30, s39, v30
	s_delay_alu instid0(VALU_DEP_1)
	v_fmac_f16_e32 v30, s38, v29
	global_store_b16 v[20:21], v30, off
	s_wait_xcnt 0x0
	s_or_b32 exec_lo, exec_lo, s20
	s_and_saveexec_b32 s20, s4
	s_cbranch_execz .LBB361_28
.LBB361_30:                             ;   in Loop: Header=BB361_4 Depth=1
	global_load_u16 v22, v[22:23], off offset:32
	s_wait_xcnt 0x0
	v_lshrrev_b32_e32 v23, 16, v29
	s_wait_loadcnt 0x0
	v_mul_f16_e32 v22, s39, v22
	s_delay_alu instid0(VALU_DEP_1) | instskip(SKIP_3) | instid1(SALU_CYCLE_1)
	v_fmac_f16_e32 v22, s38, v23
	global_store_b16 v[20:21], v22, off offset:32
	s_wait_xcnt 0x0
	s_or_b32 exec_lo, exec_lo, s20
	s_and_b32 exec_lo, exec_lo, s5
	s_cbranch_execz .LBB361_2
.LBB361_31:                             ;   in Loop: Header=BB361_4 Depth=1
	v_lshl_add_u64 v[16:17], s[10:11], 1, v[16:17]
	v_lshl_add_u64 v[18:19], s[6:7], 1, v[18:19]
	s_delay_alu instid0(VALU_DEP_2) | instskip(NEXT) | instid1(VALU_DEP_2)
	v_add_nc_u64_e32 v[16:17], v[16:17], v[14:15]
	v_add_nc_u64_e32 v[14:15], v[18:19], v[14:15]
	s_and_saveexec_b32 s20, s3
	s_cbranch_execz .LBB361_33
; %bb.32:                               ;   in Loop: Header=BB361_4 Depth=1
	global_load_u16 v18, v[16:17], off
	s_wait_loadcnt 0x0
	v_mul_f16_e32 v18, s39, v18
	s_delay_alu instid0(VALU_DEP_1)
	v_fmac_f16_e32 v18, s38, v28
	global_store_b16 v[14:15], v18, off
.LBB361_33:                             ;   in Loop: Header=BB361_4 Depth=1
	s_wait_xcnt 0x0
	s_or_b32 exec_lo, exec_lo, s20
	s_delay_alu instid0(SALU_CYCLE_1)
	s_and_b32 exec_lo, exec_lo, s4
	s_cbranch_execz .LBB361_2
; %bb.34:                               ;   in Loop: Header=BB361_4 Depth=1
	global_load_u16 v16, v[16:17], off offset:32
	s_wait_xcnt 0x0
	v_lshrrev_b32_e32 v17, 16, v28
	s_wait_loadcnt 0x0
	v_mul_f16_e32 v16, s39, v16
	s_delay_alu instid0(VALU_DEP_1)
	v_fmac_f16_e32 v16, s38, v17
	global_store_b16 v[14:15], v16, off offset:32
	s_branch .LBB361_2
.LBB361_35:
	s_endpgm
	.section	.rodata,"a",@progbits
	.p2align	6, 0x0
	.amdhsa_kernel _ZN12_GLOBAL__N_135rocblas_gemm_batched_general_kernelIDF16_Li16ELi16ELi32ELi32ELi8ELi32ELi8ELi8ELi32ELc84ELc67EKDF16_S1_DF16_EEvlllT_PT11_llS4_llS2_PT12_llPT13_lli
		.amdhsa_group_segment_fixed_size 1024
		.amdhsa_private_segment_fixed_size 0
		.amdhsa_kernarg_size 140
		.amdhsa_user_sgpr_count 2
		.amdhsa_user_sgpr_dispatch_ptr 0
		.amdhsa_user_sgpr_queue_ptr 0
		.amdhsa_user_sgpr_kernarg_segment_ptr 1
		.amdhsa_user_sgpr_dispatch_id 0
		.amdhsa_user_sgpr_kernarg_preload_length 0
		.amdhsa_user_sgpr_kernarg_preload_offset 0
		.amdhsa_user_sgpr_private_segment_size 0
		.amdhsa_wavefront_size32 1
		.amdhsa_uses_dynamic_stack 0
		.amdhsa_enable_private_segment 0
		.amdhsa_system_sgpr_workgroup_id_x 1
		.amdhsa_system_sgpr_workgroup_id_y 1
		.amdhsa_system_sgpr_workgroup_id_z 1
		.amdhsa_system_sgpr_workgroup_info 0
		.amdhsa_system_vgpr_workitem_id 1
		.amdhsa_next_free_vgpr 43
		.amdhsa_next_free_sgpr 43
		.amdhsa_named_barrier_count 0
		.amdhsa_reserve_vcc 1
		.amdhsa_float_round_mode_32 0
		.amdhsa_float_round_mode_16_64 0
		.amdhsa_float_denorm_mode_32 3
		.amdhsa_float_denorm_mode_16_64 3
		.amdhsa_fp16_overflow 0
		.amdhsa_memory_ordered 1
		.amdhsa_forward_progress 1
		.amdhsa_inst_pref_size 15
		.amdhsa_round_robin_scheduling 0
		.amdhsa_exception_fp_ieee_invalid_op 0
		.amdhsa_exception_fp_denorm_src 0
		.amdhsa_exception_fp_ieee_div_zero 0
		.amdhsa_exception_fp_ieee_overflow 0
		.amdhsa_exception_fp_ieee_underflow 0
		.amdhsa_exception_fp_ieee_inexact 0
		.amdhsa_exception_int_div_zero 0
	.end_amdhsa_kernel
	.section	.text._ZN12_GLOBAL__N_135rocblas_gemm_batched_general_kernelIDF16_Li16ELi16ELi32ELi32ELi8ELi32ELi8ELi8ELi32ELc84ELc67EKDF16_S1_DF16_EEvlllT_PT11_llS4_llS2_PT12_llPT13_lli,"axG",@progbits,_ZN12_GLOBAL__N_135rocblas_gemm_batched_general_kernelIDF16_Li16ELi16ELi32ELi32ELi8ELi32ELi8ELi8ELi32ELc84ELc67EKDF16_S1_DF16_EEvlllT_PT11_llS4_llS2_PT12_llPT13_lli,comdat
.Lfunc_end361:
	.size	_ZN12_GLOBAL__N_135rocblas_gemm_batched_general_kernelIDF16_Li16ELi16ELi32ELi32ELi8ELi32ELi8ELi8ELi32ELc84ELc67EKDF16_S1_DF16_EEvlllT_PT11_llS4_llS2_PT12_llPT13_lli, .Lfunc_end361-_ZN12_GLOBAL__N_135rocblas_gemm_batched_general_kernelIDF16_Li16ELi16ELi32ELi32ELi8ELi32ELi8ELi8ELi32ELc84ELc67EKDF16_S1_DF16_EEvlllT_PT11_llS4_llS2_PT12_llPT13_lli
                                        ; -- End function
	.set _ZN12_GLOBAL__N_135rocblas_gemm_batched_general_kernelIDF16_Li16ELi16ELi32ELi32ELi8ELi32ELi8ELi8ELi32ELc84ELc67EKDF16_S1_DF16_EEvlllT_PT11_llS4_llS2_PT12_llPT13_lli.num_vgpr, 43
	.set _ZN12_GLOBAL__N_135rocblas_gemm_batched_general_kernelIDF16_Li16ELi16ELi32ELi32ELi8ELi32ELi8ELi8ELi32ELc84ELc67EKDF16_S1_DF16_EEvlllT_PT11_llS4_llS2_PT12_llPT13_lli.num_agpr, 0
	.set _ZN12_GLOBAL__N_135rocblas_gemm_batched_general_kernelIDF16_Li16ELi16ELi32ELi32ELi8ELi32ELi8ELi8ELi32ELc84ELc67EKDF16_S1_DF16_EEvlllT_PT11_llS4_llS2_PT12_llPT13_lli.numbered_sgpr, 43
	.set _ZN12_GLOBAL__N_135rocblas_gemm_batched_general_kernelIDF16_Li16ELi16ELi32ELi32ELi8ELi32ELi8ELi8ELi32ELc84ELc67EKDF16_S1_DF16_EEvlllT_PT11_llS4_llS2_PT12_llPT13_lli.num_named_barrier, 0
	.set _ZN12_GLOBAL__N_135rocblas_gemm_batched_general_kernelIDF16_Li16ELi16ELi32ELi32ELi8ELi32ELi8ELi8ELi32ELc84ELc67EKDF16_S1_DF16_EEvlllT_PT11_llS4_llS2_PT12_llPT13_lli.private_seg_size, 0
	.set _ZN12_GLOBAL__N_135rocblas_gemm_batched_general_kernelIDF16_Li16ELi16ELi32ELi32ELi8ELi32ELi8ELi8ELi32ELc84ELc67EKDF16_S1_DF16_EEvlllT_PT11_llS4_llS2_PT12_llPT13_lli.uses_vcc, 1
	.set _ZN12_GLOBAL__N_135rocblas_gemm_batched_general_kernelIDF16_Li16ELi16ELi32ELi32ELi8ELi32ELi8ELi8ELi32ELc84ELc67EKDF16_S1_DF16_EEvlllT_PT11_llS4_llS2_PT12_llPT13_lli.uses_flat_scratch, 0
	.set _ZN12_GLOBAL__N_135rocblas_gemm_batched_general_kernelIDF16_Li16ELi16ELi32ELi32ELi8ELi32ELi8ELi8ELi32ELc84ELc67EKDF16_S1_DF16_EEvlllT_PT11_llS4_llS2_PT12_llPT13_lli.has_dyn_sized_stack, 0
	.set _ZN12_GLOBAL__N_135rocblas_gemm_batched_general_kernelIDF16_Li16ELi16ELi32ELi32ELi8ELi32ELi8ELi8ELi32ELc84ELc67EKDF16_S1_DF16_EEvlllT_PT11_llS4_llS2_PT12_llPT13_lli.has_recursion, 0
	.set _ZN12_GLOBAL__N_135rocblas_gemm_batched_general_kernelIDF16_Li16ELi16ELi32ELi32ELi8ELi32ELi8ELi8ELi32ELc84ELc67EKDF16_S1_DF16_EEvlllT_PT11_llS4_llS2_PT12_llPT13_lli.has_indirect_call, 0
	.section	.AMDGPU.csdata,"",@progbits
; Kernel info:
; codeLenInByte = 1840
; TotalNumSgprs: 45
; NumVgprs: 43
; ScratchSize: 0
; MemoryBound: 0
; FloatMode: 240
; IeeeMode: 1
; LDSByteSize: 1024 bytes/workgroup (compile time only)
; SGPRBlocks: 0
; VGPRBlocks: 2
; NumSGPRsForWavesPerEU: 45
; NumVGPRsForWavesPerEU: 43
; NamedBarCnt: 0
; Occupancy: 16
; WaveLimiterHint : 0
; COMPUTE_PGM_RSRC2:SCRATCH_EN: 0
; COMPUTE_PGM_RSRC2:USER_SGPR: 2
; COMPUTE_PGM_RSRC2:TRAP_HANDLER: 0
; COMPUTE_PGM_RSRC2:TGID_X_EN: 1
; COMPUTE_PGM_RSRC2:TGID_Y_EN: 1
; COMPUTE_PGM_RSRC2:TGID_Z_EN: 1
; COMPUTE_PGM_RSRC2:TIDIG_COMP_CNT: 1
	.section	.text._ZN12_GLOBAL__N_120gemm_ex_scale_kernelILi32ELi32EfPKDF16_PDF16_EEviiT1_T2_lllT3_llli,"axG",@progbits,_ZN12_GLOBAL__N_120gemm_ex_scale_kernelILi32ELi32EfPKDF16_PDF16_EEviiT1_T2_lllT3_llli,comdat
	.globl	_ZN12_GLOBAL__N_120gemm_ex_scale_kernelILi32ELi32EfPKDF16_PDF16_EEviiT1_T2_lllT3_llli ; -- Begin function _ZN12_GLOBAL__N_120gemm_ex_scale_kernelILi32ELi32EfPKDF16_PDF16_EEviiT1_T2_lllT3_llli
	.p2align	8
	.type	_ZN12_GLOBAL__N_120gemm_ex_scale_kernelILi32ELi32EfPKDF16_PDF16_EEviiT1_T2_lllT3_llli,@function
_ZN12_GLOBAL__N_120gemm_ex_scale_kernelILi32ELi32EfPKDF16_PDF16_EEviiT1_T2_lllT3_llli: ; @_ZN12_GLOBAL__N_120gemm_ex_scale_kernelILi32ELi32EfPKDF16_PDF16_EEviiT1_T2_lllT3_llli
; %bb.0:
	s_load_b32 s3, s[0:1], 0x50
	s_bfe_u32 s2, ttmp6, 0x40014
	s_lshr_b32 s4, ttmp7, 16
	s_add_co_i32 s2, s2, 1
	s_bfe_u32 s6, ttmp6, 0x40008
	s_mul_i32 s5, s4, s2
	s_getreg_b32 s2, hwreg(HW_REG_IB_STS2, 6, 4)
	s_add_co_i32 s6, s6, s5
	s_cmp_eq_u32 s2, 0
	s_mov_b32 s21, 0
	s_cselect_b32 s20, s4, s6
	s_wait_kmcnt 0x0
	s_cmp_ge_u32 s20, s3
	s_cbranch_scc1 .LBB362_8
; %bb.1:
	s_load_b512 s[4:19], s[0:1], 0x10
	s_bfe_u32 s23, ttmp6, 0x40010
	s_bfe_u32 s26, ttmp6, 0x4000c
	s_and_b32 s22, ttmp7, 0xffff
	s_add_co_i32 s23, s23, 1
	s_add_co_i32 s26, s26, 1
	s_bfe_u32 s24, ttmp6, 0x40004
	s_and_b32 s25, ttmp6, 15
	s_mul_i32 s23, s22, s23
	s_mul_i32 s26, ttmp9, s26
	v_bfe_u32 v1, v0, 10, 10
	s_add_co_i32 s24, s24, s23
	s_add_co_i32 s25, s25, s26
	v_mov_b32_e32 v3, 0
	v_and_b32_e32 v0, 0x3ff, v0
	s_wait_kmcnt 0x0
	s_lshl_b64 s[14:15], s[14:15], 1
	s_lshl_b64 s[6:7], s[6:7], 1
	s_cmp_eq_u32 s2, 0
	s_add_nc_u64 s[4:5], s[4:5], s[6:7]
	s_cselect_b32 s2, s22, s24
	s_add_nc_u64 s[6:7], s[12:13], s[14:15]
	v_lshl_add_u32 v2, s2, 5, v1
	s_load_b96 s[0:2], s[0:1], 0x0
	v_mov_b32_e32 v1, v3
	s_delay_alu instid0(VALU_DEP_2) | instskip(SKIP_2) | instid1(SALU_CYCLE_1)
	v_mul_u64_e32 v[4:5], s[8:9], v[2:3]
	v_mul_u64_e32 v[6:7], s[16:17], v[2:3]
	s_cselect_b32 s8, ttmp9, s25
	v_lshl_add_u32 v0, s8, 5, v0
	s_wait_kmcnt 0x0
	s_delay_alu instid0(VALU_DEP_1)
	v_cmp_gt_u32_e32 vcc_lo, s0, v0
	v_cmp_gt_u32_e64 s0, s1, v2
	v_lshlrev_b64_e32 v[2:3], 1, v[0:1]
	s_and_b32 s0, vcc_lo, s0
	s_cmp_neq_f32 s2, 0
	s_cselect_b32 s1, -1, 0
	v_lshl_add_u64 v[0:1], v[4:5], 1, s[4:5]
	v_lshl_add_u64 v[4:5], v[6:7], 1, s[6:7]
	s_delay_alu instid0(VALU_DEP_2) | instskip(NEXT) | instid1(VALU_DEP_2)
	v_add_nc_u64_e32 v[0:1], v[0:1], v[2:3]
	v_add_nc_u64_e32 v[2:3], v[4:5], v[2:3]
	s_branch .LBB362_5
.LBB362_2:                              ;   in Loop: Header=BB362_5 Depth=1
	s_mul_u64 s[6:7], s[10:11], s[20:21]
	s_delay_alu instid0(SALU_CYCLE_1)
	v_lshl_add_u64 v[4:5], s[6:7], 1, v[0:1]
	global_load_u16 v4, v[4:5], off
	s_wait_loadcnt 0x0
	s_wait_xcnt 0x0
	v_fma_mixlo_f16 v4, s2, v4, 0 op_sel_hi:[0,1,0]
.LBB362_3:                              ;   in Loop: Header=BB362_5 Depth=1
	s_mul_u64 s[6:7], s[18:19], s[20:21]
	s_delay_alu instid0(SALU_CYCLE_1)
	v_lshl_add_u64 v[6:7], s[6:7], 1, v[2:3]
	global_store_b16 v[6:7], v4, off
.LBB362_4:                              ;   in Loop: Header=BB362_5 Depth=1
	s_wait_xcnt 0x0
	s_or_b32 exec_lo, exec_lo, s4
	s_add_co_i32 s20, s20, 0x10000
	s_delay_alu instid0(SALU_CYCLE_1)
	s_cmp_lt_u32 s20, s3
	s_cbranch_scc0 .LBB362_8
.LBB362_5:                              ; =>This Inner Loop Header: Depth=1
	s_and_saveexec_b32 s4, s0
	s_cbranch_execz .LBB362_4
; %bb.6:                                ;   in Loop: Header=BB362_5 Depth=1
	s_and_not1_b32 vcc_lo, exec_lo, s1
	s_cbranch_vccz .LBB362_2
; %bb.7:                                ;   in Loop: Header=BB362_5 Depth=1
	v_mov_b32_e32 v4, 0
	s_branch .LBB362_3
.LBB362_8:
	s_endpgm
	.section	.rodata,"a",@progbits
	.p2align	6, 0x0
	.amdhsa_kernel _ZN12_GLOBAL__N_120gemm_ex_scale_kernelILi32ELi32EfPKDF16_PDF16_EEviiT1_T2_lllT3_llli
		.amdhsa_group_segment_fixed_size 0
		.amdhsa_private_segment_fixed_size 0
		.amdhsa_kernarg_size 84
		.amdhsa_user_sgpr_count 2
		.amdhsa_user_sgpr_dispatch_ptr 0
		.amdhsa_user_sgpr_queue_ptr 0
		.amdhsa_user_sgpr_kernarg_segment_ptr 1
		.amdhsa_user_sgpr_dispatch_id 0
		.amdhsa_user_sgpr_kernarg_preload_length 0
		.amdhsa_user_sgpr_kernarg_preload_offset 0
		.amdhsa_user_sgpr_private_segment_size 0
		.amdhsa_wavefront_size32 1
		.amdhsa_uses_dynamic_stack 0
		.amdhsa_enable_private_segment 0
		.amdhsa_system_sgpr_workgroup_id_x 1
		.amdhsa_system_sgpr_workgroup_id_y 1
		.amdhsa_system_sgpr_workgroup_id_z 1
		.amdhsa_system_sgpr_workgroup_info 0
		.amdhsa_system_vgpr_workitem_id 1
		.amdhsa_next_free_vgpr 8
		.amdhsa_next_free_sgpr 27
		.amdhsa_named_barrier_count 0
		.amdhsa_reserve_vcc 1
		.amdhsa_float_round_mode_32 0
		.amdhsa_float_round_mode_16_64 0
		.amdhsa_float_denorm_mode_32 3
		.amdhsa_float_denorm_mode_16_64 3
		.amdhsa_fp16_overflow 0
		.amdhsa_memory_ordered 1
		.amdhsa_forward_progress 1
		.amdhsa_inst_pref_size 4
		.amdhsa_round_robin_scheduling 0
		.amdhsa_exception_fp_ieee_invalid_op 0
		.amdhsa_exception_fp_denorm_src 0
		.amdhsa_exception_fp_ieee_div_zero 0
		.amdhsa_exception_fp_ieee_overflow 0
		.amdhsa_exception_fp_ieee_underflow 0
		.amdhsa_exception_fp_ieee_inexact 0
		.amdhsa_exception_int_div_zero 0
	.end_amdhsa_kernel
	.section	.text._ZN12_GLOBAL__N_120gemm_ex_scale_kernelILi32ELi32EfPKDF16_PDF16_EEviiT1_T2_lllT3_llli,"axG",@progbits,_ZN12_GLOBAL__N_120gemm_ex_scale_kernelILi32ELi32EfPKDF16_PDF16_EEviiT1_T2_lllT3_llli,comdat
.Lfunc_end362:
	.size	_ZN12_GLOBAL__N_120gemm_ex_scale_kernelILi32ELi32EfPKDF16_PDF16_EEviiT1_T2_lllT3_llli, .Lfunc_end362-_ZN12_GLOBAL__N_120gemm_ex_scale_kernelILi32ELi32EfPKDF16_PDF16_EEviiT1_T2_lllT3_llli
                                        ; -- End function
	.set _ZN12_GLOBAL__N_120gemm_ex_scale_kernelILi32ELi32EfPKDF16_PDF16_EEviiT1_T2_lllT3_llli.num_vgpr, 8
	.set _ZN12_GLOBAL__N_120gemm_ex_scale_kernelILi32ELi32EfPKDF16_PDF16_EEviiT1_T2_lllT3_llli.num_agpr, 0
	.set _ZN12_GLOBAL__N_120gemm_ex_scale_kernelILi32ELi32EfPKDF16_PDF16_EEviiT1_T2_lllT3_llli.numbered_sgpr, 27
	.set _ZN12_GLOBAL__N_120gemm_ex_scale_kernelILi32ELi32EfPKDF16_PDF16_EEviiT1_T2_lllT3_llli.num_named_barrier, 0
	.set _ZN12_GLOBAL__N_120gemm_ex_scale_kernelILi32ELi32EfPKDF16_PDF16_EEviiT1_T2_lllT3_llli.private_seg_size, 0
	.set _ZN12_GLOBAL__N_120gemm_ex_scale_kernelILi32ELi32EfPKDF16_PDF16_EEviiT1_T2_lllT3_llli.uses_vcc, 1
	.set _ZN12_GLOBAL__N_120gemm_ex_scale_kernelILi32ELi32EfPKDF16_PDF16_EEviiT1_T2_lllT3_llli.uses_flat_scratch, 0
	.set _ZN12_GLOBAL__N_120gemm_ex_scale_kernelILi32ELi32EfPKDF16_PDF16_EEviiT1_T2_lllT3_llli.has_dyn_sized_stack, 0
	.set _ZN12_GLOBAL__N_120gemm_ex_scale_kernelILi32ELi32EfPKDF16_PDF16_EEviiT1_T2_lllT3_llli.has_recursion, 0
	.set _ZN12_GLOBAL__N_120gemm_ex_scale_kernelILi32ELi32EfPKDF16_PDF16_EEviiT1_T2_lllT3_llli.has_indirect_call, 0
	.section	.AMDGPU.csdata,"",@progbits
; Kernel info:
; codeLenInByte = 424
; TotalNumSgprs: 29
; NumVgprs: 8
; ScratchSize: 0
; MemoryBound: 0
; FloatMode: 240
; IeeeMode: 1
; LDSByteSize: 0 bytes/workgroup (compile time only)
; SGPRBlocks: 0
; VGPRBlocks: 0
; NumSGPRsForWavesPerEU: 29
; NumVGPRsForWavesPerEU: 8
; NamedBarCnt: 0
; Occupancy: 16
; WaveLimiterHint : 0
; COMPUTE_PGM_RSRC2:SCRATCH_EN: 0
; COMPUTE_PGM_RSRC2:USER_SGPR: 2
; COMPUTE_PGM_RSRC2:TRAP_HANDLER: 0
; COMPUTE_PGM_RSRC2:TGID_X_EN: 1
; COMPUTE_PGM_RSRC2:TGID_Y_EN: 1
; COMPUTE_PGM_RSRC2:TGID_Z_EN: 1
; COMPUTE_PGM_RSRC2:TIDIG_COMP_CNT: 1
	.section	.text._ZN12_GLOBAL__N_127rocblas_gemm_batched_kernelIfLi16ELi16ELi64ELi64ELi4ELi64ELi4ELi4ELi64ELc78ELc78EKDF16_S1_DF16_EEvlllT_PT11_llS4_llS2_PT12_llPT13_lli,"axG",@progbits,_ZN12_GLOBAL__N_127rocblas_gemm_batched_kernelIfLi16ELi16ELi64ELi64ELi4ELi64ELi4ELi4ELi64ELc78ELc78EKDF16_S1_DF16_EEvlllT_PT11_llS4_llS2_PT12_llPT13_lli,comdat
	.globl	_ZN12_GLOBAL__N_127rocblas_gemm_batched_kernelIfLi16ELi16ELi64ELi64ELi4ELi64ELi4ELi4ELi64ELc78ELc78EKDF16_S1_DF16_EEvlllT_PT11_llS4_llS2_PT12_llPT13_lli ; -- Begin function _ZN12_GLOBAL__N_127rocblas_gemm_batched_kernelIfLi16ELi16ELi64ELi64ELi4ELi64ELi4ELi4ELi64ELc78ELc78EKDF16_S1_DF16_EEvlllT_PT11_llS4_llS2_PT12_llPT13_lli
	.p2align	8
	.type	_ZN12_GLOBAL__N_127rocblas_gemm_batched_kernelIfLi16ELi16ELi64ELi64ELi4ELi64ELi4ELi4ELi64ELc78ELc78EKDF16_S1_DF16_EEvlllT_PT11_llS4_llS2_PT12_llPT13_lli,@function
_ZN12_GLOBAL__N_127rocblas_gemm_batched_kernelIfLi16ELi16ELi64ELi64ELi4ELi64ELi4ELi4ELi64ELc78ELc78EKDF16_S1_DF16_EEvlllT_PT11_llS4_llS2_PT12_llPT13_lli: ; @_ZN12_GLOBAL__N_127rocblas_gemm_batched_kernelIfLi16ELi16ELi64ELi64ELi4ELi64ELi4ELi4ELi64ELc78ELc78EKDF16_S1_DF16_EEvlllT_PT11_llS4_llS2_PT12_llPT13_lli
; %bb.0:
	s_load_b32 s31, s[0:1], 0x88
	s_bfe_u32 s2, ttmp6, 0x40014
	s_lshr_b32 s3, ttmp7, 16
	s_add_co_i32 s2, s2, 1
	s_bfe_u32 s4, ttmp6, 0x40008
	s_mul_i32 s2, s3, s2
	s_getreg_b32 s20, hwreg(HW_REG_IB_STS2, 6, 4)
	s_add_co_i32 s4, s4, s2
	s_cmp_eq_u32 s20, 0
	s_cselect_b32 s2, s3, s4
	s_mov_b32 s3, 0
	s_wait_kmcnt 0x0
	s_cmp_ge_i32 s2, s31
	s_cbranch_scc1 .LBB363_10
; %bb.1:
	v_bfe_u32 v2, v0, 10, 10
	v_and_b32_e32 v4, 0x3ff, v0
	s_bfe_u32 s22, ttmp6, 0x4000c
	s_bfe_u32 s28, ttmp6, 0x40010
	s_clause 0x2
	s_load_b256 s[12:19], s[0:1], 0x20
	s_load_b128 s[24:27], s[0:1], 0x40
	s_load_b256 s[4:11], s[0:1], 0x58
	v_dual_mov_b32 v3, 0 :: v_dual_lshlrev_b32 v16, 4, v2
	s_and_b32 s23, ttmp7, 0xffff
	s_add_co_i32 s22, s22, 1
	s_add_co_i32 s28, s28, 1
	s_delay_alu instid0(VALU_DEP_1)
	v_dual_add_nc_u32 v17, v16, v4 :: v_dual_mov_b32 v7, v3
	s_and_b32 s21, ttmp6, 15
	s_mul_i32 s22, ttmp9, s22
	s_mul_i32 s28, s23, s28
	s_bfe_u32 s29, ttmp6, 0x40004
	s_add_co_i32 s21, s21, s22
	s_add_co_i32 s29, s29, s28
	s_cmp_eq_u32 s20, 0
	v_dual_lshrrev_b32 v6, 2, v17 :: v_dual_lshrrev_b32 v18, 6, v17
	s_cselect_b32 s20, s23, s29
	s_cselect_b32 s28, ttmp9, s21
	s_lshl_b32 s34, s20, 6
	s_mov_b32 s35, s3
	s_load_b128 s[20:23], s[0:1], 0x78
	v_add_nc_u64_e32 v[8:9], s[34:35], v[6:7]
	v_add_nc_u64_e32 v[10:11], s[34:35], v[2:3]
	s_ashr_i32 s29, s28, 31
	s_load_b32 s33, s[0:1], 0x50
	v_dual_mov_b32 v5, v3 :: v_dual_bitop2_b32 v2, 3, v0 bitop3:0x40
	v_add_nc_u32_e32 v31, 0x400, v16
	s_wait_kmcnt 0x0
	v_mul_u64_e32 v[8:9], s[24:25], v[8:9]
	s_lshl_b64 s[24:25], s[28:29], 6
	v_mul_u64_e32 v[12:13], s[6:7], v[10:11]
	s_load_b96 s[28:30], s[0:1], 0x10
	v_mad_nc_u64_u32 v[14:15], s14, v18, s[24:25]
	v_dual_lshlrev_b32 v7, 2, v2 :: v_dual_lshlrev_b32 v2, 1, v2
	v_lshlrev_b32_e32 v30, 2, v4
	s_delay_alu instid0(VALU_DEP_2)
	v_lshl_or_b32 v20, v6, 4, v7
	v_mul_u64_e32 v[0:1], s[20:21], v[10:11]
	v_dual_mov_b32 v11, v3 :: v_dual_bitop2_b32 v10, 63, v17 bitop3:0x40
	v_mad_u32 v15, s15, v18, v15
	v_add_nc_u64_e32 v[16:17], s[24:25], v[4:5]
	s_cmp_eq_f32 s33, 0
	v_add_nc_u32_e32 v33, 0x400, v20
	v_lshlrev_b32_e32 v19, 2, v10
	s_wait_xcnt 0x0
	s_cselect_b32 s1, -1, 0
	s_lshl_b64 s[20:21], s[20:21], 4
	s_wait_kmcnt 0x0
	v_cmp_gt_i64_e64 s0, s[28:29], 0
	v_lshl_or_b32 v32, v18, 8, v19
	s_lshl_b64 s[24:25], s[6:7], 4
	v_add_nc_u64_e32 v[4:5], v[14:15], v[10:11]
	s_lshl_b64 s[6:7], s[26:27], 1
	v_cndmask_b32_e64 v21, 0, 1, s0
	v_lshl_add_u64 v[6:7], v[8:9], 1, v[2:3]
	v_lshlrev_b64_e32 v[8:9], 1, v[16:17]
	s_delay_alu instid0(VALU_DEP_4)
	v_lshl_add_u64 v[2:3], v[4:5], 1, s[12:13]
	v_lshl_add_u64 v[4:5], v[12:13], 1, s[4:5]
	v_cmp_ne_u32_e64 s0, 1, v21
	v_add_nc_u64_e32 v[6:7], s[18:19], v[6:7]
	s_lshl_b64 s[4:5], s[16:17], 1
	s_lshl_b64 s[12:13], s[14:15], 3
	;; [unrolled: 1-line block ×4, first 2 shown]
	s_branch .LBB363_3
.LBB363_2:                              ;   in Loop: Header=BB363_3 Depth=1
	s_add_co_i32 s2, s2, 0x10000
	s_delay_alu instid0(SALU_CYCLE_1)
	s_cmp_lt_i32 s2, s31
	s_cbranch_scc0 .LBB363_10
.LBB363_3:                              ; =>This Loop Header: Depth=1
                                        ;     Child Loop BB363_5 Depth 2
	v_dual_mov_b32 v25, 0 :: v_dual_mov_b32 v24, 0
	v_dual_mov_b32 v23, 0 :: v_dual_mov_b32 v22, 0
	;; [unrolled: 1-line block ×4, first 2 shown]
	s_wait_xcnt 0x1
	v_dual_mov_b32 v17, 0 :: v_dual_mov_b32 v16, 0
	s_wait_xcnt 0x0
	v_dual_mov_b32 v15, 0 :: v_dual_mov_b32 v14, 0
	v_dual_mov_b32 v13, 0 :: v_dual_mov_b32 v12, 0
	;; [unrolled: 1-line block ×3, first 2 shown]
	s_and_b32 vcc_lo, exec_lo, s0
	s_cbranch_vccnz .LBB363_6
; %bb.4:                                ;   in Loop: Header=BB363_3 Depth=1
	v_mad_nc_u64_u32 v[26:27], s6, s2, v[6:7]
	v_mad_nc_u64_u32 v[28:29], s4, s2, v[2:3]
	v_mov_b32_e32 v10, 0
	s_mov_b64 s[18:19], 0
	s_delay_alu instid0(VALU_DEP_1)
	v_dual_mov_b32 v11, v10 :: v_dual_mov_b32 v12, v10
	v_dual_mov_b32 v13, v10 :: v_dual_mov_b32 v14, v10
	v_mad_u32 v27, s7, s2, v27
	v_mad_u32 v29, s5, s2, v29
	v_dual_mov_b32 v15, v10 :: v_dual_mov_b32 v16, v10
	v_dual_mov_b32 v17, v10 :: v_dual_mov_b32 v18, v10
	;; [unrolled: 1-line block ×5, first 2 shown]
	v_mov_b32_e32 v25, v10
.LBB363_5:                              ;   Parent Loop BB363_3 Depth=1
                                        ; =>  This Inner Loop Header: Depth=2
	global_load_u16 v34, v[28:29], off
	global_load_u16 v35, v[26:27], off
	s_add_nc_u64 s[18:19], s[18:19], 4
	s_wait_xcnt 0x0
	v_add_nc_u64_e32 v[26:27], 8, v[26:27]
	v_cmp_lt_i64_e64 s20, s[18:19], s[28:29]
	v_add_nc_u64_e32 v[28:29], s[12:13], v[28:29]
	s_and_b32 vcc_lo, exec_lo, s20
	s_wait_loadcnt 0x1
	v_cvt_f32_f16_e32 v34, v34
	s_wait_loadcnt 0x0
	v_cvt_f32_f16_e32 v35, v35
	ds_store_b32 v32, v34
	ds_store_b32 v33, v35
	s_wait_dscnt 0x0
	s_barrier_signal -1
	s_barrier_wait -1
	ds_load_2addr_b32 v[50:51], v30 offset1:16
	ds_load_2addr_b32 v[52:53], v30 offset0:64 offset1:80
	ds_load_2addr_b32 v[54:55], v30 offset0:128 offset1:144
	;; [unrolled: 1-line block ×6, first 2 shown]
	ds_load_b128 v[34:37], v31
	ds_load_b128 v[38:41], v31 offset:256
	ds_load_2addr_b32 v[64:65], v30 offset0:224 offset1:240
	ds_load_b128 v[42:45], v31 offset:512
	ds_load_b128 v[46:49], v31 offset:768
	s_wait_dscnt 0x0
	s_barrier_signal -1
	s_barrier_wait -1
	v_dual_mov_b32 v66, v51 :: v_dual_mov_b32 v67, v50
	v_dual_mov_b32 v50, v53 :: v_dual_mov_b32 v51, v52
	v_dual_mov_b32 v52, v55 :: v_dual_mov_b32 v53, v54
	v_dual_mov_b32 v54, v57 :: v_dual_mov_b32 v55, v56
	v_dual_mov_b32 v56, v59 :: v_dual_mov_b32 v57, v58
	v_dual_mov_b32 v58, v61 :: v_dual_mov_b32 v59, v60
	v_pk_fma_f32 v[24:25], v[66:67], v[34:35], v[24:25] op_sel_hi:[1,0,1]
	v_pk_fma_f32 v[20:21], v[66:67], v[38:39], v[20:21] op_sel_hi:[1,0,1]
	s_delay_alu instid0(VALU_DEP_4)
	v_pk_fma_f32 v[22:23], v[56:57], v[34:35], v[22:23] op_sel_hi:[1,0,1]
	v_pk_fma_f32 v[16:17], v[66:67], v[42:43], v[16:17] op_sel_hi:[1,0,1]
	;; [unrolled: 1-line block ×6, first 2 shown]
	v_dual_mov_b32 v60, v63 :: v_dual_mov_b32 v61, v62
	v_pk_fma_f32 v[24:25], v[50:51], v[34:35], v[24:25] op_sel:[0,1,0]
	v_pk_fma_f32 v[22:23], v[58:59], v[34:35], v[22:23] op_sel:[0,1,0]
	;; [unrolled: 1-line block ×8, first 2 shown]
	v_dual_mov_b32 v62, v37 :: v_dual_mov_b32 v68, v65
	v_dual_mov_b32 v69, v64 :: v_dual_mov_b32 v64, v41
	;; [unrolled: 1-line block ×3, first 2 shown]
	v_pk_fma_f32 v[24:25], v[52:53], v[36:37], v[24:25] op_sel_hi:[1,0,1]
	v_pk_fma_f32 v[22:23], v[60:61], v[36:37], v[22:23] op_sel_hi:[1,0,1]
	;; [unrolled: 1-line block ×16, first 2 shown]
	s_cbranch_vccnz .LBB363_5
.LBB363_6:                              ;   in Loop: Header=BB363_3 Depth=1
	s_mul_u64 s[18:19], s[22:23], s[2:3]
	s_and_not1_b32 vcc_lo, exec_lo, s1
	s_lshl_b64 s[18:19], s[18:19], 1
	s_delay_alu instid0(SALU_CYCLE_1) | instskip(NEXT) | instid1(SALU_CYCLE_1)
	s_add_nc_u64 s[18:19], s[10:11], s[18:19]
	v_lshl_add_u64 v[26:27], v[0:1], 1, s[18:19]
	s_delay_alu instid0(VALU_DEP_1)
	v_add_nc_u64_e32 v[28:29], v[26:27], v[8:9]
	v_add_nc_u64_e32 v[26:27], s[14:15], v[26:27]
	s_cbranch_vccnz .LBB363_8
; %bb.7:                                ;   in Loop: Header=BB363_3 Depth=1
	v_fma_mixlo_f16 v36, s30, v25, 0
	v_fma_mixlo_f16 v37, s30, v24, 0
	s_delay_alu instid0(VALU_DEP_3)
	v_add_nc_u64_e32 v[34:35], s[14:15], v[26:27]
	v_fma_mixlo_f16 v38, s30, v23, 0
	v_fma_mixlo_f16 v39, s30, v22, 0
	s_clause 0x3
	global_store_b16 v[28:29], v36, off
	global_store_b16 v[28:29], v37, off offset:32
	global_store_b16 v[28:29], v38, off offset:64
	;; [unrolled: 1-line block ×3, first 2 shown]
	s_wait_xcnt 0x2
	v_add_nc_u64_e32 v[36:37], v[26:27], v[8:9]
	v_fma_mixlo_f16 v40, s30, v21, 0
	v_fma_mixlo_f16 v41, s30, v20, 0
	s_wait_xcnt 0x0
	v_add_nc_u64_e32 v[38:39], v[34:35], v[8:9]
	v_add_nc_u64_e32 v[34:35], s[14:15], v[34:35]
	v_fma_mixlo_f16 v42, s30, v19, 0
	v_fma_mixlo_f16 v43, s30, v18, 0
	s_clause 0x3
	global_store_b16 v[36:37], v40, off
	global_store_b16 v[36:37], v41, off offset:32
	global_store_b16 v[36:37], v42, off offset:64
	;; [unrolled: 1-line block ×3, first 2 shown]
	s_wait_xcnt 0x0
	v_fma_mixlo_f16 v36, s30, v17, 0
	v_fma_mixlo_f16 v37, s30, v16, 0
	;; [unrolled: 1-line block ×4, first 2 shown]
	v_add_nc_u64_e32 v[34:35], v[34:35], v[8:9]
	s_clause 0x3
	global_store_b16 v[38:39], v36, off
	global_store_b16 v[38:39], v37, off offset:32
	global_store_b16 v[38:39], v40, off offset:64
	;; [unrolled: 1-line block ×3, first 2 shown]
	s_wait_xcnt 0x3
	v_fma_mixlo_f16 v36, s30, v13, 0
	s_wait_xcnt 0x2
	v_fma_mixlo_f16 v37, s30, v12, 0
	;; [unrolled: 2-line block ×3, first 2 shown]
	v_fma_mixlo_f16 v39, s30, v10, 0
	s_clause 0x3
	global_store_b16 v[34:35], v36, off
	global_store_b16 v[34:35], v37, off offset:32
	global_store_b16 v[34:35], v38, off offset:64
	;; [unrolled: 1-line block ×3, first 2 shown]
	s_cbranch_execnz .LBB363_2
	s_branch .LBB363_9
.LBB363_8:                              ;   in Loop: Header=BB363_3 Depth=1
.LBB363_9:                              ;   in Loop: Header=BB363_3 Depth=1
	s_mul_u64 s[18:19], s[8:9], s[2:3]
	s_wait_xcnt 0x0
	v_lshl_add_u64 v[34:35], s[18:19], 1, v[4:5]
	s_delay_alu instid0(VALU_DEP_1) | instskip(SKIP_3) | instid1(VALU_DEP_1)
	v_add_nc_u64_e32 v[36:37], v[34:35], v[8:9]
	global_load_u16 v38, v[36:37], off
	s_wait_loadcnt 0x0
	v_cvt_f32_f16_e32 v38, v38
	v_mul_f32_e32 v38, s33, v38
	s_delay_alu instid0(VALU_DEP_1) | instskip(SKIP_4) | instid1(VALU_DEP_1)
	v_fma_mixlo_f16 v25, s30, v25, v38
	global_store_b16 v[28:29], v25, off
	global_load_u16 v25, v[36:37], off offset:32
	s_wait_loadcnt 0x0
	v_cvt_f32_f16_e32 v25, v25
	v_mul_f32_e32 v25, s33, v25
	s_delay_alu instid0(VALU_DEP_1) | instskip(SKIP_4) | instid1(VALU_DEP_1)
	v_fma_mixlo_f16 v24, s30, v24, v25
	global_store_b16 v[28:29], v24, off offset:32
	global_load_u16 v24, v[36:37], off offset:64
	s_wait_loadcnt 0x0
	v_cvt_f32_f16_e32 v24, v24
	v_mul_f32_e32 v24, s33, v24
	s_delay_alu instid0(VALU_DEP_1)
	v_fma_mixlo_f16 v23, s30, v23, v24
	v_add_nc_u64_e32 v[24:25], s[16:17], v[34:35]
	global_store_b16 v[28:29], v23, off offset:64
	global_load_u16 v23, v[36:37], off offset:96
	v_add_nc_u64_e32 v[34:35], v[24:25], v[8:9]
	s_wait_loadcnt 0x0
	v_cvt_f32_f16_e32 v23, v23
	s_delay_alu instid0(VALU_DEP_1) | instskip(NEXT) | instid1(VALU_DEP_1)
	v_mul_f32_e32 v23, s33, v23
	v_fma_mixlo_f16 v22, s30, v22, v23
	global_store_b16 v[28:29], v22, off offset:96
	global_load_u16 v22, v[34:35], off
	s_wait_loadcnt 0x0
	v_cvt_f32_f16_e32 v22, v22
	s_delay_alu instid0(VALU_DEP_1) | instskip(SKIP_1) | instid1(VALU_DEP_2)
	v_mul_f32_e32 v28, s33, v22
	v_add_nc_u64_e32 v[22:23], v[26:27], v[8:9]
	v_fma_mixlo_f16 v21, s30, v21, v28
	global_store_b16 v[22:23], v21, off
	global_load_u16 v21, v[34:35], off offset:32
	s_wait_loadcnt 0x0
	v_cvt_f32_f16_e32 v21, v21
	s_delay_alu instid0(VALU_DEP_1) | instskip(NEXT) | instid1(VALU_DEP_1)
	v_mul_f32_e32 v21, s33, v21
	v_fma_mixlo_f16 v20, s30, v20, v21
	global_store_b16 v[22:23], v20, off offset:32
	global_load_u16 v20, v[34:35], off offset:64
	s_wait_loadcnt 0x0
	v_cvt_f32_f16_e32 v20, v20
	s_delay_alu instid0(VALU_DEP_1) | instskip(NEXT) | instid1(VALU_DEP_1)
	v_mul_f32_e32 v20, s33, v20
	v_fma_mixlo_f16 v19, s30, v19, v20
	v_add_nc_u64_e32 v[20:21], s[16:17], v[24:25]
	global_store_b16 v[22:23], v19, off offset:64
	global_load_u16 v19, v[34:35], off offset:96
	v_add_nc_u64_e32 v[24:25], v[20:21], v[8:9]
	s_wait_loadcnt 0x0
	v_cvt_f32_f16_e32 v19, v19
	s_delay_alu instid0(VALU_DEP_1) | instskip(NEXT) | instid1(VALU_DEP_1)
	v_mul_f32_e32 v19, s33, v19
	v_fma_mixlo_f16 v18, s30, v18, v19
	global_store_b16 v[22:23], v18, off offset:96
	global_load_u16 v18, v[24:25], off
	s_wait_loadcnt 0x0
	v_cvt_f32_f16_e32 v22, v18
	v_add_nc_u64_e32 v[18:19], s[14:15], v[26:27]
	s_delay_alu instid0(VALU_DEP_2) | instskip(NEXT) | instid1(VALU_DEP_2)
	v_mul_f32_e32 v26, s33, v22
	v_add_nc_u64_e32 v[22:23], v[18:19], v[8:9]
	s_delay_alu instid0(VALU_DEP_2) | instskip(SKIP_4) | instid1(VALU_DEP_1)
	v_fma_mixlo_f16 v17, s30, v17, v26
	global_store_b16 v[22:23], v17, off
	global_load_u16 v17, v[24:25], off offset:32
	s_wait_loadcnt 0x0
	v_cvt_f32_f16_e32 v17, v17
	v_mul_f32_e32 v17, s33, v17
	s_delay_alu instid0(VALU_DEP_1) | instskip(SKIP_4) | instid1(VALU_DEP_1)
	v_fma_mixlo_f16 v16, s30, v16, v17
	global_store_b16 v[22:23], v16, off offset:32
	global_load_u16 v16, v[24:25], off offset:64
	s_wait_loadcnt 0x0
	v_cvt_f32_f16_e32 v16, v16
	v_mul_f32_e32 v16, s33, v16
	s_delay_alu instid0(VALU_DEP_1)
	v_fma_mixlo_f16 v15, s30, v15, v16
	v_add_nc_u64_e32 v[16:17], s[16:17], v[20:21]
	global_store_b16 v[22:23], v15, off offset:64
	global_load_u16 v15, v[24:25], off offset:96
	v_add_nc_u64_e32 v[16:17], v[16:17], v[8:9]
	s_wait_loadcnt 0x0
	v_cvt_f32_f16_e32 v15, v15
	s_delay_alu instid0(VALU_DEP_1) | instskip(NEXT) | instid1(VALU_DEP_1)
	v_mul_f32_e32 v15, s33, v15
	v_fma_mixlo_f16 v14, s30, v14, v15
	global_store_b16 v[22:23], v14, off offset:96
	global_load_u16 v14, v[16:17], off
	s_wait_loadcnt 0x0
	v_cvt_f32_f16_e32 v20, v14
	v_add_nc_u64_e32 v[14:15], s[14:15], v[18:19]
	s_delay_alu instid0(VALU_DEP_2) | instskip(NEXT) | instid1(VALU_DEP_2)
	v_mul_f32_e32 v18, s33, v20
	v_add_nc_u64_e32 v[14:15], v[14:15], v[8:9]
	s_delay_alu instid0(VALU_DEP_2) | instskip(SKIP_4) | instid1(VALU_DEP_1)
	v_fma_mixlo_f16 v13, s30, v13, v18
	global_store_b16 v[14:15], v13, off
	global_load_u16 v13, v[16:17], off offset:32
	s_wait_loadcnt 0x0
	v_cvt_f32_f16_e32 v13, v13
	v_mul_f32_e32 v13, s33, v13
	s_delay_alu instid0(VALU_DEP_1) | instskip(SKIP_4) | instid1(VALU_DEP_1)
	v_fma_mixlo_f16 v12, s30, v12, v13
	global_store_b16 v[14:15], v12, off offset:32
	global_load_u16 v12, v[16:17], off offset:64
	s_wait_loadcnt 0x0
	v_cvt_f32_f16_e32 v12, v12
	v_mul_f32_e32 v12, s33, v12
	s_delay_alu instid0(VALU_DEP_1) | instskip(SKIP_4) | instid1(VALU_DEP_1)
	v_fma_mixlo_f16 v11, s30, v11, v12
	global_store_b16 v[14:15], v11, off offset:64
	global_load_u16 v11, v[16:17], off offset:96
	s_wait_loadcnt 0x0
	v_cvt_f32_f16_e32 v11, v11
	v_mul_f32_e32 v11, s33, v11
	s_delay_alu instid0(VALU_DEP_1)
	v_fma_mixlo_f16 v10, s30, v10, v11
	global_store_b16 v[14:15], v10, off offset:96
	s_branch .LBB363_2
.LBB363_10:
	s_sendmsg sendmsg(MSG_DEALLOC_VGPRS)
	s_endpgm
	.section	.rodata,"a",@progbits
	.p2align	6, 0x0
	.amdhsa_kernel _ZN12_GLOBAL__N_127rocblas_gemm_batched_kernelIfLi16ELi16ELi64ELi64ELi4ELi64ELi4ELi4ELi64ELc78ELc78EKDF16_S1_DF16_EEvlllT_PT11_llS4_llS2_PT12_llPT13_lli
		.amdhsa_group_segment_fixed_size 2048
		.amdhsa_private_segment_fixed_size 0
		.amdhsa_kernarg_size 140
		.amdhsa_user_sgpr_count 2
		.amdhsa_user_sgpr_dispatch_ptr 0
		.amdhsa_user_sgpr_queue_ptr 0
		.amdhsa_user_sgpr_kernarg_segment_ptr 1
		.amdhsa_user_sgpr_dispatch_id 0
		.amdhsa_user_sgpr_kernarg_preload_length 0
		.amdhsa_user_sgpr_kernarg_preload_offset 0
		.amdhsa_user_sgpr_private_segment_size 0
		.amdhsa_wavefront_size32 1
		.amdhsa_uses_dynamic_stack 0
		.amdhsa_enable_private_segment 0
		.amdhsa_system_sgpr_workgroup_id_x 1
		.amdhsa_system_sgpr_workgroup_id_y 1
		.amdhsa_system_sgpr_workgroup_id_z 1
		.amdhsa_system_sgpr_workgroup_info 0
		.amdhsa_system_vgpr_workitem_id 1
		.amdhsa_next_free_vgpr 74
		.amdhsa_next_free_sgpr 36
		.amdhsa_named_barrier_count 0
		.amdhsa_reserve_vcc 1
		.amdhsa_float_round_mode_32 0
		.amdhsa_float_round_mode_16_64 0
		.amdhsa_float_denorm_mode_32 3
		.amdhsa_float_denorm_mode_16_64 3
		.amdhsa_fp16_overflow 0
		.amdhsa_memory_ordered 1
		.amdhsa_forward_progress 1
		.amdhsa_inst_pref_size 20
		.amdhsa_round_robin_scheduling 0
		.amdhsa_exception_fp_ieee_invalid_op 0
		.amdhsa_exception_fp_denorm_src 0
		.amdhsa_exception_fp_ieee_div_zero 0
		.amdhsa_exception_fp_ieee_overflow 0
		.amdhsa_exception_fp_ieee_underflow 0
		.amdhsa_exception_fp_ieee_inexact 0
		.amdhsa_exception_int_div_zero 0
	.end_amdhsa_kernel
	.section	.text._ZN12_GLOBAL__N_127rocblas_gemm_batched_kernelIfLi16ELi16ELi64ELi64ELi4ELi64ELi4ELi4ELi64ELc78ELc78EKDF16_S1_DF16_EEvlllT_PT11_llS4_llS2_PT12_llPT13_lli,"axG",@progbits,_ZN12_GLOBAL__N_127rocblas_gemm_batched_kernelIfLi16ELi16ELi64ELi64ELi4ELi64ELi4ELi4ELi64ELc78ELc78EKDF16_S1_DF16_EEvlllT_PT11_llS4_llS2_PT12_llPT13_lli,comdat
.Lfunc_end363:
	.size	_ZN12_GLOBAL__N_127rocblas_gemm_batched_kernelIfLi16ELi16ELi64ELi64ELi4ELi64ELi4ELi4ELi64ELc78ELc78EKDF16_S1_DF16_EEvlllT_PT11_llS4_llS2_PT12_llPT13_lli, .Lfunc_end363-_ZN12_GLOBAL__N_127rocblas_gemm_batched_kernelIfLi16ELi16ELi64ELi64ELi4ELi64ELi4ELi4ELi64ELc78ELc78EKDF16_S1_DF16_EEvlllT_PT11_llS4_llS2_PT12_llPT13_lli
                                        ; -- End function
	.set _ZN12_GLOBAL__N_127rocblas_gemm_batched_kernelIfLi16ELi16ELi64ELi64ELi4ELi64ELi4ELi4ELi64ELc78ELc78EKDF16_S1_DF16_EEvlllT_PT11_llS4_llS2_PT12_llPT13_lli.num_vgpr, 74
	.set _ZN12_GLOBAL__N_127rocblas_gemm_batched_kernelIfLi16ELi16ELi64ELi64ELi4ELi64ELi4ELi4ELi64ELc78ELc78EKDF16_S1_DF16_EEvlllT_PT11_llS4_llS2_PT12_llPT13_lli.num_agpr, 0
	.set _ZN12_GLOBAL__N_127rocblas_gemm_batched_kernelIfLi16ELi16ELi64ELi64ELi4ELi64ELi4ELi4ELi64ELc78ELc78EKDF16_S1_DF16_EEvlllT_PT11_llS4_llS2_PT12_llPT13_lli.numbered_sgpr, 36
	.set _ZN12_GLOBAL__N_127rocblas_gemm_batched_kernelIfLi16ELi16ELi64ELi64ELi4ELi64ELi4ELi4ELi64ELc78ELc78EKDF16_S1_DF16_EEvlllT_PT11_llS4_llS2_PT12_llPT13_lli.num_named_barrier, 0
	.set _ZN12_GLOBAL__N_127rocblas_gemm_batched_kernelIfLi16ELi16ELi64ELi64ELi4ELi64ELi4ELi4ELi64ELc78ELc78EKDF16_S1_DF16_EEvlllT_PT11_llS4_llS2_PT12_llPT13_lli.private_seg_size, 0
	.set _ZN12_GLOBAL__N_127rocblas_gemm_batched_kernelIfLi16ELi16ELi64ELi64ELi4ELi64ELi4ELi4ELi64ELc78ELc78EKDF16_S1_DF16_EEvlllT_PT11_llS4_llS2_PT12_llPT13_lli.uses_vcc, 1
	.set _ZN12_GLOBAL__N_127rocblas_gemm_batched_kernelIfLi16ELi16ELi64ELi64ELi4ELi64ELi4ELi4ELi64ELc78ELc78EKDF16_S1_DF16_EEvlllT_PT11_llS4_llS2_PT12_llPT13_lli.uses_flat_scratch, 0
	.set _ZN12_GLOBAL__N_127rocblas_gemm_batched_kernelIfLi16ELi16ELi64ELi64ELi4ELi64ELi4ELi4ELi64ELc78ELc78EKDF16_S1_DF16_EEvlllT_PT11_llS4_llS2_PT12_llPT13_lli.has_dyn_sized_stack, 0
	.set _ZN12_GLOBAL__N_127rocblas_gemm_batched_kernelIfLi16ELi16ELi64ELi64ELi4ELi64ELi4ELi4ELi64ELc78ELc78EKDF16_S1_DF16_EEvlllT_PT11_llS4_llS2_PT12_llPT13_lli.has_recursion, 0
	.set _ZN12_GLOBAL__N_127rocblas_gemm_batched_kernelIfLi16ELi16ELi64ELi64ELi4ELi64ELi4ELi4ELi64ELc78ELc78EKDF16_S1_DF16_EEvlllT_PT11_llS4_llS2_PT12_llPT13_lli.has_indirect_call, 0
	.section	.AMDGPU.csdata,"",@progbits
; Kernel info:
; codeLenInByte = 2548
; TotalNumSgprs: 38
; NumVgprs: 74
; ScratchSize: 0
; MemoryBound: 0
; FloatMode: 240
; IeeeMode: 1
; LDSByteSize: 2048 bytes/workgroup (compile time only)
; SGPRBlocks: 0
; VGPRBlocks: 4
; NumSGPRsForWavesPerEU: 38
; NumVGPRsForWavesPerEU: 74
; NamedBarCnt: 0
; Occupancy: 12
; WaveLimiterHint : 0
; COMPUTE_PGM_RSRC2:SCRATCH_EN: 0
; COMPUTE_PGM_RSRC2:USER_SGPR: 2
; COMPUTE_PGM_RSRC2:TRAP_HANDLER: 0
; COMPUTE_PGM_RSRC2:TGID_X_EN: 1
; COMPUTE_PGM_RSRC2:TGID_Y_EN: 1
; COMPUTE_PGM_RSRC2:TGID_Z_EN: 1
; COMPUTE_PGM_RSRC2:TIDIG_COMP_CNT: 1
	.section	.text._ZN12_GLOBAL__N_127rocblas_gemm_batched_kernelIfLi16ELi16ELi64ELi64ELi4ELi64ELi4ELi4ELi64ELc84ELc78EKDF16_S1_DF16_EEvlllT_PT11_llS4_llS2_PT12_llPT13_lli,"axG",@progbits,_ZN12_GLOBAL__N_127rocblas_gemm_batched_kernelIfLi16ELi16ELi64ELi64ELi4ELi64ELi4ELi4ELi64ELc84ELc78EKDF16_S1_DF16_EEvlllT_PT11_llS4_llS2_PT12_llPT13_lli,comdat
	.globl	_ZN12_GLOBAL__N_127rocblas_gemm_batched_kernelIfLi16ELi16ELi64ELi64ELi4ELi64ELi4ELi4ELi64ELc84ELc78EKDF16_S1_DF16_EEvlllT_PT11_llS4_llS2_PT12_llPT13_lli ; -- Begin function _ZN12_GLOBAL__N_127rocblas_gemm_batched_kernelIfLi16ELi16ELi64ELi64ELi4ELi64ELi4ELi4ELi64ELc84ELc78EKDF16_S1_DF16_EEvlllT_PT11_llS4_llS2_PT12_llPT13_lli
	.p2align	8
	.type	_ZN12_GLOBAL__N_127rocblas_gemm_batched_kernelIfLi16ELi16ELi64ELi64ELi4ELi64ELi4ELi4ELi64ELc84ELc78EKDF16_S1_DF16_EEvlllT_PT11_llS4_llS2_PT12_llPT13_lli,@function
_ZN12_GLOBAL__N_127rocblas_gemm_batched_kernelIfLi16ELi16ELi64ELi64ELi4ELi64ELi4ELi4ELi64ELc84ELc78EKDF16_S1_DF16_EEvlllT_PT11_llS4_llS2_PT12_llPT13_lli: ; @_ZN12_GLOBAL__N_127rocblas_gemm_batched_kernelIfLi16ELi16ELi64ELi64ELi4ELi64ELi4ELi4ELi64ELc84ELc78EKDF16_S1_DF16_EEvlllT_PT11_llS4_llS2_PT12_llPT13_lli
; %bb.0:
	s_load_b32 s31, s[0:1], 0x88
	s_bfe_u32 s2, ttmp6, 0x40014
	s_lshr_b32 s3, ttmp7, 16
	s_add_co_i32 s2, s2, 1
	s_bfe_u32 s4, ttmp6, 0x40008
	s_mul_i32 s2, s3, s2
	s_getreg_b32 s20, hwreg(HW_REG_IB_STS2, 6, 4)
	s_add_co_i32 s4, s4, s2
	s_cmp_eq_u32 s20, 0
	s_cselect_b32 s2, s3, s4
	s_mov_b32 s3, 0
	s_wait_kmcnt 0x0
	s_cmp_ge_i32 s2, s31
	s_cbranch_scc1 .LBB364_10
; %bb.1:
	v_bfe_u32 v2, v0, 10, 10
	v_and_b32_e32 v4, 0x3ff, v0
	s_bfe_u32 s22, ttmp6, 0x4000c
	s_bfe_u32 s28, ttmp6, 0x40010
	s_clause 0x2
	s_load_b256 s[12:19], s[0:1], 0x20
	s_load_b128 s[24:27], s[0:1], 0x40
	s_load_b256 s[4:11], s[0:1], 0x58
	v_dual_mov_b32 v3, 0 :: v_dual_lshlrev_b32 v16, 4, v2
	s_and_b32 s23, ttmp7, 0xffff
	s_add_co_i32 s22, s22, 1
	s_add_co_i32 s28, s28, 1
	s_delay_alu instid0(VALU_DEP_1)
	v_dual_add_nc_u32 v17, v16, v4 :: v_dual_mov_b32 v7, v3
	s_and_b32 s21, ttmp6, 15
	s_mul_i32 s22, ttmp9, s22
	s_mul_i32 s28, s23, s28
	s_bfe_u32 s29, ttmp6, 0x40004
	s_add_co_i32 s21, s21, s22
	s_add_co_i32 s29, s29, s28
	s_cmp_eq_u32 s20, 0
	v_lshrrev_b32_e32 v6, 2, v17
	s_cselect_b32 s20, s23, s29
	s_cselect_b32 s28, ttmp9, s21
	s_lshl_b32 s34, s20, 6
	s_mov_b32 s35, s3
	s_ashr_i32 s29, s28, 31
	v_add_nc_u64_e32 v[8:9], s[34:35], v[6:7]
	v_and_b32_e32 v7, 63, v17
	s_load_b128 s[20:23], s[0:1], 0x78
	s_lshl_b64 s[36:37], s[28:29], 6
	v_add_nc_u64_e32 v[12:13], s[34:35], v[2:3]
	s_delay_alu instid0(VALU_DEP_2)
	v_dual_mov_b32 v11, s37 :: v_dual_bitop2_b32 v10, s36, v7 bitop3:0x54
	s_wait_kmcnt 0x0
	v_mul_u64_e32 v[8:9], s[24:25], v[8:9]
	s_clause 0x1
	s_load_b32 s33, s[0:1], 0x50
	s_load_b96 s[28:30], s[0:1], 0x10
	v_dual_mov_b32 v5, v3 :: v_dual_bitop2_b32 v2, 3, v0 bitop3:0x40
	v_mul_u64_e32 v[10:11], s[14:15], v[10:11]
	v_mul_u64_e32 v[14:15], s[6:7], v[12:13]
	v_add_nc_u32_e32 v31, 0x400, v16
	s_delay_alu instid0(VALU_DEP_4) | instskip(SKIP_2) | instid1(VALU_DEP_3)
	v_dual_lshlrev_b32 v18, 2, v2 :: v_dual_lshlrev_b32 v30, 2, v4
	v_dual_lshlrev_b32 v2, 1, v2 :: v_dual_lshrrev_b32 v16, 6, v17
	v_lshlrev_b32_e32 v17, 2, v7
	v_lshl_or_b32 v18, v6, 4, v18
	v_mul_u64_e32 v[0:1], s[20:21], v[12:13]
	v_add_nc_u64_e32 v[12:13], s[36:37], v[4:5]
	s_delay_alu instid0(VALU_DEP_3)
	v_add_nc_u32_e32 v33, 0x400, v18
	s_wait_kmcnt 0x0
	s_cmp_eq_f32 s33, 0
	v_cmp_gt_i64_e64 s0, s[28:29], 0
	s_cselect_b32 s1, -1, 0
	s_lshl_b64 s[14:15], s[20:21], 4
	s_lshl_b64 s[20:21], s[6:7], 4
	;; [unrolled: 1-line block ×3, first 2 shown]
	v_cndmask_b32_e64 v19, 0, 1, s0
	v_lshl_add_u64 v[4:5], v[8:9], 1, v[2:3]
	v_lshlrev_b32_e32 v2, 1, v16
	v_lshlrev_b64_e32 v[8:9], 1, v[12:13]
	v_lshl_or_b32 v32, v16, 8, v17
	v_cmp_ne_u32_e64 s0, 1, v19
	v_add_nc_u64_e32 v[4:5], s[18:19], v[4:5]
	v_lshl_add_u64 v[6:7], v[10:11], 1, v[2:3]
	v_lshl_add_u64 v[2:3], v[14:15], 1, s[4:5]
	s_lshl_b64 s[4:5], s[26:27], 1
	s_delay_alu instid0(VALU_DEP_2)
	v_add_nc_u64_e32 v[6:7], s[12:13], v[6:7]
	s_lshl_b64 s[12:13], s[14:15], 1
	s_lshl_b64 s[14:15], s[20:21], 1
	s_branch .LBB364_3
.LBB364_2:                              ;   in Loop: Header=BB364_3 Depth=1
	s_add_co_i32 s2, s2, 0x10000
	s_delay_alu instid0(SALU_CYCLE_1)
	s_cmp_lt_i32 s2, s31
	s_cbranch_scc0 .LBB364_10
.LBB364_3:                              ; =>This Loop Header: Depth=1
                                        ;     Child Loop BB364_5 Depth 2
	v_dual_mov_b32 v25, 0 :: v_dual_mov_b32 v24, 0
	v_dual_mov_b32 v23, 0 :: v_dual_mov_b32 v22, 0
	;; [unrolled: 1-line block ×4, first 2 shown]
	s_wait_xcnt 0x1
	v_dual_mov_b32 v17, 0 :: v_dual_mov_b32 v16, 0
	s_wait_xcnt 0x0
	v_dual_mov_b32 v15, 0 :: v_dual_mov_b32 v14, 0
	v_dual_mov_b32 v13, 0 :: v_dual_mov_b32 v12, 0
	v_dual_mov_b32 v11, 0 :: v_dual_mov_b32 v10, 0
	s_and_b32 vcc_lo, exec_lo, s0
	s_cbranch_vccnz .LBB364_6
; %bb.4:                                ;   in Loop: Header=BB364_3 Depth=1
	v_mad_nc_u64_u32 v[26:27], s4, s2, v[4:5]
	v_mad_nc_u64_u32 v[28:29], s6, s2, v[6:7]
	v_mov_b32_e32 v10, 0
	s_mov_b64 s[16:17], 0
	s_delay_alu instid0(VALU_DEP_1)
	v_dual_mov_b32 v11, v10 :: v_dual_mov_b32 v12, v10
	v_dual_mov_b32 v13, v10 :: v_dual_mov_b32 v14, v10
	v_mad_u32 v27, s5, s2, v27
	v_mad_u32 v29, s7, s2, v29
	v_dual_mov_b32 v15, v10 :: v_dual_mov_b32 v16, v10
	v_dual_mov_b32 v17, v10 :: v_dual_mov_b32 v18, v10
	v_dual_mov_b32 v19, v10 :: v_dual_mov_b32 v20, v10
	v_dual_mov_b32 v21, v10 :: v_dual_mov_b32 v22, v10
	v_dual_mov_b32 v23, v10 :: v_dual_mov_b32 v24, v10
	v_mov_b32_e32 v25, v10
.LBB364_5:                              ;   Parent Loop BB364_3 Depth=1
                                        ; =>  This Inner Loop Header: Depth=2
	global_load_u16 v34, v[28:29], off
	global_load_u16 v35, v[26:27], off
	s_add_nc_u64 s[16:17], s[16:17], 4
	s_wait_xcnt 0x0
	v_add_nc_u64_e32 v[26:27], 8, v[26:27]
	v_cmp_lt_i64_e64 s18, s[16:17], s[28:29]
	v_add_nc_u64_e32 v[28:29], 8, v[28:29]
	s_and_b32 vcc_lo, exec_lo, s18
	s_wait_loadcnt 0x1
	v_cvt_f32_f16_e32 v34, v34
	s_wait_loadcnt 0x0
	v_cvt_f32_f16_e32 v35, v35
	ds_store_b32 v32, v34
	ds_store_b32 v33, v35
	s_wait_dscnt 0x0
	s_barrier_signal -1
	s_barrier_wait -1
	ds_load_2addr_b32 v[50:51], v30 offset1:16
	ds_load_2addr_b32 v[52:53], v30 offset0:64 offset1:80
	ds_load_2addr_b32 v[54:55], v30 offset0:128 offset1:144
	;; [unrolled: 1-line block ×6, first 2 shown]
	ds_load_b128 v[34:37], v31
	ds_load_b128 v[38:41], v31 offset:256
	ds_load_2addr_b32 v[64:65], v30 offset0:224 offset1:240
	ds_load_b128 v[42:45], v31 offset:512
	ds_load_b128 v[46:49], v31 offset:768
	s_wait_dscnt 0x0
	s_barrier_signal -1
	s_barrier_wait -1
	v_dual_mov_b32 v66, v51 :: v_dual_mov_b32 v67, v50
	v_dual_mov_b32 v50, v53 :: v_dual_mov_b32 v51, v52
	;; [unrolled: 1-line block ×6, first 2 shown]
	v_pk_fma_f32 v[24:25], v[66:67], v[34:35], v[24:25] op_sel_hi:[1,0,1]
	v_pk_fma_f32 v[20:21], v[66:67], v[38:39], v[20:21] op_sel_hi:[1,0,1]
	s_delay_alu instid0(VALU_DEP_4)
	v_pk_fma_f32 v[22:23], v[56:57], v[34:35], v[22:23] op_sel_hi:[1,0,1]
	v_pk_fma_f32 v[16:17], v[66:67], v[42:43], v[16:17] op_sel_hi:[1,0,1]
	;; [unrolled: 1-line block ×6, first 2 shown]
	v_dual_mov_b32 v60, v63 :: v_dual_mov_b32 v61, v62
	v_pk_fma_f32 v[24:25], v[50:51], v[34:35], v[24:25] op_sel:[0,1,0]
	v_pk_fma_f32 v[22:23], v[58:59], v[34:35], v[22:23] op_sel:[0,1,0]
	;; [unrolled: 1-line block ×8, first 2 shown]
	v_dual_mov_b32 v62, v37 :: v_dual_mov_b32 v68, v65
	v_dual_mov_b32 v69, v64 :: v_dual_mov_b32 v64, v41
	;; [unrolled: 1-line block ×3, first 2 shown]
	v_pk_fma_f32 v[24:25], v[52:53], v[36:37], v[24:25] op_sel_hi:[1,0,1]
	v_pk_fma_f32 v[22:23], v[60:61], v[36:37], v[22:23] op_sel_hi:[1,0,1]
	;; [unrolled: 1-line block ×16, first 2 shown]
	s_cbranch_vccnz .LBB364_5
.LBB364_6:                              ;   in Loop: Header=BB364_3 Depth=1
	s_mul_u64 s[16:17], s[22:23], s[2:3]
	s_and_not1_b32 vcc_lo, exec_lo, s1
	s_lshl_b64 s[16:17], s[16:17], 1
	s_delay_alu instid0(SALU_CYCLE_1) | instskip(NEXT) | instid1(SALU_CYCLE_1)
	s_add_nc_u64 s[16:17], s[10:11], s[16:17]
	v_lshl_add_u64 v[26:27], v[0:1], 1, s[16:17]
	s_delay_alu instid0(VALU_DEP_1)
	v_add_nc_u64_e32 v[28:29], v[26:27], v[8:9]
	v_add_nc_u64_e32 v[26:27], s[12:13], v[26:27]
	s_cbranch_vccnz .LBB364_8
; %bb.7:                                ;   in Loop: Header=BB364_3 Depth=1
	v_fma_mixlo_f16 v36, s30, v25, 0
	v_fma_mixlo_f16 v37, s30, v24, 0
	s_delay_alu instid0(VALU_DEP_3)
	v_add_nc_u64_e32 v[34:35], s[12:13], v[26:27]
	v_fma_mixlo_f16 v38, s30, v23, 0
	v_fma_mixlo_f16 v39, s30, v22, 0
	s_clause 0x3
	global_store_b16 v[28:29], v36, off
	global_store_b16 v[28:29], v37, off offset:32
	global_store_b16 v[28:29], v38, off offset:64
	;; [unrolled: 1-line block ×3, first 2 shown]
	s_wait_xcnt 0x2
	v_add_nc_u64_e32 v[36:37], v[26:27], v[8:9]
	v_fma_mixlo_f16 v40, s30, v21, 0
	v_fma_mixlo_f16 v41, s30, v20, 0
	s_wait_xcnt 0x0
	v_add_nc_u64_e32 v[38:39], v[34:35], v[8:9]
	v_add_nc_u64_e32 v[34:35], s[12:13], v[34:35]
	v_fma_mixlo_f16 v42, s30, v19, 0
	v_fma_mixlo_f16 v43, s30, v18, 0
	s_clause 0x3
	global_store_b16 v[36:37], v40, off
	global_store_b16 v[36:37], v41, off offset:32
	global_store_b16 v[36:37], v42, off offset:64
	;; [unrolled: 1-line block ×3, first 2 shown]
	s_wait_xcnt 0x0
	v_fma_mixlo_f16 v36, s30, v17, 0
	v_fma_mixlo_f16 v37, s30, v16, 0
	;; [unrolled: 1-line block ×4, first 2 shown]
	v_add_nc_u64_e32 v[34:35], v[34:35], v[8:9]
	s_clause 0x3
	global_store_b16 v[38:39], v36, off
	global_store_b16 v[38:39], v37, off offset:32
	global_store_b16 v[38:39], v40, off offset:64
	;; [unrolled: 1-line block ×3, first 2 shown]
	s_wait_xcnt 0x3
	v_fma_mixlo_f16 v36, s30, v13, 0
	s_wait_xcnt 0x2
	v_fma_mixlo_f16 v37, s30, v12, 0
	;; [unrolled: 2-line block ×3, first 2 shown]
	v_fma_mixlo_f16 v39, s30, v10, 0
	s_clause 0x3
	global_store_b16 v[34:35], v36, off
	global_store_b16 v[34:35], v37, off offset:32
	global_store_b16 v[34:35], v38, off offset:64
	;; [unrolled: 1-line block ×3, first 2 shown]
	s_cbranch_execnz .LBB364_2
	s_branch .LBB364_9
.LBB364_8:                              ;   in Loop: Header=BB364_3 Depth=1
.LBB364_9:                              ;   in Loop: Header=BB364_3 Depth=1
	s_mul_u64 s[16:17], s[8:9], s[2:3]
	s_wait_xcnt 0x0
	v_lshl_add_u64 v[34:35], s[16:17], 1, v[2:3]
	s_delay_alu instid0(VALU_DEP_1) | instskip(SKIP_3) | instid1(VALU_DEP_1)
	v_add_nc_u64_e32 v[36:37], v[34:35], v[8:9]
	global_load_u16 v38, v[36:37], off
	s_wait_loadcnt 0x0
	v_cvt_f32_f16_e32 v38, v38
	v_mul_f32_e32 v38, s33, v38
	s_delay_alu instid0(VALU_DEP_1) | instskip(SKIP_4) | instid1(VALU_DEP_1)
	v_fma_mixlo_f16 v25, s30, v25, v38
	global_store_b16 v[28:29], v25, off
	global_load_u16 v25, v[36:37], off offset:32
	s_wait_loadcnt 0x0
	v_cvt_f32_f16_e32 v25, v25
	v_mul_f32_e32 v25, s33, v25
	s_delay_alu instid0(VALU_DEP_1) | instskip(SKIP_4) | instid1(VALU_DEP_1)
	v_fma_mixlo_f16 v24, s30, v24, v25
	global_store_b16 v[28:29], v24, off offset:32
	global_load_u16 v24, v[36:37], off offset:64
	s_wait_loadcnt 0x0
	v_cvt_f32_f16_e32 v24, v24
	v_mul_f32_e32 v24, s33, v24
	s_delay_alu instid0(VALU_DEP_1)
	v_fma_mixlo_f16 v23, s30, v23, v24
	v_add_nc_u64_e32 v[24:25], s[14:15], v[34:35]
	global_store_b16 v[28:29], v23, off offset:64
	global_load_u16 v23, v[36:37], off offset:96
	v_add_nc_u64_e32 v[34:35], v[24:25], v[8:9]
	s_wait_loadcnt 0x0
	v_cvt_f32_f16_e32 v23, v23
	s_delay_alu instid0(VALU_DEP_1) | instskip(NEXT) | instid1(VALU_DEP_1)
	v_mul_f32_e32 v23, s33, v23
	v_fma_mixlo_f16 v22, s30, v22, v23
	global_store_b16 v[28:29], v22, off offset:96
	global_load_u16 v22, v[34:35], off
	s_wait_loadcnt 0x0
	v_cvt_f32_f16_e32 v22, v22
	s_delay_alu instid0(VALU_DEP_1) | instskip(SKIP_1) | instid1(VALU_DEP_2)
	v_mul_f32_e32 v28, s33, v22
	v_add_nc_u64_e32 v[22:23], v[26:27], v[8:9]
	v_fma_mixlo_f16 v21, s30, v21, v28
	global_store_b16 v[22:23], v21, off
	global_load_u16 v21, v[34:35], off offset:32
	s_wait_loadcnt 0x0
	v_cvt_f32_f16_e32 v21, v21
	s_delay_alu instid0(VALU_DEP_1) | instskip(NEXT) | instid1(VALU_DEP_1)
	v_mul_f32_e32 v21, s33, v21
	v_fma_mixlo_f16 v20, s30, v20, v21
	global_store_b16 v[22:23], v20, off offset:32
	global_load_u16 v20, v[34:35], off offset:64
	s_wait_loadcnt 0x0
	v_cvt_f32_f16_e32 v20, v20
	s_delay_alu instid0(VALU_DEP_1) | instskip(NEXT) | instid1(VALU_DEP_1)
	v_mul_f32_e32 v20, s33, v20
	v_fma_mixlo_f16 v19, s30, v19, v20
	v_add_nc_u64_e32 v[20:21], s[14:15], v[24:25]
	global_store_b16 v[22:23], v19, off offset:64
	global_load_u16 v19, v[34:35], off offset:96
	v_add_nc_u64_e32 v[24:25], v[20:21], v[8:9]
	s_wait_loadcnt 0x0
	v_cvt_f32_f16_e32 v19, v19
	s_delay_alu instid0(VALU_DEP_1) | instskip(NEXT) | instid1(VALU_DEP_1)
	v_mul_f32_e32 v19, s33, v19
	v_fma_mixlo_f16 v18, s30, v18, v19
	global_store_b16 v[22:23], v18, off offset:96
	global_load_u16 v18, v[24:25], off
	s_wait_loadcnt 0x0
	v_cvt_f32_f16_e32 v22, v18
	v_add_nc_u64_e32 v[18:19], s[12:13], v[26:27]
	s_delay_alu instid0(VALU_DEP_2) | instskip(NEXT) | instid1(VALU_DEP_2)
	v_mul_f32_e32 v26, s33, v22
	v_add_nc_u64_e32 v[22:23], v[18:19], v[8:9]
	s_delay_alu instid0(VALU_DEP_2) | instskip(SKIP_4) | instid1(VALU_DEP_1)
	v_fma_mixlo_f16 v17, s30, v17, v26
	global_store_b16 v[22:23], v17, off
	global_load_u16 v17, v[24:25], off offset:32
	s_wait_loadcnt 0x0
	v_cvt_f32_f16_e32 v17, v17
	v_mul_f32_e32 v17, s33, v17
	s_delay_alu instid0(VALU_DEP_1) | instskip(SKIP_4) | instid1(VALU_DEP_1)
	v_fma_mixlo_f16 v16, s30, v16, v17
	global_store_b16 v[22:23], v16, off offset:32
	global_load_u16 v16, v[24:25], off offset:64
	s_wait_loadcnt 0x0
	v_cvt_f32_f16_e32 v16, v16
	v_mul_f32_e32 v16, s33, v16
	s_delay_alu instid0(VALU_DEP_1)
	v_fma_mixlo_f16 v15, s30, v15, v16
	v_add_nc_u64_e32 v[16:17], s[14:15], v[20:21]
	global_store_b16 v[22:23], v15, off offset:64
	global_load_u16 v15, v[24:25], off offset:96
	v_add_nc_u64_e32 v[16:17], v[16:17], v[8:9]
	s_wait_loadcnt 0x0
	v_cvt_f32_f16_e32 v15, v15
	s_delay_alu instid0(VALU_DEP_1) | instskip(NEXT) | instid1(VALU_DEP_1)
	v_mul_f32_e32 v15, s33, v15
	v_fma_mixlo_f16 v14, s30, v14, v15
	global_store_b16 v[22:23], v14, off offset:96
	global_load_u16 v14, v[16:17], off
	s_wait_loadcnt 0x0
	v_cvt_f32_f16_e32 v20, v14
	v_add_nc_u64_e32 v[14:15], s[12:13], v[18:19]
	s_delay_alu instid0(VALU_DEP_2) | instskip(NEXT) | instid1(VALU_DEP_2)
	v_mul_f32_e32 v18, s33, v20
	v_add_nc_u64_e32 v[14:15], v[14:15], v[8:9]
	s_delay_alu instid0(VALU_DEP_2) | instskip(SKIP_4) | instid1(VALU_DEP_1)
	v_fma_mixlo_f16 v13, s30, v13, v18
	global_store_b16 v[14:15], v13, off
	global_load_u16 v13, v[16:17], off offset:32
	s_wait_loadcnt 0x0
	v_cvt_f32_f16_e32 v13, v13
	v_mul_f32_e32 v13, s33, v13
	s_delay_alu instid0(VALU_DEP_1) | instskip(SKIP_4) | instid1(VALU_DEP_1)
	v_fma_mixlo_f16 v12, s30, v12, v13
	global_store_b16 v[14:15], v12, off offset:32
	global_load_u16 v12, v[16:17], off offset:64
	s_wait_loadcnt 0x0
	v_cvt_f32_f16_e32 v12, v12
	v_mul_f32_e32 v12, s33, v12
	s_delay_alu instid0(VALU_DEP_1) | instskip(SKIP_4) | instid1(VALU_DEP_1)
	v_fma_mixlo_f16 v11, s30, v11, v12
	global_store_b16 v[14:15], v11, off offset:64
	global_load_u16 v11, v[16:17], off offset:96
	s_wait_loadcnt 0x0
	v_cvt_f32_f16_e32 v11, v11
	v_mul_f32_e32 v11, s33, v11
	s_delay_alu instid0(VALU_DEP_1)
	v_fma_mixlo_f16 v10, s30, v10, v11
	global_store_b16 v[14:15], v10, off offset:96
	s_branch .LBB364_2
.LBB364_10:
	s_sendmsg sendmsg(MSG_DEALLOC_VGPRS)
	s_endpgm
	.section	.rodata,"a",@progbits
	.p2align	6, 0x0
	.amdhsa_kernel _ZN12_GLOBAL__N_127rocblas_gemm_batched_kernelIfLi16ELi16ELi64ELi64ELi4ELi64ELi4ELi4ELi64ELc84ELc78EKDF16_S1_DF16_EEvlllT_PT11_llS4_llS2_PT12_llPT13_lli
		.amdhsa_group_segment_fixed_size 2048
		.amdhsa_private_segment_fixed_size 0
		.amdhsa_kernarg_size 140
		.amdhsa_user_sgpr_count 2
		.amdhsa_user_sgpr_dispatch_ptr 0
		.amdhsa_user_sgpr_queue_ptr 0
		.amdhsa_user_sgpr_kernarg_segment_ptr 1
		.amdhsa_user_sgpr_dispatch_id 0
		.amdhsa_user_sgpr_kernarg_preload_length 0
		.amdhsa_user_sgpr_kernarg_preload_offset 0
		.amdhsa_user_sgpr_private_segment_size 0
		.amdhsa_wavefront_size32 1
		.amdhsa_uses_dynamic_stack 0
		.amdhsa_enable_private_segment 0
		.amdhsa_system_sgpr_workgroup_id_x 1
		.amdhsa_system_sgpr_workgroup_id_y 1
		.amdhsa_system_sgpr_workgroup_id_z 1
		.amdhsa_system_sgpr_workgroup_info 0
		.amdhsa_system_vgpr_workitem_id 1
		.amdhsa_next_free_vgpr 74
		.amdhsa_next_free_sgpr 38
		.amdhsa_named_barrier_count 0
		.amdhsa_reserve_vcc 1
		.amdhsa_float_round_mode_32 0
		.amdhsa_float_round_mode_16_64 0
		.amdhsa_float_denorm_mode_32 3
		.amdhsa_float_denorm_mode_16_64 3
		.amdhsa_fp16_overflow 0
		.amdhsa_memory_ordered 1
		.amdhsa_forward_progress 1
		.amdhsa_inst_pref_size 20
		.amdhsa_round_robin_scheduling 0
		.amdhsa_exception_fp_ieee_invalid_op 0
		.amdhsa_exception_fp_denorm_src 0
		.amdhsa_exception_fp_ieee_div_zero 0
		.amdhsa_exception_fp_ieee_overflow 0
		.amdhsa_exception_fp_ieee_underflow 0
		.amdhsa_exception_fp_ieee_inexact 0
		.amdhsa_exception_int_div_zero 0
	.end_amdhsa_kernel
	.section	.text._ZN12_GLOBAL__N_127rocblas_gemm_batched_kernelIfLi16ELi16ELi64ELi64ELi4ELi64ELi4ELi4ELi64ELc84ELc78EKDF16_S1_DF16_EEvlllT_PT11_llS4_llS2_PT12_llPT13_lli,"axG",@progbits,_ZN12_GLOBAL__N_127rocblas_gemm_batched_kernelIfLi16ELi16ELi64ELi64ELi4ELi64ELi4ELi4ELi64ELc84ELc78EKDF16_S1_DF16_EEvlllT_PT11_llS4_llS2_PT12_llPT13_lli,comdat
.Lfunc_end364:
	.size	_ZN12_GLOBAL__N_127rocblas_gemm_batched_kernelIfLi16ELi16ELi64ELi64ELi4ELi64ELi4ELi4ELi64ELc84ELc78EKDF16_S1_DF16_EEvlllT_PT11_llS4_llS2_PT12_llPT13_lli, .Lfunc_end364-_ZN12_GLOBAL__N_127rocblas_gemm_batched_kernelIfLi16ELi16ELi64ELi64ELi4ELi64ELi4ELi4ELi64ELc84ELc78EKDF16_S1_DF16_EEvlllT_PT11_llS4_llS2_PT12_llPT13_lli
                                        ; -- End function
	.set _ZN12_GLOBAL__N_127rocblas_gemm_batched_kernelIfLi16ELi16ELi64ELi64ELi4ELi64ELi4ELi4ELi64ELc84ELc78EKDF16_S1_DF16_EEvlllT_PT11_llS4_llS2_PT12_llPT13_lli.num_vgpr, 74
	.set _ZN12_GLOBAL__N_127rocblas_gemm_batched_kernelIfLi16ELi16ELi64ELi64ELi4ELi64ELi4ELi4ELi64ELc84ELc78EKDF16_S1_DF16_EEvlllT_PT11_llS4_llS2_PT12_llPT13_lli.num_agpr, 0
	.set _ZN12_GLOBAL__N_127rocblas_gemm_batched_kernelIfLi16ELi16ELi64ELi64ELi4ELi64ELi4ELi4ELi64ELc84ELc78EKDF16_S1_DF16_EEvlllT_PT11_llS4_llS2_PT12_llPT13_lli.numbered_sgpr, 38
	.set _ZN12_GLOBAL__N_127rocblas_gemm_batched_kernelIfLi16ELi16ELi64ELi64ELi4ELi64ELi4ELi4ELi64ELc84ELc78EKDF16_S1_DF16_EEvlllT_PT11_llS4_llS2_PT12_llPT13_lli.num_named_barrier, 0
	.set _ZN12_GLOBAL__N_127rocblas_gemm_batched_kernelIfLi16ELi16ELi64ELi64ELi4ELi64ELi4ELi4ELi64ELc84ELc78EKDF16_S1_DF16_EEvlllT_PT11_llS4_llS2_PT12_llPT13_lli.private_seg_size, 0
	.set _ZN12_GLOBAL__N_127rocblas_gemm_batched_kernelIfLi16ELi16ELi64ELi64ELi4ELi64ELi4ELi4ELi64ELc84ELc78EKDF16_S1_DF16_EEvlllT_PT11_llS4_llS2_PT12_llPT13_lli.uses_vcc, 1
	.set _ZN12_GLOBAL__N_127rocblas_gemm_batched_kernelIfLi16ELi16ELi64ELi64ELi4ELi64ELi4ELi4ELi64ELc84ELc78EKDF16_S1_DF16_EEvlllT_PT11_llS4_llS2_PT12_llPT13_lli.uses_flat_scratch, 0
	.set _ZN12_GLOBAL__N_127rocblas_gemm_batched_kernelIfLi16ELi16ELi64ELi64ELi4ELi64ELi4ELi4ELi64ELc84ELc78EKDF16_S1_DF16_EEvlllT_PT11_llS4_llS2_PT12_llPT13_lli.has_dyn_sized_stack, 0
	.set _ZN12_GLOBAL__N_127rocblas_gemm_batched_kernelIfLi16ELi16ELi64ELi64ELi4ELi64ELi4ELi4ELi64ELc84ELc78EKDF16_S1_DF16_EEvlllT_PT11_llS4_llS2_PT12_llPT13_lli.has_recursion, 0
	.set _ZN12_GLOBAL__N_127rocblas_gemm_batched_kernelIfLi16ELi16ELi64ELi64ELi4ELi64ELi4ELi4ELi64ELc84ELc78EKDF16_S1_DF16_EEvlllT_PT11_llS4_llS2_PT12_llPT13_lli.has_indirect_call, 0
	.section	.AMDGPU.csdata,"",@progbits
; Kernel info:
; codeLenInByte = 2548
; TotalNumSgprs: 40
; NumVgprs: 74
; ScratchSize: 0
; MemoryBound: 0
; FloatMode: 240
; IeeeMode: 1
; LDSByteSize: 2048 bytes/workgroup (compile time only)
; SGPRBlocks: 0
; VGPRBlocks: 4
; NumSGPRsForWavesPerEU: 40
; NumVGPRsForWavesPerEU: 74
; NamedBarCnt: 0
; Occupancy: 12
; WaveLimiterHint : 0
; COMPUTE_PGM_RSRC2:SCRATCH_EN: 0
; COMPUTE_PGM_RSRC2:USER_SGPR: 2
; COMPUTE_PGM_RSRC2:TRAP_HANDLER: 0
; COMPUTE_PGM_RSRC2:TGID_X_EN: 1
; COMPUTE_PGM_RSRC2:TGID_Y_EN: 1
; COMPUTE_PGM_RSRC2:TGID_Z_EN: 1
; COMPUTE_PGM_RSRC2:TIDIG_COMP_CNT: 1
	.section	.text._ZN12_GLOBAL__N_127rocblas_gemm_batched_kernelIfLi16ELi16ELi64ELi64ELi4ELi64ELi4ELi4ELi64ELc78ELc84EKDF16_S1_DF16_EEvlllT_PT11_llS4_llS2_PT12_llPT13_lli,"axG",@progbits,_ZN12_GLOBAL__N_127rocblas_gemm_batched_kernelIfLi16ELi16ELi64ELi64ELi4ELi64ELi4ELi4ELi64ELc78ELc84EKDF16_S1_DF16_EEvlllT_PT11_llS4_llS2_PT12_llPT13_lli,comdat
	.globl	_ZN12_GLOBAL__N_127rocblas_gemm_batched_kernelIfLi16ELi16ELi64ELi64ELi4ELi64ELi4ELi4ELi64ELc78ELc84EKDF16_S1_DF16_EEvlllT_PT11_llS4_llS2_PT12_llPT13_lli ; -- Begin function _ZN12_GLOBAL__N_127rocblas_gemm_batched_kernelIfLi16ELi16ELi64ELi64ELi4ELi64ELi4ELi4ELi64ELc78ELc84EKDF16_S1_DF16_EEvlllT_PT11_llS4_llS2_PT12_llPT13_lli
	.p2align	8
	.type	_ZN12_GLOBAL__N_127rocblas_gemm_batched_kernelIfLi16ELi16ELi64ELi64ELi4ELi64ELi4ELi4ELi64ELc78ELc84EKDF16_S1_DF16_EEvlllT_PT11_llS4_llS2_PT12_llPT13_lli,@function
_ZN12_GLOBAL__N_127rocblas_gemm_batched_kernelIfLi16ELi16ELi64ELi64ELi4ELi64ELi4ELi4ELi64ELc78ELc84EKDF16_S1_DF16_EEvlllT_PT11_llS4_llS2_PT12_llPT13_lli: ; @_ZN12_GLOBAL__N_127rocblas_gemm_batched_kernelIfLi16ELi16ELi64ELi64ELi4ELi64ELi4ELi4ELi64ELc78ELc84EKDF16_S1_DF16_EEvlllT_PT11_llS4_llS2_PT12_llPT13_lli
; %bb.0:
	s_load_b32 s31, s[0:1], 0x88
	s_bfe_u32 s2, ttmp6, 0x40014
	s_lshr_b32 s3, ttmp7, 16
	s_add_co_i32 s2, s2, 1
	s_bfe_u32 s4, ttmp6, 0x40008
	s_mul_i32 s2, s3, s2
	s_getreg_b32 s20, hwreg(HW_REG_IB_STS2, 6, 4)
	s_add_co_i32 s4, s4, s2
	s_cmp_eq_u32 s20, 0
	s_cselect_b32 s2, s3, s4
	s_mov_b32 s3, 0
	s_wait_kmcnt 0x0
	s_cmp_ge_i32 s2, s31
	s_cbranch_scc1 .LBB365_10
; %bb.1:
	s_bfe_u32 s21, ttmp6, 0x4000c
	s_bfe_u32 s23, ttmp6, 0x40010
	s_clause 0x2
	s_load_b256 s[12:19], s[0:1], 0x20
	s_load_b128 s[24:27], s[0:1], 0x40
	s_load_b256 s[4:11], s[0:1], 0x58
	s_add_co_i32 s21, s21, 1
	s_and_b32 s28, ttmp7, 0xffff
	s_add_co_i32 s23, s23, 1
	s_and_b32 s22, ttmp6, 15
	s_mul_i32 s21, ttmp9, s21
	s_mul_i32 s23, s28, s23
	s_bfe_u32 s29, ttmp6, 0x40004
	s_add_co_i32 s22, s22, s21
	s_add_co_i32 s29, s29, s23
	s_cmp_eq_u32 s20, 0
	v_bfe_u32 v2, v0, 10, 10
	v_mov_b32_e32 v3, 0
	s_cselect_b32 s20, s28, s29
	s_cselect_b32 s28, ttmp9, s22
	s_lshl_b32 s34, s20, 6
	s_load_b128 s[20:23], s[0:1], 0x78
	s_mov_b32 s35, s3
	v_and_b32_e32 v4, 0x3ff, v0
	v_lshlrev_b32_e32 v16, 4, v2
	v_add_nc_u64_e32 v[6:7], s[34:35], v[2:3]
	v_mov_b32_e32 v9, v3
	s_ashr_i32 s29, s28, 31
	s_load_b32 s33, s[0:1], 0x50
	v_add_nc_u32_e32 v1, v16, v4
	v_and_b32_e32 v5, 3, v0
	s_lshl_b64 s[36:37], s[28:29], 6
	s_wait_kmcnt 0x0
	v_mul_u64_e32 v[10:11], s[6:7], v[6:7]
	s_load_b96 s[28:30], s[0:1], 0x10
	v_dual_lshrrev_b32 v8, 2, v1 :: v_dual_lshrrev_b32 v17, 6, v1
	v_dual_lshlrev_b32 v32, 2, v4 :: v_dual_bitop2_b32 v2, 63, v1 bitop3:0x40
	v_add_nc_u32_e32 v33, 0x400, v16
	s_delay_alu instid0(VALU_DEP_3) | instskip(NEXT) | instid1(VALU_DEP_4)
	v_mad_nc_u64_u32 v[12:13], s24, v5, v[8:9]
	v_mad_nc_u64_u32 v[14:15], s14, v17, s[36:37]
	v_mul_u64_e32 v[0:1], s[20:21], v[6:7]
	v_dual_lshlrev_b32 v9, 2, v5 :: v_dual_lshlrev_b32 v6, 2, v2
	s_delay_alu instid0(VALU_DEP_1) | instskip(NEXT) | instid1(VALU_DEP_2)
	v_lshl_or_b32 v7, v8, 4, v9
	v_lshl_or_b32 v30, v17, 8, v6
	s_cmp_eq_f32 s33, 0
	v_mad_u32 v13, s25, v5, v13
	v_mad_u32 v15, s15, v17, v15
	v_mov_b32_e32 v5, v3
	s_wait_kmcnt 0x0
	v_cmp_gt_i64_e64 s0, s[28:29], 0
	v_add_nc_u32_e32 v31, 0x400, v7
	s_cselect_b32 s1, -1, 0
	s_lshl_b64 s[20:21], s[20:21], 4
	v_add_nc_u64_e32 v[8:9], s[36:37], v[4:5]
	s_lshl_b64 s[14:15], s[14:15], 3
	v_add_nc_u64_e32 v[6:7], s[34:35], v[12:13]
	v_add_nc_u64_e32 v[12:13], v[14:15], v[2:3]
	s_lshl_b64 s[34:35], s[6:7], 4
	v_lshl_add_u64 v[2:3], v[10:11], 1, s[4:5]
	v_cndmask_b32_e64 v10, 0, 1, s0
	v_lshlrev_b64_e32 v[8:9], 1, v[8:9]
	s_lshl_b64 s[4:5], s[26:27], 1
	v_lshl_add_u64 v[4:5], v[6:7], 1, s[18:19]
	v_lshl_add_u64 v[6:7], v[12:13], 1, s[12:13]
	v_cmp_ne_u32_e64 s0, 1, v10
	s_lshl_b64 s[6:7], s[24:25], 3
	s_lshl_b64 s[12:13], s[16:17], 1
	;; [unrolled: 1-line block ×4, first 2 shown]
	s_branch .LBB365_3
.LBB365_2:                              ;   in Loop: Header=BB365_3 Depth=1
	s_add_co_i32 s2, s2, 0x10000
	s_delay_alu instid0(SALU_CYCLE_1)
	s_cmp_lt_i32 s2, s31
	s_cbranch_scc0 .LBB365_10
.LBB365_3:                              ; =>This Loop Header: Depth=1
                                        ;     Child Loop BB365_5 Depth 2
	v_dual_mov_b32 v25, 0 :: v_dual_mov_b32 v24, 0
	v_dual_mov_b32 v23, 0 :: v_dual_mov_b32 v22, 0
	v_dual_mov_b32 v21, 0 :: v_dual_mov_b32 v20, 0
	v_dual_mov_b32 v19, 0 :: v_dual_mov_b32 v18, 0
	s_wait_xcnt 0x1
	v_dual_mov_b32 v17, 0 :: v_dual_mov_b32 v16, 0
	s_wait_xcnt 0x0
	v_dual_mov_b32 v15, 0 :: v_dual_mov_b32 v14, 0
	v_dual_mov_b32 v13, 0 :: v_dual_mov_b32 v12, 0
	;; [unrolled: 1-line block ×3, first 2 shown]
	s_and_b32 vcc_lo, exec_lo, s0
	s_cbranch_vccnz .LBB365_6
; %bb.4:                                ;   in Loop: Header=BB365_3 Depth=1
	v_mad_nc_u64_u32 v[26:27], s4, s2, v[4:5]
	v_mad_nc_u64_u32 v[28:29], s12, s2, v[6:7]
	v_mov_b32_e32 v10, 0
	s_mov_b64 s[20:21], 0
	s_delay_alu instid0(VALU_DEP_1)
	v_dual_mov_b32 v11, v10 :: v_dual_mov_b32 v12, v10
	v_dual_mov_b32 v13, v10 :: v_dual_mov_b32 v14, v10
	v_mad_u32 v27, s5, s2, v27
	v_mad_u32 v29, s13, s2, v29
	v_dual_mov_b32 v15, v10 :: v_dual_mov_b32 v16, v10
	v_dual_mov_b32 v17, v10 :: v_dual_mov_b32 v18, v10
	;; [unrolled: 1-line block ×5, first 2 shown]
	v_mov_b32_e32 v25, v10
.LBB365_5:                              ;   Parent Loop BB365_3 Depth=1
                                        ; =>  This Inner Loop Header: Depth=2
	global_load_u16 v34, v[28:29], off
	global_load_u16 v35, v[26:27], off
	s_add_nc_u64 s[20:21], s[20:21], 4
	s_wait_xcnt 0x0
	v_add_nc_u64_e32 v[26:27], s[6:7], v[26:27]
	v_cmp_lt_i64_e64 s24, s[20:21], s[28:29]
	v_add_nc_u64_e32 v[28:29], s[14:15], v[28:29]
	s_and_b32 vcc_lo, exec_lo, s24
	s_wait_loadcnt 0x1
	v_cvt_f32_f16_e32 v34, v34
	s_wait_loadcnt 0x0
	v_cvt_f32_f16_e32 v35, v35
	ds_store_b32 v30, v34
	ds_store_b32 v31, v35
	s_wait_dscnt 0x0
	s_barrier_signal -1
	s_barrier_wait -1
	ds_load_2addr_b32 v[50:51], v32 offset1:16
	ds_load_2addr_b32 v[52:53], v32 offset0:64 offset1:80
	ds_load_2addr_b32 v[54:55], v32 offset0:128 offset1:144
	;; [unrolled: 1-line block ×6, first 2 shown]
	ds_load_b128 v[34:37], v33
	ds_load_b128 v[38:41], v33 offset:256
	ds_load_2addr_b32 v[64:65], v32 offset0:224 offset1:240
	ds_load_b128 v[42:45], v33 offset:512
	ds_load_b128 v[46:49], v33 offset:768
	s_wait_dscnt 0x0
	s_barrier_signal -1
	s_barrier_wait -1
	v_dual_mov_b32 v66, v51 :: v_dual_mov_b32 v67, v50
	v_dual_mov_b32 v50, v53 :: v_dual_mov_b32 v51, v52
	;; [unrolled: 1-line block ×6, first 2 shown]
	v_pk_fma_f32 v[24:25], v[66:67], v[34:35], v[24:25] op_sel_hi:[1,0,1]
	v_pk_fma_f32 v[20:21], v[66:67], v[38:39], v[20:21] op_sel_hi:[1,0,1]
	s_delay_alu instid0(VALU_DEP_4)
	v_pk_fma_f32 v[22:23], v[56:57], v[34:35], v[22:23] op_sel_hi:[1,0,1]
	v_pk_fma_f32 v[16:17], v[66:67], v[42:43], v[16:17] op_sel_hi:[1,0,1]
	;; [unrolled: 1-line block ×6, first 2 shown]
	v_dual_mov_b32 v60, v63 :: v_dual_mov_b32 v61, v62
	v_pk_fma_f32 v[24:25], v[50:51], v[34:35], v[24:25] op_sel:[0,1,0]
	v_pk_fma_f32 v[22:23], v[58:59], v[34:35], v[22:23] op_sel:[0,1,0]
	;; [unrolled: 1-line block ×8, first 2 shown]
	v_dual_mov_b32 v62, v37 :: v_dual_mov_b32 v68, v65
	v_dual_mov_b32 v69, v64 :: v_dual_mov_b32 v64, v41
	;; [unrolled: 1-line block ×3, first 2 shown]
	v_pk_fma_f32 v[24:25], v[52:53], v[36:37], v[24:25] op_sel_hi:[1,0,1]
	v_pk_fma_f32 v[22:23], v[60:61], v[36:37], v[22:23] op_sel_hi:[1,0,1]
	;; [unrolled: 1-line block ×16, first 2 shown]
	s_cbranch_vccnz .LBB365_5
.LBB365_6:                              ;   in Loop: Header=BB365_3 Depth=1
	s_mul_u64 s[20:21], s[22:23], s[2:3]
	s_and_not1_b32 vcc_lo, exec_lo, s1
	s_lshl_b64 s[20:21], s[20:21], 1
	s_delay_alu instid0(SALU_CYCLE_1) | instskip(NEXT) | instid1(SALU_CYCLE_1)
	s_add_nc_u64 s[20:21], s[10:11], s[20:21]
	v_lshl_add_u64 v[26:27], v[0:1], 1, s[20:21]
	s_delay_alu instid0(VALU_DEP_1)
	v_add_nc_u64_e32 v[28:29], v[26:27], v[8:9]
	v_add_nc_u64_e32 v[26:27], s[16:17], v[26:27]
	s_cbranch_vccnz .LBB365_8
; %bb.7:                                ;   in Loop: Header=BB365_3 Depth=1
	v_fma_mixlo_f16 v36, s30, v25, 0
	v_fma_mixlo_f16 v37, s30, v24, 0
	s_delay_alu instid0(VALU_DEP_3)
	v_add_nc_u64_e32 v[34:35], s[16:17], v[26:27]
	v_fma_mixlo_f16 v38, s30, v23, 0
	v_fma_mixlo_f16 v39, s30, v22, 0
	s_clause 0x3
	global_store_b16 v[28:29], v36, off
	global_store_b16 v[28:29], v37, off offset:32
	global_store_b16 v[28:29], v38, off offset:64
	;; [unrolled: 1-line block ×3, first 2 shown]
	s_wait_xcnt 0x2
	v_add_nc_u64_e32 v[36:37], v[26:27], v[8:9]
	v_fma_mixlo_f16 v40, s30, v21, 0
	v_fma_mixlo_f16 v41, s30, v20, 0
	s_wait_xcnt 0x0
	v_add_nc_u64_e32 v[38:39], v[34:35], v[8:9]
	v_add_nc_u64_e32 v[34:35], s[16:17], v[34:35]
	v_fma_mixlo_f16 v42, s30, v19, 0
	v_fma_mixlo_f16 v43, s30, v18, 0
	s_clause 0x3
	global_store_b16 v[36:37], v40, off
	global_store_b16 v[36:37], v41, off offset:32
	global_store_b16 v[36:37], v42, off offset:64
	;; [unrolled: 1-line block ×3, first 2 shown]
	s_wait_xcnt 0x0
	v_fma_mixlo_f16 v36, s30, v17, 0
	v_fma_mixlo_f16 v37, s30, v16, 0
	;; [unrolled: 1-line block ×4, first 2 shown]
	v_add_nc_u64_e32 v[34:35], v[34:35], v[8:9]
	s_clause 0x3
	global_store_b16 v[38:39], v36, off
	global_store_b16 v[38:39], v37, off offset:32
	global_store_b16 v[38:39], v40, off offset:64
	;; [unrolled: 1-line block ×3, first 2 shown]
	s_wait_xcnt 0x3
	v_fma_mixlo_f16 v36, s30, v13, 0
	s_wait_xcnt 0x2
	v_fma_mixlo_f16 v37, s30, v12, 0
	s_wait_xcnt 0x0
	v_fma_mixlo_f16 v38, s30, v11, 0
	v_fma_mixlo_f16 v39, s30, v10, 0
	s_clause 0x3
	global_store_b16 v[34:35], v36, off
	global_store_b16 v[34:35], v37, off offset:32
	global_store_b16 v[34:35], v38, off offset:64
	;; [unrolled: 1-line block ×3, first 2 shown]
	s_cbranch_execnz .LBB365_2
	s_branch .LBB365_9
.LBB365_8:                              ;   in Loop: Header=BB365_3 Depth=1
.LBB365_9:                              ;   in Loop: Header=BB365_3 Depth=1
	s_mul_u64 s[20:21], s[8:9], s[2:3]
	s_wait_xcnt 0x0
	v_lshl_add_u64 v[34:35], s[20:21], 1, v[2:3]
	s_delay_alu instid0(VALU_DEP_1) | instskip(SKIP_3) | instid1(VALU_DEP_1)
	v_add_nc_u64_e32 v[36:37], v[34:35], v[8:9]
	global_load_u16 v38, v[36:37], off
	s_wait_loadcnt 0x0
	v_cvt_f32_f16_e32 v38, v38
	v_mul_f32_e32 v38, s33, v38
	s_delay_alu instid0(VALU_DEP_1) | instskip(SKIP_4) | instid1(VALU_DEP_1)
	v_fma_mixlo_f16 v25, s30, v25, v38
	global_store_b16 v[28:29], v25, off
	global_load_u16 v25, v[36:37], off offset:32
	s_wait_loadcnt 0x0
	v_cvt_f32_f16_e32 v25, v25
	v_mul_f32_e32 v25, s33, v25
	s_delay_alu instid0(VALU_DEP_1) | instskip(SKIP_4) | instid1(VALU_DEP_1)
	v_fma_mixlo_f16 v24, s30, v24, v25
	global_store_b16 v[28:29], v24, off offset:32
	global_load_u16 v24, v[36:37], off offset:64
	s_wait_loadcnt 0x0
	v_cvt_f32_f16_e32 v24, v24
	v_mul_f32_e32 v24, s33, v24
	s_delay_alu instid0(VALU_DEP_1)
	v_fma_mixlo_f16 v23, s30, v23, v24
	v_add_nc_u64_e32 v[24:25], s[18:19], v[34:35]
	global_store_b16 v[28:29], v23, off offset:64
	global_load_u16 v23, v[36:37], off offset:96
	v_add_nc_u64_e32 v[34:35], v[24:25], v[8:9]
	s_wait_loadcnt 0x0
	v_cvt_f32_f16_e32 v23, v23
	s_delay_alu instid0(VALU_DEP_1) | instskip(NEXT) | instid1(VALU_DEP_1)
	v_mul_f32_e32 v23, s33, v23
	v_fma_mixlo_f16 v22, s30, v22, v23
	global_store_b16 v[28:29], v22, off offset:96
	global_load_u16 v22, v[34:35], off
	s_wait_loadcnt 0x0
	v_cvt_f32_f16_e32 v22, v22
	s_delay_alu instid0(VALU_DEP_1) | instskip(SKIP_1) | instid1(VALU_DEP_2)
	v_mul_f32_e32 v28, s33, v22
	v_add_nc_u64_e32 v[22:23], v[26:27], v[8:9]
	v_fma_mixlo_f16 v21, s30, v21, v28
	global_store_b16 v[22:23], v21, off
	global_load_u16 v21, v[34:35], off offset:32
	s_wait_loadcnt 0x0
	v_cvt_f32_f16_e32 v21, v21
	s_delay_alu instid0(VALU_DEP_1) | instskip(NEXT) | instid1(VALU_DEP_1)
	v_mul_f32_e32 v21, s33, v21
	v_fma_mixlo_f16 v20, s30, v20, v21
	global_store_b16 v[22:23], v20, off offset:32
	global_load_u16 v20, v[34:35], off offset:64
	s_wait_loadcnt 0x0
	v_cvt_f32_f16_e32 v20, v20
	s_delay_alu instid0(VALU_DEP_1) | instskip(NEXT) | instid1(VALU_DEP_1)
	v_mul_f32_e32 v20, s33, v20
	v_fma_mixlo_f16 v19, s30, v19, v20
	v_add_nc_u64_e32 v[20:21], s[18:19], v[24:25]
	global_store_b16 v[22:23], v19, off offset:64
	global_load_u16 v19, v[34:35], off offset:96
	v_add_nc_u64_e32 v[24:25], v[20:21], v[8:9]
	s_wait_loadcnt 0x0
	v_cvt_f32_f16_e32 v19, v19
	s_delay_alu instid0(VALU_DEP_1) | instskip(NEXT) | instid1(VALU_DEP_1)
	v_mul_f32_e32 v19, s33, v19
	v_fma_mixlo_f16 v18, s30, v18, v19
	global_store_b16 v[22:23], v18, off offset:96
	global_load_u16 v18, v[24:25], off
	s_wait_loadcnt 0x0
	v_cvt_f32_f16_e32 v22, v18
	v_add_nc_u64_e32 v[18:19], s[16:17], v[26:27]
	s_delay_alu instid0(VALU_DEP_2) | instskip(NEXT) | instid1(VALU_DEP_2)
	v_mul_f32_e32 v26, s33, v22
	v_add_nc_u64_e32 v[22:23], v[18:19], v[8:9]
	s_delay_alu instid0(VALU_DEP_2) | instskip(SKIP_4) | instid1(VALU_DEP_1)
	v_fma_mixlo_f16 v17, s30, v17, v26
	global_store_b16 v[22:23], v17, off
	global_load_u16 v17, v[24:25], off offset:32
	s_wait_loadcnt 0x0
	v_cvt_f32_f16_e32 v17, v17
	v_mul_f32_e32 v17, s33, v17
	s_delay_alu instid0(VALU_DEP_1) | instskip(SKIP_4) | instid1(VALU_DEP_1)
	v_fma_mixlo_f16 v16, s30, v16, v17
	global_store_b16 v[22:23], v16, off offset:32
	global_load_u16 v16, v[24:25], off offset:64
	s_wait_loadcnt 0x0
	v_cvt_f32_f16_e32 v16, v16
	v_mul_f32_e32 v16, s33, v16
	s_delay_alu instid0(VALU_DEP_1)
	v_fma_mixlo_f16 v15, s30, v15, v16
	v_add_nc_u64_e32 v[16:17], s[18:19], v[20:21]
	global_store_b16 v[22:23], v15, off offset:64
	global_load_u16 v15, v[24:25], off offset:96
	v_add_nc_u64_e32 v[16:17], v[16:17], v[8:9]
	s_wait_loadcnt 0x0
	v_cvt_f32_f16_e32 v15, v15
	s_delay_alu instid0(VALU_DEP_1) | instskip(NEXT) | instid1(VALU_DEP_1)
	v_mul_f32_e32 v15, s33, v15
	v_fma_mixlo_f16 v14, s30, v14, v15
	global_store_b16 v[22:23], v14, off offset:96
	global_load_u16 v14, v[16:17], off
	s_wait_loadcnt 0x0
	v_cvt_f32_f16_e32 v20, v14
	v_add_nc_u64_e32 v[14:15], s[16:17], v[18:19]
	s_delay_alu instid0(VALU_DEP_2) | instskip(NEXT) | instid1(VALU_DEP_2)
	v_mul_f32_e32 v18, s33, v20
	v_add_nc_u64_e32 v[14:15], v[14:15], v[8:9]
	s_delay_alu instid0(VALU_DEP_2) | instskip(SKIP_4) | instid1(VALU_DEP_1)
	v_fma_mixlo_f16 v13, s30, v13, v18
	global_store_b16 v[14:15], v13, off
	global_load_u16 v13, v[16:17], off offset:32
	s_wait_loadcnt 0x0
	v_cvt_f32_f16_e32 v13, v13
	v_mul_f32_e32 v13, s33, v13
	s_delay_alu instid0(VALU_DEP_1) | instskip(SKIP_4) | instid1(VALU_DEP_1)
	v_fma_mixlo_f16 v12, s30, v12, v13
	global_store_b16 v[14:15], v12, off offset:32
	global_load_u16 v12, v[16:17], off offset:64
	s_wait_loadcnt 0x0
	v_cvt_f32_f16_e32 v12, v12
	v_mul_f32_e32 v12, s33, v12
	s_delay_alu instid0(VALU_DEP_1) | instskip(SKIP_4) | instid1(VALU_DEP_1)
	v_fma_mixlo_f16 v11, s30, v11, v12
	global_store_b16 v[14:15], v11, off offset:64
	global_load_u16 v11, v[16:17], off offset:96
	s_wait_loadcnt 0x0
	v_cvt_f32_f16_e32 v11, v11
	v_mul_f32_e32 v11, s33, v11
	s_delay_alu instid0(VALU_DEP_1)
	v_fma_mixlo_f16 v10, s30, v10, v11
	global_store_b16 v[14:15], v10, off offset:96
	s_branch .LBB365_2
.LBB365_10:
	s_sendmsg sendmsg(MSG_DEALLOC_VGPRS)
	s_endpgm
	.section	.rodata,"a",@progbits
	.p2align	6, 0x0
	.amdhsa_kernel _ZN12_GLOBAL__N_127rocblas_gemm_batched_kernelIfLi16ELi16ELi64ELi64ELi4ELi64ELi4ELi4ELi64ELc78ELc84EKDF16_S1_DF16_EEvlllT_PT11_llS4_llS2_PT12_llPT13_lli
		.amdhsa_group_segment_fixed_size 2048
		.amdhsa_private_segment_fixed_size 0
		.amdhsa_kernarg_size 140
		.amdhsa_user_sgpr_count 2
		.amdhsa_user_sgpr_dispatch_ptr 0
		.amdhsa_user_sgpr_queue_ptr 0
		.amdhsa_user_sgpr_kernarg_segment_ptr 1
		.amdhsa_user_sgpr_dispatch_id 0
		.amdhsa_user_sgpr_kernarg_preload_length 0
		.amdhsa_user_sgpr_kernarg_preload_offset 0
		.amdhsa_user_sgpr_private_segment_size 0
		.amdhsa_wavefront_size32 1
		.amdhsa_uses_dynamic_stack 0
		.amdhsa_enable_private_segment 0
		.amdhsa_system_sgpr_workgroup_id_x 1
		.amdhsa_system_sgpr_workgroup_id_y 1
		.amdhsa_system_sgpr_workgroup_id_z 1
		.amdhsa_system_sgpr_workgroup_info 0
		.amdhsa_system_vgpr_workitem_id 1
		.amdhsa_next_free_vgpr 74
		.amdhsa_next_free_sgpr 38
		.amdhsa_named_barrier_count 0
		.amdhsa_reserve_vcc 1
		.amdhsa_float_round_mode_32 0
		.amdhsa_float_round_mode_16_64 0
		.amdhsa_float_denorm_mode_32 3
		.amdhsa_float_denorm_mode_16_64 3
		.amdhsa_fp16_overflow 0
		.amdhsa_memory_ordered 1
		.amdhsa_forward_progress 1
		.amdhsa_inst_pref_size 20
		.amdhsa_round_robin_scheduling 0
		.amdhsa_exception_fp_ieee_invalid_op 0
		.amdhsa_exception_fp_denorm_src 0
		.amdhsa_exception_fp_ieee_div_zero 0
		.amdhsa_exception_fp_ieee_overflow 0
		.amdhsa_exception_fp_ieee_underflow 0
		.amdhsa_exception_fp_ieee_inexact 0
		.amdhsa_exception_int_div_zero 0
	.end_amdhsa_kernel
	.section	.text._ZN12_GLOBAL__N_127rocblas_gemm_batched_kernelIfLi16ELi16ELi64ELi64ELi4ELi64ELi4ELi4ELi64ELc78ELc84EKDF16_S1_DF16_EEvlllT_PT11_llS4_llS2_PT12_llPT13_lli,"axG",@progbits,_ZN12_GLOBAL__N_127rocblas_gemm_batched_kernelIfLi16ELi16ELi64ELi64ELi4ELi64ELi4ELi4ELi64ELc78ELc84EKDF16_S1_DF16_EEvlllT_PT11_llS4_llS2_PT12_llPT13_lli,comdat
.Lfunc_end365:
	.size	_ZN12_GLOBAL__N_127rocblas_gemm_batched_kernelIfLi16ELi16ELi64ELi64ELi4ELi64ELi4ELi4ELi64ELc78ELc84EKDF16_S1_DF16_EEvlllT_PT11_llS4_llS2_PT12_llPT13_lli, .Lfunc_end365-_ZN12_GLOBAL__N_127rocblas_gemm_batched_kernelIfLi16ELi16ELi64ELi64ELi4ELi64ELi4ELi4ELi64ELc78ELc84EKDF16_S1_DF16_EEvlllT_PT11_llS4_llS2_PT12_llPT13_lli
                                        ; -- End function
	.set _ZN12_GLOBAL__N_127rocblas_gemm_batched_kernelIfLi16ELi16ELi64ELi64ELi4ELi64ELi4ELi4ELi64ELc78ELc84EKDF16_S1_DF16_EEvlllT_PT11_llS4_llS2_PT12_llPT13_lli.num_vgpr, 74
	.set _ZN12_GLOBAL__N_127rocblas_gemm_batched_kernelIfLi16ELi16ELi64ELi64ELi4ELi64ELi4ELi4ELi64ELc78ELc84EKDF16_S1_DF16_EEvlllT_PT11_llS4_llS2_PT12_llPT13_lli.num_agpr, 0
	.set _ZN12_GLOBAL__N_127rocblas_gemm_batched_kernelIfLi16ELi16ELi64ELi64ELi4ELi64ELi4ELi4ELi64ELc78ELc84EKDF16_S1_DF16_EEvlllT_PT11_llS4_llS2_PT12_llPT13_lli.numbered_sgpr, 38
	.set _ZN12_GLOBAL__N_127rocblas_gemm_batched_kernelIfLi16ELi16ELi64ELi64ELi4ELi64ELi4ELi4ELi64ELc78ELc84EKDF16_S1_DF16_EEvlllT_PT11_llS4_llS2_PT12_llPT13_lli.num_named_barrier, 0
	.set _ZN12_GLOBAL__N_127rocblas_gemm_batched_kernelIfLi16ELi16ELi64ELi64ELi4ELi64ELi4ELi4ELi64ELc78ELc84EKDF16_S1_DF16_EEvlllT_PT11_llS4_llS2_PT12_llPT13_lli.private_seg_size, 0
	.set _ZN12_GLOBAL__N_127rocblas_gemm_batched_kernelIfLi16ELi16ELi64ELi64ELi4ELi64ELi4ELi4ELi64ELc78ELc84EKDF16_S1_DF16_EEvlllT_PT11_llS4_llS2_PT12_llPT13_lli.uses_vcc, 1
	.set _ZN12_GLOBAL__N_127rocblas_gemm_batched_kernelIfLi16ELi16ELi64ELi64ELi4ELi64ELi4ELi4ELi64ELc78ELc84EKDF16_S1_DF16_EEvlllT_PT11_llS4_llS2_PT12_llPT13_lli.uses_flat_scratch, 0
	.set _ZN12_GLOBAL__N_127rocblas_gemm_batched_kernelIfLi16ELi16ELi64ELi64ELi4ELi64ELi4ELi4ELi64ELc78ELc84EKDF16_S1_DF16_EEvlllT_PT11_llS4_llS2_PT12_llPT13_lli.has_dyn_sized_stack, 0
	.set _ZN12_GLOBAL__N_127rocblas_gemm_batched_kernelIfLi16ELi16ELi64ELi64ELi4ELi64ELi4ELi4ELi64ELc78ELc84EKDF16_S1_DF16_EEvlllT_PT11_llS4_llS2_PT12_llPT13_lli.has_recursion, 0
	.set _ZN12_GLOBAL__N_127rocblas_gemm_batched_kernelIfLi16ELi16ELi64ELi64ELi4ELi64ELi4ELi4ELi64ELc78ELc84EKDF16_S1_DF16_EEvlllT_PT11_llS4_llS2_PT12_llPT13_lli.has_indirect_call, 0
	.section	.AMDGPU.csdata,"",@progbits
; Kernel info:
; codeLenInByte = 2536
; TotalNumSgprs: 40
; NumVgprs: 74
; ScratchSize: 0
; MemoryBound: 0
; FloatMode: 240
; IeeeMode: 1
; LDSByteSize: 2048 bytes/workgroup (compile time only)
; SGPRBlocks: 0
; VGPRBlocks: 4
; NumSGPRsForWavesPerEU: 40
; NumVGPRsForWavesPerEU: 74
; NamedBarCnt: 0
; Occupancy: 12
; WaveLimiterHint : 0
; COMPUTE_PGM_RSRC2:SCRATCH_EN: 0
; COMPUTE_PGM_RSRC2:USER_SGPR: 2
; COMPUTE_PGM_RSRC2:TRAP_HANDLER: 0
; COMPUTE_PGM_RSRC2:TGID_X_EN: 1
; COMPUTE_PGM_RSRC2:TGID_Y_EN: 1
; COMPUTE_PGM_RSRC2:TGID_Z_EN: 1
; COMPUTE_PGM_RSRC2:TIDIG_COMP_CNT: 1
	.section	.text._ZN12_GLOBAL__N_127rocblas_gemm_batched_kernelIfLi16ELi16ELi64ELi64ELi4ELi64ELi4ELi4ELi64ELc84ELc84EKDF16_S1_DF16_EEvlllT_PT11_llS4_llS2_PT12_llPT13_lli,"axG",@progbits,_ZN12_GLOBAL__N_127rocblas_gemm_batched_kernelIfLi16ELi16ELi64ELi64ELi4ELi64ELi4ELi4ELi64ELc84ELc84EKDF16_S1_DF16_EEvlllT_PT11_llS4_llS2_PT12_llPT13_lli,comdat
	.globl	_ZN12_GLOBAL__N_127rocblas_gemm_batched_kernelIfLi16ELi16ELi64ELi64ELi4ELi64ELi4ELi4ELi64ELc84ELc84EKDF16_S1_DF16_EEvlllT_PT11_llS4_llS2_PT12_llPT13_lli ; -- Begin function _ZN12_GLOBAL__N_127rocblas_gemm_batched_kernelIfLi16ELi16ELi64ELi64ELi4ELi64ELi4ELi4ELi64ELc84ELc84EKDF16_S1_DF16_EEvlllT_PT11_llS4_llS2_PT12_llPT13_lli
	.p2align	8
	.type	_ZN12_GLOBAL__N_127rocblas_gemm_batched_kernelIfLi16ELi16ELi64ELi64ELi4ELi64ELi4ELi4ELi64ELc84ELc84EKDF16_S1_DF16_EEvlllT_PT11_llS4_llS2_PT12_llPT13_lli,@function
_ZN12_GLOBAL__N_127rocblas_gemm_batched_kernelIfLi16ELi16ELi64ELi64ELi4ELi64ELi4ELi4ELi64ELc84ELc84EKDF16_S1_DF16_EEvlllT_PT11_llS4_llS2_PT12_llPT13_lli: ; @_ZN12_GLOBAL__N_127rocblas_gemm_batched_kernelIfLi16ELi16ELi64ELi64ELi4ELi64ELi4ELi4ELi64ELc84ELc84EKDF16_S1_DF16_EEvlllT_PT11_llS4_llS2_PT12_llPT13_lli
; %bb.0:
	s_load_b32 s31, s[0:1], 0x88
	s_bfe_u32 s2, ttmp6, 0x40014
	s_lshr_b32 s3, ttmp7, 16
	s_add_co_i32 s2, s2, 1
	s_bfe_u32 s4, ttmp6, 0x40008
	s_mul_i32 s2, s3, s2
	s_getreg_b32 s20, hwreg(HW_REG_IB_STS2, 6, 4)
	s_add_co_i32 s4, s4, s2
	s_cmp_eq_u32 s20, 0
	s_cselect_b32 s2, s3, s4
	s_mov_b32 s3, 0
	s_wait_kmcnt 0x0
	s_cmp_ge_i32 s2, s31
	s_cbranch_scc1 .LBB366_10
; %bb.1:
	s_bfe_u32 s21, ttmp6, 0x4000c
	s_bfe_u32 s23, ttmp6, 0x40010
	s_add_co_i32 s21, s21, 1
	s_and_b32 s28, ttmp7, 0xffff
	s_add_co_i32 s23, s23, 1
	v_bfe_u32 v4, v0, 10, 10
	s_and_b32 s22, ttmp6, 15
	s_mul_i32 s21, ttmp9, s21
	s_mul_i32 s23, s28, s23
	s_bfe_u32 s29, ttmp6, 0x40004
	s_add_co_i32 s22, s22, s21
	s_add_co_i32 s29, s29, s23
	s_cmp_eq_u32 s20, 0
	v_and_b32_e32 v2, 0x3ff, v0
	v_dual_mov_b32 v5, 0 :: v_dual_lshlrev_b32 v16, 4, v4
	s_cselect_b32 s20, ttmp9, s22
	s_clause 0x2
	s_load_b256 s[12:19], s[0:1], 0x20
	s_load_b128 s[24:27], s[0:1], 0x40
	s_load_b256 s[4:11], s[0:1], 0x58
	s_cselect_b32 s22, s28, s29
	s_ashr_i32 s21, s20, 31
	s_lshl_b32 s34, s22, 6
	s_lshl_b64 s[36:37], s[20:21], 6
	v_add_nc_u32_e32 v1, v16, v2
	s_load_b128 s[20:23], s[0:1], 0x78
	s_mov_b32 s35, s3
	v_mov_b32_e32 v9, s37
	v_add_nc_u64_e32 v[6:7], s[34:35], v[4:5]
	v_and_b32_e32 v3, 63, v1
	s_clause 0x1
	s_load_b32 s33, s[0:1], 0x50
	s_load_b96 s[28:30], s[0:1], 0x10
	v_add_nc_u32_e32 v33, 0x400, v16
	v_dual_lshlrev_b32 v32, 2, v2 :: v_dual_bitop2_b32 v8, s36, v3 bitop3:0x54
	v_dual_lshrrev_b32 v10, 2, v1 :: v_dual_bitop2_b32 v4, 3, v0 bitop3:0x40
	v_mov_b32_e32 v11, v5
	s_wait_kmcnt 0x0
	s_delay_alu instid0(VALU_DEP_3)
	v_mul_u64_e32 v[8:9], s[14:15], v[8:9]
	v_mul_u64_e32 v[12:13], s[6:7], v[6:7]
	v_lshlrev_b32_e32 v17, 2, v4
	v_mad_nc_u64_u32 v[14:15], s24, v4, v[10:11]
	v_lshrrev_b32_e32 v11, 6, v1
	v_mul_u64_e32 v[0:1], s[20:21], v[6:7]
	v_dual_mov_b32 v3, v5 :: v_dual_lshlrev_b32 v6, 2, v3
	s_cmp_eq_f32 s33, 0
	v_cmp_gt_i64_e64 s0, s[28:29], 0
	s_delay_alu instid0(VALU_DEP_2)
	v_lshl_or_b32 v30, v11, 8, v6
	v_mad_u32 v15, s25, v4, v15
	v_lshl_or_b32 v4, v10, 4, v17
	s_cselect_b32 s1, -1, 0
	s_lshl_b64 s[14:15], s[20:21], 4
	s_lshl_b64 s[20:21], s[6:7], 4
	;; [unrolled: 1-line block ×3, first 2 shown]
	v_add_nc_u32_e32 v31, 0x400, v4
	v_lshlrev_b32_e32 v4, 1, v11
	v_add_nc_u64_e32 v[10:11], s[36:37], v[2:3]
	s_lshl_b64 s[14:15], s[14:15], 1
	v_add_nc_u64_e32 v[6:7], s[34:35], v[14:15]
	s_delay_alu instid0(VALU_DEP_3) | instskip(SKIP_2) | instid1(VALU_DEP_4)
	v_lshl_add_u64 v[8:9], v[8:9], 1, v[4:5]
	v_lshl_add_u64 v[2:3], v[12:13], 1, s[4:5]
	v_cndmask_b32_e64 v12, 0, 1, s0
	v_lshl_add_u64 v[4:5], v[6:7], 1, s[18:19]
	s_lshl_b64 s[4:5], s[26:27], 1
	v_add_nc_u64_e32 v[6:7], s[12:13], v[8:9]
	v_lshlrev_b64_e32 v[8:9], 1, v[10:11]
	v_cmp_ne_u32_e64 s0, 1, v12
	s_lshl_b64 s[12:13], s[16:17], 1
	s_lshl_b64 s[16:17], s[20:21], 1
	s_branch .LBB366_3
.LBB366_2:                              ;   in Loop: Header=BB366_3 Depth=1
	s_add_co_i32 s2, s2, 0x10000
	s_delay_alu instid0(SALU_CYCLE_1)
	s_cmp_lt_i32 s2, s31
	s_cbranch_scc0 .LBB366_10
.LBB366_3:                              ; =>This Loop Header: Depth=1
                                        ;     Child Loop BB366_5 Depth 2
	v_dual_mov_b32 v25, 0 :: v_dual_mov_b32 v24, 0
	v_dual_mov_b32 v23, 0 :: v_dual_mov_b32 v22, 0
	;; [unrolled: 1-line block ×4, first 2 shown]
	s_wait_xcnt 0x1
	v_dual_mov_b32 v17, 0 :: v_dual_mov_b32 v16, 0
	s_wait_xcnt 0x0
	v_dual_mov_b32 v15, 0 :: v_dual_mov_b32 v14, 0
	v_dual_mov_b32 v13, 0 :: v_dual_mov_b32 v12, 0
	;; [unrolled: 1-line block ×3, first 2 shown]
	s_and_b32 vcc_lo, exec_lo, s0
	s_cbranch_vccnz .LBB366_6
; %bb.4:                                ;   in Loop: Header=BB366_3 Depth=1
	v_mad_nc_u64_u32 v[26:27], s4, s2, v[4:5]
	v_mad_nc_u64_u32 v[28:29], s12, s2, v[6:7]
	v_mov_b32_e32 v10, 0
	s_mov_b64 s[18:19], 0
	s_delay_alu instid0(VALU_DEP_1)
	v_dual_mov_b32 v11, v10 :: v_dual_mov_b32 v12, v10
	v_dual_mov_b32 v13, v10 :: v_dual_mov_b32 v14, v10
	v_mad_u32 v27, s5, s2, v27
	v_mad_u32 v29, s13, s2, v29
	v_dual_mov_b32 v15, v10 :: v_dual_mov_b32 v16, v10
	v_dual_mov_b32 v17, v10 :: v_dual_mov_b32 v18, v10
	;; [unrolled: 1-line block ×5, first 2 shown]
	v_mov_b32_e32 v25, v10
.LBB366_5:                              ;   Parent Loop BB366_3 Depth=1
                                        ; =>  This Inner Loop Header: Depth=2
	global_load_u16 v34, v[28:29], off
	global_load_u16 v35, v[26:27], off
	s_add_nc_u64 s[18:19], s[18:19], 4
	s_wait_xcnt 0x0
	v_add_nc_u64_e32 v[26:27], s[6:7], v[26:27]
	v_cmp_lt_i64_e64 s20, s[18:19], s[28:29]
	v_add_nc_u64_e32 v[28:29], 8, v[28:29]
	s_and_b32 vcc_lo, exec_lo, s20
	s_wait_loadcnt 0x1
	v_cvt_f32_f16_e32 v34, v34
	s_wait_loadcnt 0x0
	v_cvt_f32_f16_e32 v35, v35
	ds_store_b32 v30, v34
	ds_store_b32 v31, v35
	s_wait_dscnt 0x0
	s_barrier_signal -1
	s_barrier_wait -1
	ds_load_2addr_b32 v[50:51], v32 offset1:16
	ds_load_2addr_b32 v[52:53], v32 offset0:64 offset1:80
	ds_load_2addr_b32 v[54:55], v32 offset0:128 offset1:144
	;; [unrolled: 1-line block ×6, first 2 shown]
	ds_load_b128 v[34:37], v33
	ds_load_b128 v[38:41], v33 offset:256
	ds_load_2addr_b32 v[64:65], v32 offset0:224 offset1:240
	ds_load_b128 v[42:45], v33 offset:512
	ds_load_b128 v[46:49], v33 offset:768
	s_wait_dscnt 0x0
	s_barrier_signal -1
	s_barrier_wait -1
	v_dual_mov_b32 v66, v51 :: v_dual_mov_b32 v67, v50
	v_dual_mov_b32 v50, v53 :: v_dual_mov_b32 v51, v52
	;; [unrolled: 1-line block ×6, first 2 shown]
	v_pk_fma_f32 v[24:25], v[66:67], v[34:35], v[24:25] op_sel_hi:[1,0,1]
	v_pk_fma_f32 v[20:21], v[66:67], v[38:39], v[20:21] op_sel_hi:[1,0,1]
	s_delay_alu instid0(VALU_DEP_4)
	v_pk_fma_f32 v[22:23], v[56:57], v[34:35], v[22:23] op_sel_hi:[1,0,1]
	v_pk_fma_f32 v[16:17], v[66:67], v[42:43], v[16:17] op_sel_hi:[1,0,1]
	;; [unrolled: 1-line block ×6, first 2 shown]
	v_dual_mov_b32 v60, v63 :: v_dual_mov_b32 v61, v62
	v_pk_fma_f32 v[24:25], v[50:51], v[34:35], v[24:25] op_sel:[0,1,0]
	v_pk_fma_f32 v[22:23], v[58:59], v[34:35], v[22:23] op_sel:[0,1,0]
	;; [unrolled: 1-line block ×8, first 2 shown]
	v_dual_mov_b32 v62, v37 :: v_dual_mov_b32 v68, v65
	v_dual_mov_b32 v69, v64 :: v_dual_mov_b32 v64, v41
	v_dual_mov_b32 v70, v45 :: v_dual_mov_b32 v72, v49
	v_pk_fma_f32 v[24:25], v[52:53], v[36:37], v[24:25] op_sel_hi:[1,0,1]
	v_pk_fma_f32 v[22:23], v[60:61], v[36:37], v[22:23] op_sel_hi:[1,0,1]
	;; [unrolled: 1-line block ×16, first 2 shown]
	s_cbranch_vccnz .LBB366_5
.LBB366_6:                              ;   in Loop: Header=BB366_3 Depth=1
	s_mul_u64 s[18:19], s[22:23], s[2:3]
	s_and_not1_b32 vcc_lo, exec_lo, s1
	s_lshl_b64 s[18:19], s[18:19], 1
	s_delay_alu instid0(SALU_CYCLE_1) | instskip(NEXT) | instid1(SALU_CYCLE_1)
	s_add_nc_u64 s[18:19], s[10:11], s[18:19]
	v_lshl_add_u64 v[26:27], v[0:1], 1, s[18:19]
	s_delay_alu instid0(VALU_DEP_1)
	v_add_nc_u64_e32 v[28:29], v[26:27], v[8:9]
	v_add_nc_u64_e32 v[26:27], s[14:15], v[26:27]
	s_cbranch_vccnz .LBB366_8
; %bb.7:                                ;   in Loop: Header=BB366_3 Depth=1
	v_fma_mixlo_f16 v36, s30, v25, 0
	v_fma_mixlo_f16 v37, s30, v24, 0
	s_delay_alu instid0(VALU_DEP_3)
	v_add_nc_u64_e32 v[34:35], s[14:15], v[26:27]
	v_fma_mixlo_f16 v38, s30, v23, 0
	v_fma_mixlo_f16 v39, s30, v22, 0
	s_clause 0x3
	global_store_b16 v[28:29], v36, off
	global_store_b16 v[28:29], v37, off offset:32
	global_store_b16 v[28:29], v38, off offset:64
	;; [unrolled: 1-line block ×3, first 2 shown]
	s_wait_xcnt 0x2
	v_add_nc_u64_e32 v[36:37], v[26:27], v[8:9]
	v_fma_mixlo_f16 v40, s30, v21, 0
	v_fma_mixlo_f16 v41, s30, v20, 0
	s_wait_xcnt 0x0
	v_add_nc_u64_e32 v[38:39], v[34:35], v[8:9]
	v_add_nc_u64_e32 v[34:35], s[14:15], v[34:35]
	v_fma_mixlo_f16 v42, s30, v19, 0
	v_fma_mixlo_f16 v43, s30, v18, 0
	s_clause 0x3
	global_store_b16 v[36:37], v40, off
	global_store_b16 v[36:37], v41, off offset:32
	global_store_b16 v[36:37], v42, off offset:64
	;; [unrolled: 1-line block ×3, first 2 shown]
	s_wait_xcnt 0x0
	v_fma_mixlo_f16 v36, s30, v17, 0
	v_fma_mixlo_f16 v37, s30, v16, 0
	;; [unrolled: 1-line block ×4, first 2 shown]
	v_add_nc_u64_e32 v[34:35], v[34:35], v[8:9]
	s_clause 0x3
	global_store_b16 v[38:39], v36, off
	global_store_b16 v[38:39], v37, off offset:32
	global_store_b16 v[38:39], v40, off offset:64
	;; [unrolled: 1-line block ×3, first 2 shown]
	s_wait_xcnt 0x3
	v_fma_mixlo_f16 v36, s30, v13, 0
	s_wait_xcnt 0x2
	v_fma_mixlo_f16 v37, s30, v12, 0
	;; [unrolled: 2-line block ×3, first 2 shown]
	v_fma_mixlo_f16 v39, s30, v10, 0
	s_clause 0x3
	global_store_b16 v[34:35], v36, off
	global_store_b16 v[34:35], v37, off offset:32
	global_store_b16 v[34:35], v38, off offset:64
	;; [unrolled: 1-line block ×3, first 2 shown]
	s_cbranch_execnz .LBB366_2
	s_branch .LBB366_9
.LBB366_8:                              ;   in Loop: Header=BB366_3 Depth=1
.LBB366_9:                              ;   in Loop: Header=BB366_3 Depth=1
	s_mul_u64 s[18:19], s[8:9], s[2:3]
	s_wait_xcnt 0x0
	v_lshl_add_u64 v[34:35], s[18:19], 1, v[2:3]
	s_delay_alu instid0(VALU_DEP_1) | instskip(SKIP_3) | instid1(VALU_DEP_1)
	v_add_nc_u64_e32 v[36:37], v[34:35], v[8:9]
	global_load_u16 v38, v[36:37], off
	s_wait_loadcnt 0x0
	v_cvt_f32_f16_e32 v38, v38
	v_mul_f32_e32 v38, s33, v38
	s_delay_alu instid0(VALU_DEP_1) | instskip(SKIP_4) | instid1(VALU_DEP_1)
	v_fma_mixlo_f16 v25, s30, v25, v38
	global_store_b16 v[28:29], v25, off
	global_load_u16 v25, v[36:37], off offset:32
	s_wait_loadcnt 0x0
	v_cvt_f32_f16_e32 v25, v25
	v_mul_f32_e32 v25, s33, v25
	s_delay_alu instid0(VALU_DEP_1) | instskip(SKIP_4) | instid1(VALU_DEP_1)
	v_fma_mixlo_f16 v24, s30, v24, v25
	global_store_b16 v[28:29], v24, off offset:32
	global_load_u16 v24, v[36:37], off offset:64
	s_wait_loadcnt 0x0
	v_cvt_f32_f16_e32 v24, v24
	v_mul_f32_e32 v24, s33, v24
	s_delay_alu instid0(VALU_DEP_1)
	v_fma_mixlo_f16 v23, s30, v23, v24
	v_add_nc_u64_e32 v[24:25], s[16:17], v[34:35]
	global_store_b16 v[28:29], v23, off offset:64
	global_load_u16 v23, v[36:37], off offset:96
	v_add_nc_u64_e32 v[34:35], v[24:25], v[8:9]
	s_wait_loadcnt 0x0
	v_cvt_f32_f16_e32 v23, v23
	s_delay_alu instid0(VALU_DEP_1) | instskip(NEXT) | instid1(VALU_DEP_1)
	v_mul_f32_e32 v23, s33, v23
	v_fma_mixlo_f16 v22, s30, v22, v23
	global_store_b16 v[28:29], v22, off offset:96
	global_load_u16 v22, v[34:35], off
	s_wait_loadcnt 0x0
	v_cvt_f32_f16_e32 v22, v22
	s_delay_alu instid0(VALU_DEP_1) | instskip(SKIP_1) | instid1(VALU_DEP_2)
	v_mul_f32_e32 v28, s33, v22
	v_add_nc_u64_e32 v[22:23], v[26:27], v[8:9]
	v_fma_mixlo_f16 v21, s30, v21, v28
	global_store_b16 v[22:23], v21, off
	global_load_u16 v21, v[34:35], off offset:32
	s_wait_loadcnt 0x0
	v_cvt_f32_f16_e32 v21, v21
	s_delay_alu instid0(VALU_DEP_1) | instskip(NEXT) | instid1(VALU_DEP_1)
	v_mul_f32_e32 v21, s33, v21
	v_fma_mixlo_f16 v20, s30, v20, v21
	global_store_b16 v[22:23], v20, off offset:32
	global_load_u16 v20, v[34:35], off offset:64
	s_wait_loadcnt 0x0
	v_cvt_f32_f16_e32 v20, v20
	s_delay_alu instid0(VALU_DEP_1) | instskip(NEXT) | instid1(VALU_DEP_1)
	v_mul_f32_e32 v20, s33, v20
	v_fma_mixlo_f16 v19, s30, v19, v20
	v_add_nc_u64_e32 v[20:21], s[16:17], v[24:25]
	global_store_b16 v[22:23], v19, off offset:64
	global_load_u16 v19, v[34:35], off offset:96
	v_add_nc_u64_e32 v[24:25], v[20:21], v[8:9]
	s_wait_loadcnt 0x0
	v_cvt_f32_f16_e32 v19, v19
	s_delay_alu instid0(VALU_DEP_1) | instskip(NEXT) | instid1(VALU_DEP_1)
	v_mul_f32_e32 v19, s33, v19
	v_fma_mixlo_f16 v18, s30, v18, v19
	global_store_b16 v[22:23], v18, off offset:96
	global_load_u16 v18, v[24:25], off
	s_wait_loadcnt 0x0
	v_cvt_f32_f16_e32 v22, v18
	v_add_nc_u64_e32 v[18:19], s[14:15], v[26:27]
	s_delay_alu instid0(VALU_DEP_2) | instskip(NEXT) | instid1(VALU_DEP_2)
	v_mul_f32_e32 v26, s33, v22
	v_add_nc_u64_e32 v[22:23], v[18:19], v[8:9]
	s_delay_alu instid0(VALU_DEP_2) | instskip(SKIP_4) | instid1(VALU_DEP_1)
	v_fma_mixlo_f16 v17, s30, v17, v26
	global_store_b16 v[22:23], v17, off
	global_load_u16 v17, v[24:25], off offset:32
	s_wait_loadcnt 0x0
	v_cvt_f32_f16_e32 v17, v17
	v_mul_f32_e32 v17, s33, v17
	s_delay_alu instid0(VALU_DEP_1) | instskip(SKIP_4) | instid1(VALU_DEP_1)
	v_fma_mixlo_f16 v16, s30, v16, v17
	global_store_b16 v[22:23], v16, off offset:32
	global_load_u16 v16, v[24:25], off offset:64
	s_wait_loadcnt 0x0
	v_cvt_f32_f16_e32 v16, v16
	v_mul_f32_e32 v16, s33, v16
	s_delay_alu instid0(VALU_DEP_1)
	v_fma_mixlo_f16 v15, s30, v15, v16
	v_add_nc_u64_e32 v[16:17], s[16:17], v[20:21]
	global_store_b16 v[22:23], v15, off offset:64
	global_load_u16 v15, v[24:25], off offset:96
	v_add_nc_u64_e32 v[16:17], v[16:17], v[8:9]
	s_wait_loadcnt 0x0
	v_cvt_f32_f16_e32 v15, v15
	s_delay_alu instid0(VALU_DEP_1) | instskip(NEXT) | instid1(VALU_DEP_1)
	v_mul_f32_e32 v15, s33, v15
	v_fma_mixlo_f16 v14, s30, v14, v15
	global_store_b16 v[22:23], v14, off offset:96
	global_load_u16 v14, v[16:17], off
	s_wait_loadcnt 0x0
	v_cvt_f32_f16_e32 v20, v14
	v_add_nc_u64_e32 v[14:15], s[14:15], v[18:19]
	s_delay_alu instid0(VALU_DEP_2) | instskip(NEXT) | instid1(VALU_DEP_2)
	v_mul_f32_e32 v18, s33, v20
	v_add_nc_u64_e32 v[14:15], v[14:15], v[8:9]
	s_delay_alu instid0(VALU_DEP_2) | instskip(SKIP_4) | instid1(VALU_DEP_1)
	v_fma_mixlo_f16 v13, s30, v13, v18
	global_store_b16 v[14:15], v13, off
	global_load_u16 v13, v[16:17], off offset:32
	s_wait_loadcnt 0x0
	v_cvt_f32_f16_e32 v13, v13
	v_mul_f32_e32 v13, s33, v13
	s_delay_alu instid0(VALU_DEP_1) | instskip(SKIP_4) | instid1(VALU_DEP_1)
	v_fma_mixlo_f16 v12, s30, v12, v13
	global_store_b16 v[14:15], v12, off offset:32
	global_load_u16 v12, v[16:17], off offset:64
	s_wait_loadcnt 0x0
	v_cvt_f32_f16_e32 v12, v12
	v_mul_f32_e32 v12, s33, v12
	s_delay_alu instid0(VALU_DEP_1) | instskip(SKIP_4) | instid1(VALU_DEP_1)
	v_fma_mixlo_f16 v11, s30, v11, v12
	global_store_b16 v[14:15], v11, off offset:64
	global_load_u16 v11, v[16:17], off offset:96
	s_wait_loadcnt 0x0
	v_cvt_f32_f16_e32 v11, v11
	v_mul_f32_e32 v11, s33, v11
	s_delay_alu instid0(VALU_DEP_1)
	v_fma_mixlo_f16 v10, s30, v10, v11
	global_store_b16 v[14:15], v10, off offset:96
	s_branch .LBB366_2
.LBB366_10:
	s_sendmsg sendmsg(MSG_DEALLOC_VGPRS)
	s_endpgm
	.section	.rodata,"a",@progbits
	.p2align	6, 0x0
	.amdhsa_kernel _ZN12_GLOBAL__N_127rocblas_gemm_batched_kernelIfLi16ELi16ELi64ELi64ELi4ELi64ELi4ELi4ELi64ELc84ELc84EKDF16_S1_DF16_EEvlllT_PT11_llS4_llS2_PT12_llPT13_lli
		.amdhsa_group_segment_fixed_size 2048
		.amdhsa_private_segment_fixed_size 0
		.amdhsa_kernarg_size 140
		.amdhsa_user_sgpr_count 2
		.amdhsa_user_sgpr_dispatch_ptr 0
		.amdhsa_user_sgpr_queue_ptr 0
		.amdhsa_user_sgpr_kernarg_segment_ptr 1
		.amdhsa_user_sgpr_dispatch_id 0
		.amdhsa_user_sgpr_kernarg_preload_length 0
		.amdhsa_user_sgpr_kernarg_preload_offset 0
		.amdhsa_user_sgpr_private_segment_size 0
		.amdhsa_wavefront_size32 1
		.amdhsa_uses_dynamic_stack 0
		.amdhsa_enable_private_segment 0
		.amdhsa_system_sgpr_workgroup_id_x 1
		.amdhsa_system_sgpr_workgroup_id_y 1
		.amdhsa_system_sgpr_workgroup_id_z 1
		.amdhsa_system_sgpr_workgroup_info 0
		.amdhsa_system_vgpr_workitem_id 1
		.amdhsa_next_free_vgpr 74
		.amdhsa_next_free_sgpr 38
		.amdhsa_named_barrier_count 0
		.amdhsa_reserve_vcc 1
		.amdhsa_float_round_mode_32 0
		.amdhsa_float_round_mode_16_64 0
		.amdhsa_float_denorm_mode_32 3
		.amdhsa_float_denorm_mode_16_64 3
		.amdhsa_fp16_overflow 0
		.amdhsa_memory_ordered 1
		.amdhsa_forward_progress 1
		.amdhsa_inst_pref_size 20
		.amdhsa_round_robin_scheduling 0
		.amdhsa_exception_fp_ieee_invalid_op 0
		.amdhsa_exception_fp_denorm_src 0
		.amdhsa_exception_fp_ieee_div_zero 0
		.amdhsa_exception_fp_ieee_overflow 0
		.amdhsa_exception_fp_ieee_underflow 0
		.amdhsa_exception_fp_ieee_inexact 0
		.amdhsa_exception_int_div_zero 0
	.end_amdhsa_kernel
	.section	.text._ZN12_GLOBAL__N_127rocblas_gemm_batched_kernelIfLi16ELi16ELi64ELi64ELi4ELi64ELi4ELi4ELi64ELc84ELc84EKDF16_S1_DF16_EEvlllT_PT11_llS4_llS2_PT12_llPT13_lli,"axG",@progbits,_ZN12_GLOBAL__N_127rocblas_gemm_batched_kernelIfLi16ELi16ELi64ELi64ELi4ELi64ELi4ELi4ELi64ELc84ELc84EKDF16_S1_DF16_EEvlllT_PT11_llS4_llS2_PT12_llPT13_lli,comdat
.Lfunc_end366:
	.size	_ZN12_GLOBAL__N_127rocblas_gemm_batched_kernelIfLi16ELi16ELi64ELi64ELi4ELi64ELi4ELi4ELi64ELc84ELc84EKDF16_S1_DF16_EEvlllT_PT11_llS4_llS2_PT12_llPT13_lli, .Lfunc_end366-_ZN12_GLOBAL__N_127rocblas_gemm_batched_kernelIfLi16ELi16ELi64ELi64ELi4ELi64ELi4ELi4ELi64ELc84ELc84EKDF16_S1_DF16_EEvlllT_PT11_llS4_llS2_PT12_llPT13_lli
                                        ; -- End function
	.set _ZN12_GLOBAL__N_127rocblas_gemm_batched_kernelIfLi16ELi16ELi64ELi64ELi4ELi64ELi4ELi4ELi64ELc84ELc84EKDF16_S1_DF16_EEvlllT_PT11_llS4_llS2_PT12_llPT13_lli.num_vgpr, 74
	.set _ZN12_GLOBAL__N_127rocblas_gemm_batched_kernelIfLi16ELi16ELi64ELi64ELi4ELi64ELi4ELi4ELi64ELc84ELc84EKDF16_S1_DF16_EEvlllT_PT11_llS4_llS2_PT12_llPT13_lli.num_agpr, 0
	.set _ZN12_GLOBAL__N_127rocblas_gemm_batched_kernelIfLi16ELi16ELi64ELi64ELi4ELi64ELi4ELi4ELi64ELc84ELc84EKDF16_S1_DF16_EEvlllT_PT11_llS4_llS2_PT12_llPT13_lli.numbered_sgpr, 38
	.set _ZN12_GLOBAL__N_127rocblas_gemm_batched_kernelIfLi16ELi16ELi64ELi64ELi4ELi64ELi4ELi4ELi64ELc84ELc84EKDF16_S1_DF16_EEvlllT_PT11_llS4_llS2_PT12_llPT13_lli.num_named_barrier, 0
	.set _ZN12_GLOBAL__N_127rocblas_gemm_batched_kernelIfLi16ELi16ELi64ELi64ELi4ELi64ELi4ELi4ELi64ELc84ELc84EKDF16_S1_DF16_EEvlllT_PT11_llS4_llS2_PT12_llPT13_lli.private_seg_size, 0
	.set _ZN12_GLOBAL__N_127rocblas_gemm_batched_kernelIfLi16ELi16ELi64ELi64ELi4ELi64ELi4ELi4ELi64ELc84ELc84EKDF16_S1_DF16_EEvlllT_PT11_llS4_llS2_PT12_llPT13_lli.uses_vcc, 1
	.set _ZN12_GLOBAL__N_127rocblas_gemm_batched_kernelIfLi16ELi16ELi64ELi64ELi4ELi64ELi4ELi4ELi64ELc84ELc84EKDF16_S1_DF16_EEvlllT_PT11_llS4_llS2_PT12_llPT13_lli.uses_flat_scratch, 0
	.set _ZN12_GLOBAL__N_127rocblas_gemm_batched_kernelIfLi16ELi16ELi64ELi64ELi4ELi64ELi4ELi4ELi64ELc84ELc84EKDF16_S1_DF16_EEvlllT_PT11_llS4_llS2_PT12_llPT13_lli.has_dyn_sized_stack, 0
	.set _ZN12_GLOBAL__N_127rocblas_gemm_batched_kernelIfLi16ELi16ELi64ELi64ELi4ELi64ELi4ELi4ELi64ELc84ELc84EKDF16_S1_DF16_EEvlllT_PT11_llS4_llS2_PT12_llPT13_lli.has_recursion, 0
	.set _ZN12_GLOBAL__N_127rocblas_gemm_batched_kernelIfLi16ELi16ELi64ELi64ELi4ELi64ELi4ELi4ELi64ELc84ELc84EKDF16_S1_DF16_EEvlllT_PT11_llS4_llS2_PT12_llPT13_lli.has_indirect_call, 0
	.section	.AMDGPU.csdata,"",@progbits
; Kernel info:
; codeLenInByte = 2532
; TotalNumSgprs: 40
; NumVgprs: 74
; ScratchSize: 0
; MemoryBound: 0
; FloatMode: 240
; IeeeMode: 1
; LDSByteSize: 2048 bytes/workgroup (compile time only)
; SGPRBlocks: 0
; VGPRBlocks: 4
; NumSGPRsForWavesPerEU: 40
; NumVGPRsForWavesPerEU: 74
; NamedBarCnt: 0
; Occupancy: 12
; WaveLimiterHint : 0
; COMPUTE_PGM_RSRC2:SCRATCH_EN: 0
; COMPUTE_PGM_RSRC2:USER_SGPR: 2
; COMPUTE_PGM_RSRC2:TRAP_HANDLER: 0
; COMPUTE_PGM_RSRC2:TGID_X_EN: 1
; COMPUTE_PGM_RSRC2:TGID_Y_EN: 1
; COMPUTE_PGM_RSRC2:TGID_Z_EN: 1
; COMPUTE_PGM_RSRC2:TIDIG_COMP_CNT: 1
	.section	.text._ZN12_GLOBAL__N_127rocblas_gemm_batched_kernelIfLi16ELi16ELi64ELi64ELi4ELi64ELi4ELi4ELi64ELc67ELc67EKDF16_S1_DF16_EEvlllT_PT11_llS4_llS2_PT12_llPT13_lli,"axG",@progbits,_ZN12_GLOBAL__N_127rocblas_gemm_batched_kernelIfLi16ELi16ELi64ELi64ELi4ELi64ELi4ELi4ELi64ELc67ELc67EKDF16_S1_DF16_EEvlllT_PT11_llS4_llS2_PT12_llPT13_lli,comdat
	.globl	_ZN12_GLOBAL__N_127rocblas_gemm_batched_kernelIfLi16ELi16ELi64ELi64ELi4ELi64ELi4ELi4ELi64ELc67ELc67EKDF16_S1_DF16_EEvlllT_PT11_llS4_llS2_PT12_llPT13_lli ; -- Begin function _ZN12_GLOBAL__N_127rocblas_gemm_batched_kernelIfLi16ELi16ELi64ELi64ELi4ELi64ELi4ELi4ELi64ELc67ELc67EKDF16_S1_DF16_EEvlllT_PT11_llS4_llS2_PT12_llPT13_lli
	.p2align	8
	.type	_ZN12_GLOBAL__N_127rocblas_gemm_batched_kernelIfLi16ELi16ELi64ELi64ELi4ELi64ELi4ELi4ELi64ELc67ELc67EKDF16_S1_DF16_EEvlllT_PT11_llS4_llS2_PT12_llPT13_lli,@function
_ZN12_GLOBAL__N_127rocblas_gemm_batched_kernelIfLi16ELi16ELi64ELi64ELi4ELi64ELi4ELi4ELi64ELc67ELc67EKDF16_S1_DF16_EEvlllT_PT11_llS4_llS2_PT12_llPT13_lli: ; @_ZN12_GLOBAL__N_127rocblas_gemm_batched_kernelIfLi16ELi16ELi64ELi64ELi4ELi64ELi4ELi4ELi64ELc67ELc67EKDF16_S1_DF16_EEvlllT_PT11_llS4_llS2_PT12_llPT13_lli
; %bb.0:
	s_load_b32 s31, s[0:1], 0x88
	s_bfe_u32 s2, ttmp6, 0x40014
	s_lshr_b32 s3, ttmp7, 16
	s_add_co_i32 s2, s2, 1
	s_bfe_u32 s4, ttmp6, 0x40008
	s_mul_i32 s2, s3, s2
	s_getreg_b32 s20, hwreg(HW_REG_IB_STS2, 6, 4)
	s_add_co_i32 s4, s4, s2
	s_cmp_eq_u32 s20, 0
	s_cselect_b32 s2, s3, s4
	s_mov_b32 s3, 0
	s_wait_kmcnt 0x0
	s_cmp_ge_i32 s2, s31
	s_cbranch_scc1 .LBB367_10
; %bb.1:
	s_bfe_u32 s21, ttmp6, 0x4000c
	s_bfe_u32 s23, ttmp6, 0x40010
	s_add_co_i32 s21, s21, 1
	s_and_b32 s28, ttmp7, 0xffff
	s_add_co_i32 s23, s23, 1
	v_bfe_u32 v4, v0, 10, 10
	s_and_b32 s22, ttmp6, 15
	s_mul_i32 s21, ttmp9, s21
	s_mul_i32 s23, s28, s23
	s_bfe_u32 s29, ttmp6, 0x40004
	s_add_co_i32 s22, s22, s21
	s_add_co_i32 s29, s29, s23
	s_cmp_eq_u32 s20, 0
	v_and_b32_e32 v2, 0x3ff, v0
	v_dual_mov_b32 v5, 0 :: v_dual_lshlrev_b32 v16, 4, v4
	s_cselect_b32 s20, ttmp9, s22
	s_clause 0x2
	s_load_b256 s[12:19], s[0:1], 0x20
	s_load_b128 s[24:27], s[0:1], 0x40
	s_load_b256 s[4:11], s[0:1], 0x58
	s_cselect_b32 s22, s28, s29
	s_ashr_i32 s21, s20, 31
	s_lshl_b32 s34, s22, 6
	s_lshl_b64 s[36:37], s[20:21], 6
	v_add_nc_u32_e32 v1, v16, v2
	s_load_b128 s[20:23], s[0:1], 0x78
	s_mov_b32 s35, s3
	v_mov_b32_e32 v9, s37
	v_add_nc_u64_e32 v[6:7], s[34:35], v[4:5]
	v_and_b32_e32 v3, 63, v1
	s_clause 0x1
	s_load_b32 s33, s[0:1], 0x50
	s_load_b96 s[28:30], s[0:1], 0x10
	v_add_nc_u32_e32 v33, 0x400, v16
	v_dual_lshlrev_b32 v32, 2, v2 :: v_dual_bitop2_b32 v8, s36, v3 bitop3:0x54
	v_dual_lshrrev_b32 v10, 2, v1 :: v_dual_bitop2_b32 v4, 3, v0 bitop3:0x40
	v_mov_b32_e32 v11, v5
	s_wait_kmcnt 0x0
	s_delay_alu instid0(VALU_DEP_3)
	v_mul_u64_e32 v[8:9], s[14:15], v[8:9]
	v_mul_u64_e32 v[12:13], s[6:7], v[6:7]
	v_lshlrev_b32_e32 v17, 2, v4
	v_mad_nc_u64_u32 v[14:15], s24, v4, v[10:11]
	v_lshrrev_b32_e32 v11, 6, v1
	v_mul_u64_e32 v[0:1], s[20:21], v[6:7]
	v_dual_mov_b32 v3, v5 :: v_dual_lshlrev_b32 v6, 2, v3
	s_cmp_eq_f32 s33, 0
	v_cmp_gt_i64_e64 s0, s[28:29], 0
	s_delay_alu instid0(VALU_DEP_2)
	v_lshl_or_b32 v30, v11, 8, v6
	v_mad_u32 v15, s25, v4, v15
	v_lshl_or_b32 v4, v10, 4, v17
	s_cselect_b32 s1, -1, 0
	s_lshl_b64 s[14:15], s[20:21], 4
	s_lshl_b64 s[20:21], s[6:7], 4
	;; [unrolled: 1-line block ×3, first 2 shown]
	v_add_nc_u32_e32 v31, 0x400, v4
	v_lshlrev_b32_e32 v4, 1, v11
	v_add_nc_u64_e32 v[10:11], s[36:37], v[2:3]
	s_lshl_b64 s[14:15], s[14:15], 1
	v_add_nc_u64_e32 v[6:7], s[34:35], v[14:15]
	s_delay_alu instid0(VALU_DEP_3) | instskip(SKIP_2) | instid1(VALU_DEP_4)
	v_lshl_add_u64 v[8:9], v[8:9], 1, v[4:5]
	v_lshl_add_u64 v[2:3], v[12:13], 1, s[4:5]
	v_cndmask_b32_e64 v12, 0, 1, s0
	v_lshl_add_u64 v[4:5], v[6:7], 1, s[18:19]
	s_lshl_b64 s[4:5], s[26:27], 1
	v_add_nc_u64_e32 v[6:7], s[12:13], v[8:9]
	v_lshlrev_b64_e32 v[8:9], 1, v[10:11]
	v_cmp_ne_u32_e64 s0, 1, v12
	s_lshl_b64 s[12:13], s[16:17], 1
	s_lshl_b64 s[16:17], s[20:21], 1
	s_branch .LBB367_3
.LBB367_2:                              ;   in Loop: Header=BB367_3 Depth=1
	s_add_co_i32 s2, s2, 0x10000
	s_delay_alu instid0(SALU_CYCLE_1)
	s_cmp_lt_i32 s2, s31
	s_cbranch_scc0 .LBB367_10
.LBB367_3:                              ; =>This Loop Header: Depth=1
                                        ;     Child Loop BB367_5 Depth 2
	v_dual_mov_b32 v25, 0 :: v_dual_mov_b32 v24, 0
	v_dual_mov_b32 v23, 0 :: v_dual_mov_b32 v22, 0
	;; [unrolled: 1-line block ×4, first 2 shown]
	s_wait_xcnt 0x1
	v_dual_mov_b32 v17, 0 :: v_dual_mov_b32 v16, 0
	s_wait_xcnt 0x0
	v_dual_mov_b32 v15, 0 :: v_dual_mov_b32 v14, 0
	v_dual_mov_b32 v13, 0 :: v_dual_mov_b32 v12, 0
	;; [unrolled: 1-line block ×3, first 2 shown]
	s_and_b32 vcc_lo, exec_lo, s0
	s_cbranch_vccnz .LBB367_6
; %bb.4:                                ;   in Loop: Header=BB367_3 Depth=1
	v_mad_nc_u64_u32 v[26:27], s4, s2, v[4:5]
	v_mad_nc_u64_u32 v[28:29], s12, s2, v[6:7]
	v_mov_b32_e32 v10, 0
	s_mov_b64 s[18:19], 0
	s_delay_alu instid0(VALU_DEP_1)
	v_dual_mov_b32 v11, v10 :: v_dual_mov_b32 v12, v10
	v_dual_mov_b32 v13, v10 :: v_dual_mov_b32 v14, v10
	v_mad_u32 v27, s5, s2, v27
	v_mad_u32 v29, s13, s2, v29
	v_dual_mov_b32 v15, v10 :: v_dual_mov_b32 v16, v10
	v_dual_mov_b32 v17, v10 :: v_dual_mov_b32 v18, v10
	;; [unrolled: 1-line block ×5, first 2 shown]
	v_mov_b32_e32 v25, v10
.LBB367_5:                              ;   Parent Loop BB367_3 Depth=1
                                        ; =>  This Inner Loop Header: Depth=2
	global_load_u16 v34, v[28:29], off
	global_load_u16 v35, v[26:27], off
	s_add_nc_u64 s[18:19], s[18:19], 4
	s_wait_xcnt 0x0
	v_add_nc_u64_e32 v[26:27], s[6:7], v[26:27]
	v_cmp_lt_i64_e64 s20, s[18:19], s[28:29]
	v_add_nc_u64_e32 v[28:29], 8, v[28:29]
	s_and_b32 vcc_lo, exec_lo, s20
	s_wait_loadcnt 0x1
	v_cvt_f32_f16_e32 v34, v34
	s_wait_loadcnt 0x0
	v_cvt_f32_f16_e32 v35, v35
	ds_store_b32 v30, v34
	ds_store_b32 v31, v35
	s_wait_dscnt 0x0
	s_barrier_signal -1
	s_barrier_wait -1
	ds_load_2addr_b32 v[50:51], v32 offset1:16
	ds_load_2addr_b32 v[52:53], v32 offset0:64 offset1:80
	ds_load_2addr_b32 v[54:55], v32 offset0:128 offset1:144
	;; [unrolled: 1-line block ×6, first 2 shown]
	ds_load_b128 v[34:37], v33
	ds_load_b128 v[38:41], v33 offset:256
	ds_load_2addr_b32 v[64:65], v32 offset0:224 offset1:240
	ds_load_b128 v[42:45], v33 offset:512
	ds_load_b128 v[46:49], v33 offset:768
	s_wait_dscnt 0x0
	s_barrier_signal -1
	s_barrier_wait -1
	v_dual_mov_b32 v66, v51 :: v_dual_mov_b32 v67, v50
	v_dual_mov_b32 v50, v53 :: v_dual_mov_b32 v51, v52
	;; [unrolled: 1-line block ×6, first 2 shown]
	v_pk_fma_f32 v[24:25], v[66:67], v[34:35], v[24:25] op_sel_hi:[1,0,1]
	v_pk_fma_f32 v[20:21], v[66:67], v[38:39], v[20:21] op_sel_hi:[1,0,1]
	s_delay_alu instid0(VALU_DEP_4)
	v_pk_fma_f32 v[22:23], v[56:57], v[34:35], v[22:23] op_sel_hi:[1,0,1]
	v_pk_fma_f32 v[16:17], v[66:67], v[42:43], v[16:17] op_sel_hi:[1,0,1]
	;; [unrolled: 1-line block ×6, first 2 shown]
	v_dual_mov_b32 v60, v63 :: v_dual_mov_b32 v61, v62
	v_pk_fma_f32 v[24:25], v[50:51], v[34:35], v[24:25] op_sel:[0,1,0]
	v_pk_fma_f32 v[22:23], v[58:59], v[34:35], v[22:23] op_sel:[0,1,0]
	;; [unrolled: 1-line block ×8, first 2 shown]
	v_dual_mov_b32 v62, v37 :: v_dual_mov_b32 v68, v65
	v_dual_mov_b32 v69, v64 :: v_dual_mov_b32 v64, v41
	;; [unrolled: 1-line block ×3, first 2 shown]
	v_pk_fma_f32 v[24:25], v[52:53], v[36:37], v[24:25] op_sel_hi:[1,0,1]
	v_pk_fma_f32 v[22:23], v[60:61], v[36:37], v[22:23] op_sel_hi:[1,0,1]
	;; [unrolled: 1-line block ×16, first 2 shown]
	s_cbranch_vccnz .LBB367_5
.LBB367_6:                              ;   in Loop: Header=BB367_3 Depth=1
	s_mul_u64 s[18:19], s[22:23], s[2:3]
	s_and_not1_b32 vcc_lo, exec_lo, s1
	s_lshl_b64 s[18:19], s[18:19], 1
	s_delay_alu instid0(SALU_CYCLE_1) | instskip(NEXT) | instid1(SALU_CYCLE_1)
	s_add_nc_u64 s[18:19], s[10:11], s[18:19]
	v_lshl_add_u64 v[26:27], v[0:1], 1, s[18:19]
	s_delay_alu instid0(VALU_DEP_1)
	v_add_nc_u64_e32 v[28:29], v[26:27], v[8:9]
	v_add_nc_u64_e32 v[26:27], s[14:15], v[26:27]
	s_cbranch_vccnz .LBB367_8
; %bb.7:                                ;   in Loop: Header=BB367_3 Depth=1
	v_fma_mixlo_f16 v36, s30, v25, 0
	v_fma_mixlo_f16 v37, s30, v24, 0
	s_delay_alu instid0(VALU_DEP_3)
	v_add_nc_u64_e32 v[34:35], s[14:15], v[26:27]
	v_fma_mixlo_f16 v38, s30, v23, 0
	v_fma_mixlo_f16 v39, s30, v22, 0
	s_clause 0x3
	global_store_b16 v[28:29], v36, off
	global_store_b16 v[28:29], v37, off offset:32
	global_store_b16 v[28:29], v38, off offset:64
	;; [unrolled: 1-line block ×3, first 2 shown]
	s_wait_xcnt 0x2
	v_add_nc_u64_e32 v[36:37], v[26:27], v[8:9]
	v_fma_mixlo_f16 v40, s30, v21, 0
	v_fma_mixlo_f16 v41, s30, v20, 0
	s_wait_xcnt 0x0
	v_add_nc_u64_e32 v[38:39], v[34:35], v[8:9]
	v_add_nc_u64_e32 v[34:35], s[14:15], v[34:35]
	v_fma_mixlo_f16 v42, s30, v19, 0
	v_fma_mixlo_f16 v43, s30, v18, 0
	s_clause 0x3
	global_store_b16 v[36:37], v40, off
	global_store_b16 v[36:37], v41, off offset:32
	global_store_b16 v[36:37], v42, off offset:64
	;; [unrolled: 1-line block ×3, first 2 shown]
	s_wait_xcnt 0x0
	v_fma_mixlo_f16 v36, s30, v17, 0
	v_fma_mixlo_f16 v37, s30, v16, 0
	v_fma_mixlo_f16 v40, s30, v15, 0
	v_fma_mixlo_f16 v41, s30, v14, 0
	v_add_nc_u64_e32 v[34:35], v[34:35], v[8:9]
	s_clause 0x3
	global_store_b16 v[38:39], v36, off
	global_store_b16 v[38:39], v37, off offset:32
	global_store_b16 v[38:39], v40, off offset:64
	;; [unrolled: 1-line block ×3, first 2 shown]
	s_wait_xcnt 0x3
	v_fma_mixlo_f16 v36, s30, v13, 0
	s_wait_xcnt 0x2
	v_fma_mixlo_f16 v37, s30, v12, 0
	;; [unrolled: 2-line block ×3, first 2 shown]
	v_fma_mixlo_f16 v39, s30, v10, 0
	s_clause 0x3
	global_store_b16 v[34:35], v36, off
	global_store_b16 v[34:35], v37, off offset:32
	global_store_b16 v[34:35], v38, off offset:64
	;; [unrolled: 1-line block ×3, first 2 shown]
	s_cbranch_execnz .LBB367_2
	s_branch .LBB367_9
.LBB367_8:                              ;   in Loop: Header=BB367_3 Depth=1
.LBB367_9:                              ;   in Loop: Header=BB367_3 Depth=1
	s_mul_u64 s[18:19], s[8:9], s[2:3]
	s_wait_xcnt 0x0
	v_lshl_add_u64 v[34:35], s[18:19], 1, v[2:3]
	s_delay_alu instid0(VALU_DEP_1) | instskip(SKIP_3) | instid1(VALU_DEP_1)
	v_add_nc_u64_e32 v[36:37], v[34:35], v[8:9]
	global_load_u16 v38, v[36:37], off
	s_wait_loadcnt 0x0
	v_cvt_f32_f16_e32 v38, v38
	v_mul_f32_e32 v38, s33, v38
	s_delay_alu instid0(VALU_DEP_1) | instskip(SKIP_4) | instid1(VALU_DEP_1)
	v_fma_mixlo_f16 v25, s30, v25, v38
	global_store_b16 v[28:29], v25, off
	global_load_u16 v25, v[36:37], off offset:32
	s_wait_loadcnt 0x0
	v_cvt_f32_f16_e32 v25, v25
	v_mul_f32_e32 v25, s33, v25
	s_delay_alu instid0(VALU_DEP_1) | instskip(SKIP_4) | instid1(VALU_DEP_1)
	v_fma_mixlo_f16 v24, s30, v24, v25
	global_store_b16 v[28:29], v24, off offset:32
	global_load_u16 v24, v[36:37], off offset:64
	s_wait_loadcnt 0x0
	v_cvt_f32_f16_e32 v24, v24
	v_mul_f32_e32 v24, s33, v24
	s_delay_alu instid0(VALU_DEP_1)
	v_fma_mixlo_f16 v23, s30, v23, v24
	v_add_nc_u64_e32 v[24:25], s[16:17], v[34:35]
	global_store_b16 v[28:29], v23, off offset:64
	global_load_u16 v23, v[36:37], off offset:96
	v_add_nc_u64_e32 v[34:35], v[24:25], v[8:9]
	s_wait_loadcnt 0x0
	v_cvt_f32_f16_e32 v23, v23
	s_delay_alu instid0(VALU_DEP_1) | instskip(NEXT) | instid1(VALU_DEP_1)
	v_mul_f32_e32 v23, s33, v23
	v_fma_mixlo_f16 v22, s30, v22, v23
	global_store_b16 v[28:29], v22, off offset:96
	global_load_u16 v22, v[34:35], off
	s_wait_loadcnt 0x0
	v_cvt_f32_f16_e32 v22, v22
	s_delay_alu instid0(VALU_DEP_1) | instskip(SKIP_1) | instid1(VALU_DEP_2)
	v_mul_f32_e32 v28, s33, v22
	v_add_nc_u64_e32 v[22:23], v[26:27], v[8:9]
	v_fma_mixlo_f16 v21, s30, v21, v28
	global_store_b16 v[22:23], v21, off
	global_load_u16 v21, v[34:35], off offset:32
	s_wait_loadcnt 0x0
	v_cvt_f32_f16_e32 v21, v21
	s_delay_alu instid0(VALU_DEP_1) | instskip(NEXT) | instid1(VALU_DEP_1)
	v_mul_f32_e32 v21, s33, v21
	v_fma_mixlo_f16 v20, s30, v20, v21
	global_store_b16 v[22:23], v20, off offset:32
	global_load_u16 v20, v[34:35], off offset:64
	s_wait_loadcnt 0x0
	v_cvt_f32_f16_e32 v20, v20
	s_delay_alu instid0(VALU_DEP_1) | instskip(NEXT) | instid1(VALU_DEP_1)
	v_mul_f32_e32 v20, s33, v20
	v_fma_mixlo_f16 v19, s30, v19, v20
	v_add_nc_u64_e32 v[20:21], s[16:17], v[24:25]
	global_store_b16 v[22:23], v19, off offset:64
	global_load_u16 v19, v[34:35], off offset:96
	v_add_nc_u64_e32 v[24:25], v[20:21], v[8:9]
	s_wait_loadcnt 0x0
	v_cvt_f32_f16_e32 v19, v19
	s_delay_alu instid0(VALU_DEP_1) | instskip(NEXT) | instid1(VALU_DEP_1)
	v_mul_f32_e32 v19, s33, v19
	v_fma_mixlo_f16 v18, s30, v18, v19
	global_store_b16 v[22:23], v18, off offset:96
	global_load_u16 v18, v[24:25], off
	s_wait_loadcnt 0x0
	v_cvt_f32_f16_e32 v22, v18
	v_add_nc_u64_e32 v[18:19], s[14:15], v[26:27]
	s_delay_alu instid0(VALU_DEP_2) | instskip(NEXT) | instid1(VALU_DEP_2)
	v_mul_f32_e32 v26, s33, v22
	v_add_nc_u64_e32 v[22:23], v[18:19], v[8:9]
	s_delay_alu instid0(VALU_DEP_2) | instskip(SKIP_4) | instid1(VALU_DEP_1)
	v_fma_mixlo_f16 v17, s30, v17, v26
	global_store_b16 v[22:23], v17, off
	global_load_u16 v17, v[24:25], off offset:32
	s_wait_loadcnt 0x0
	v_cvt_f32_f16_e32 v17, v17
	v_mul_f32_e32 v17, s33, v17
	s_delay_alu instid0(VALU_DEP_1) | instskip(SKIP_4) | instid1(VALU_DEP_1)
	v_fma_mixlo_f16 v16, s30, v16, v17
	global_store_b16 v[22:23], v16, off offset:32
	global_load_u16 v16, v[24:25], off offset:64
	s_wait_loadcnt 0x0
	v_cvt_f32_f16_e32 v16, v16
	v_mul_f32_e32 v16, s33, v16
	s_delay_alu instid0(VALU_DEP_1)
	v_fma_mixlo_f16 v15, s30, v15, v16
	v_add_nc_u64_e32 v[16:17], s[16:17], v[20:21]
	global_store_b16 v[22:23], v15, off offset:64
	global_load_u16 v15, v[24:25], off offset:96
	v_add_nc_u64_e32 v[16:17], v[16:17], v[8:9]
	s_wait_loadcnt 0x0
	v_cvt_f32_f16_e32 v15, v15
	s_delay_alu instid0(VALU_DEP_1) | instskip(NEXT) | instid1(VALU_DEP_1)
	v_mul_f32_e32 v15, s33, v15
	v_fma_mixlo_f16 v14, s30, v14, v15
	global_store_b16 v[22:23], v14, off offset:96
	global_load_u16 v14, v[16:17], off
	s_wait_loadcnt 0x0
	v_cvt_f32_f16_e32 v20, v14
	v_add_nc_u64_e32 v[14:15], s[14:15], v[18:19]
	s_delay_alu instid0(VALU_DEP_2) | instskip(NEXT) | instid1(VALU_DEP_2)
	v_mul_f32_e32 v18, s33, v20
	v_add_nc_u64_e32 v[14:15], v[14:15], v[8:9]
	s_delay_alu instid0(VALU_DEP_2) | instskip(SKIP_4) | instid1(VALU_DEP_1)
	v_fma_mixlo_f16 v13, s30, v13, v18
	global_store_b16 v[14:15], v13, off
	global_load_u16 v13, v[16:17], off offset:32
	s_wait_loadcnt 0x0
	v_cvt_f32_f16_e32 v13, v13
	v_mul_f32_e32 v13, s33, v13
	s_delay_alu instid0(VALU_DEP_1) | instskip(SKIP_4) | instid1(VALU_DEP_1)
	v_fma_mixlo_f16 v12, s30, v12, v13
	global_store_b16 v[14:15], v12, off offset:32
	global_load_u16 v12, v[16:17], off offset:64
	s_wait_loadcnt 0x0
	v_cvt_f32_f16_e32 v12, v12
	v_mul_f32_e32 v12, s33, v12
	s_delay_alu instid0(VALU_DEP_1) | instskip(SKIP_4) | instid1(VALU_DEP_1)
	v_fma_mixlo_f16 v11, s30, v11, v12
	global_store_b16 v[14:15], v11, off offset:64
	global_load_u16 v11, v[16:17], off offset:96
	s_wait_loadcnt 0x0
	v_cvt_f32_f16_e32 v11, v11
	v_mul_f32_e32 v11, s33, v11
	s_delay_alu instid0(VALU_DEP_1)
	v_fma_mixlo_f16 v10, s30, v10, v11
	global_store_b16 v[14:15], v10, off offset:96
	s_branch .LBB367_2
.LBB367_10:
	s_sendmsg sendmsg(MSG_DEALLOC_VGPRS)
	s_endpgm
	.section	.rodata,"a",@progbits
	.p2align	6, 0x0
	.amdhsa_kernel _ZN12_GLOBAL__N_127rocblas_gemm_batched_kernelIfLi16ELi16ELi64ELi64ELi4ELi64ELi4ELi4ELi64ELc67ELc67EKDF16_S1_DF16_EEvlllT_PT11_llS4_llS2_PT12_llPT13_lli
		.amdhsa_group_segment_fixed_size 2048
		.amdhsa_private_segment_fixed_size 0
		.amdhsa_kernarg_size 140
		.amdhsa_user_sgpr_count 2
		.amdhsa_user_sgpr_dispatch_ptr 0
		.amdhsa_user_sgpr_queue_ptr 0
		.amdhsa_user_sgpr_kernarg_segment_ptr 1
		.amdhsa_user_sgpr_dispatch_id 0
		.amdhsa_user_sgpr_kernarg_preload_length 0
		.amdhsa_user_sgpr_kernarg_preload_offset 0
		.amdhsa_user_sgpr_private_segment_size 0
		.amdhsa_wavefront_size32 1
		.amdhsa_uses_dynamic_stack 0
		.amdhsa_enable_private_segment 0
		.amdhsa_system_sgpr_workgroup_id_x 1
		.amdhsa_system_sgpr_workgroup_id_y 1
		.amdhsa_system_sgpr_workgroup_id_z 1
		.amdhsa_system_sgpr_workgroup_info 0
		.amdhsa_system_vgpr_workitem_id 1
		.amdhsa_next_free_vgpr 74
		.amdhsa_next_free_sgpr 38
		.amdhsa_named_barrier_count 0
		.amdhsa_reserve_vcc 1
		.amdhsa_float_round_mode_32 0
		.amdhsa_float_round_mode_16_64 0
		.amdhsa_float_denorm_mode_32 3
		.amdhsa_float_denorm_mode_16_64 3
		.amdhsa_fp16_overflow 0
		.amdhsa_memory_ordered 1
		.amdhsa_forward_progress 1
		.amdhsa_inst_pref_size 20
		.amdhsa_round_robin_scheduling 0
		.amdhsa_exception_fp_ieee_invalid_op 0
		.amdhsa_exception_fp_denorm_src 0
		.amdhsa_exception_fp_ieee_div_zero 0
		.amdhsa_exception_fp_ieee_overflow 0
		.amdhsa_exception_fp_ieee_underflow 0
		.amdhsa_exception_fp_ieee_inexact 0
		.amdhsa_exception_int_div_zero 0
	.end_amdhsa_kernel
	.section	.text._ZN12_GLOBAL__N_127rocblas_gemm_batched_kernelIfLi16ELi16ELi64ELi64ELi4ELi64ELi4ELi4ELi64ELc67ELc67EKDF16_S1_DF16_EEvlllT_PT11_llS4_llS2_PT12_llPT13_lli,"axG",@progbits,_ZN12_GLOBAL__N_127rocblas_gemm_batched_kernelIfLi16ELi16ELi64ELi64ELi4ELi64ELi4ELi4ELi64ELc67ELc67EKDF16_S1_DF16_EEvlllT_PT11_llS4_llS2_PT12_llPT13_lli,comdat
.Lfunc_end367:
	.size	_ZN12_GLOBAL__N_127rocblas_gemm_batched_kernelIfLi16ELi16ELi64ELi64ELi4ELi64ELi4ELi4ELi64ELc67ELc67EKDF16_S1_DF16_EEvlllT_PT11_llS4_llS2_PT12_llPT13_lli, .Lfunc_end367-_ZN12_GLOBAL__N_127rocblas_gemm_batched_kernelIfLi16ELi16ELi64ELi64ELi4ELi64ELi4ELi4ELi64ELc67ELc67EKDF16_S1_DF16_EEvlllT_PT11_llS4_llS2_PT12_llPT13_lli
                                        ; -- End function
	.set _ZN12_GLOBAL__N_127rocblas_gemm_batched_kernelIfLi16ELi16ELi64ELi64ELi4ELi64ELi4ELi4ELi64ELc67ELc67EKDF16_S1_DF16_EEvlllT_PT11_llS4_llS2_PT12_llPT13_lli.num_vgpr, 74
	.set _ZN12_GLOBAL__N_127rocblas_gemm_batched_kernelIfLi16ELi16ELi64ELi64ELi4ELi64ELi4ELi4ELi64ELc67ELc67EKDF16_S1_DF16_EEvlllT_PT11_llS4_llS2_PT12_llPT13_lli.num_agpr, 0
	.set _ZN12_GLOBAL__N_127rocblas_gemm_batched_kernelIfLi16ELi16ELi64ELi64ELi4ELi64ELi4ELi4ELi64ELc67ELc67EKDF16_S1_DF16_EEvlllT_PT11_llS4_llS2_PT12_llPT13_lli.numbered_sgpr, 38
	.set _ZN12_GLOBAL__N_127rocblas_gemm_batched_kernelIfLi16ELi16ELi64ELi64ELi4ELi64ELi4ELi4ELi64ELc67ELc67EKDF16_S1_DF16_EEvlllT_PT11_llS4_llS2_PT12_llPT13_lli.num_named_barrier, 0
	.set _ZN12_GLOBAL__N_127rocblas_gemm_batched_kernelIfLi16ELi16ELi64ELi64ELi4ELi64ELi4ELi4ELi64ELc67ELc67EKDF16_S1_DF16_EEvlllT_PT11_llS4_llS2_PT12_llPT13_lli.private_seg_size, 0
	.set _ZN12_GLOBAL__N_127rocblas_gemm_batched_kernelIfLi16ELi16ELi64ELi64ELi4ELi64ELi4ELi4ELi64ELc67ELc67EKDF16_S1_DF16_EEvlllT_PT11_llS4_llS2_PT12_llPT13_lli.uses_vcc, 1
	.set _ZN12_GLOBAL__N_127rocblas_gemm_batched_kernelIfLi16ELi16ELi64ELi64ELi4ELi64ELi4ELi4ELi64ELc67ELc67EKDF16_S1_DF16_EEvlllT_PT11_llS4_llS2_PT12_llPT13_lli.uses_flat_scratch, 0
	.set _ZN12_GLOBAL__N_127rocblas_gemm_batched_kernelIfLi16ELi16ELi64ELi64ELi4ELi64ELi4ELi4ELi64ELc67ELc67EKDF16_S1_DF16_EEvlllT_PT11_llS4_llS2_PT12_llPT13_lli.has_dyn_sized_stack, 0
	.set _ZN12_GLOBAL__N_127rocblas_gemm_batched_kernelIfLi16ELi16ELi64ELi64ELi4ELi64ELi4ELi4ELi64ELc67ELc67EKDF16_S1_DF16_EEvlllT_PT11_llS4_llS2_PT12_llPT13_lli.has_recursion, 0
	.set _ZN12_GLOBAL__N_127rocblas_gemm_batched_kernelIfLi16ELi16ELi64ELi64ELi4ELi64ELi4ELi4ELi64ELc67ELc67EKDF16_S1_DF16_EEvlllT_PT11_llS4_llS2_PT12_llPT13_lli.has_indirect_call, 0
	.section	.AMDGPU.csdata,"",@progbits
; Kernel info:
; codeLenInByte = 2532
; TotalNumSgprs: 40
; NumVgprs: 74
; ScratchSize: 0
; MemoryBound: 0
; FloatMode: 240
; IeeeMode: 1
; LDSByteSize: 2048 bytes/workgroup (compile time only)
; SGPRBlocks: 0
; VGPRBlocks: 4
; NumSGPRsForWavesPerEU: 40
; NumVGPRsForWavesPerEU: 74
; NamedBarCnt: 0
; Occupancy: 12
; WaveLimiterHint : 0
; COMPUTE_PGM_RSRC2:SCRATCH_EN: 0
; COMPUTE_PGM_RSRC2:USER_SGPR: 2
; COMPUTE_PGM_RSRC2:TRAP_HANDLER: 0
; COMPUTE_PGM_RSRC2:TGID_X_EN: 1
; COMPUTE_PGM_RSRC2:TGID_Y_EN: 1
; COMPUTE_PGM_RSRC2:TGID_Z_EN: 1
; COMPUTE_PGM_RSRC2:TIDIG_COMP_CNT: 1
	.section	.text._ZN12_GLOBAL__N_127rocblas_gemm_batched_kernelIfLi16ELi16ELi64ELi64ELi4ELi64ELi4ELi4ELi64ELc67ELc78EKDF16_S1_DF16_EEvlllT_PT11_llS4_llS2_PT12_llPT13_lli,"axG",@progbits,_ZN12_GLOBAL__N_127rocblas_gemm_batched_kernelIfLi16ELi16ELi64ELi64ELi4ELi64ELi4ELi4ELi64ELc67ELc78EKDF16_S1_DF16_EEvlllT_PT11_llS4_llS2_PT12_llPT13_lli,comdat
	.globl	_ZN12_GLOBAL__N_127rocblas_gemm_batched_kernelIfLi16ELi16ELi64ELi64ELi4ELi64ELi4ELi4ELi64ELc67ELc78EKDF16_S1_DF16_EEvlllT_PT11_llS4_llS2_PT12_llPT13_lli ; -- Begin function _ZN12_GLOBAL__N_127rocblas_gemm_batched_kernelIfLi16ELi16ELi64ELi64ELi4ELi64ELi4ELi4ELi64ELc67ELc78EKDF16_S1_DF16_EEvlllT_PT11_llS4_llS2_PT12_llPT13_lli
	.p2align	8
	.type	_ZN12_GLOBAL__N_127rocblas_gemm_batched_kernelIfLi16ELi16ELi64ELi64ELi4ELi64ELi4ELi4ELi64ELc67ELc78EKDF16_S1_DF16_EEvlllT_PT11_llS4_llS2_PT12_llPT13_lli,@function
_ZN12_GLOBAL__N_127rocblas_gemm_batched_kernelIfLi16ELi16ELi64ELi64ELi4ELi64ELi4ELi4ELi64ELc67ELc78EKDF16_S1_DF16_EEvlllT_PT11_llS4_llS2_PT12_llPT13_lli: ; @_ZN12_GLOBAL__N_127rocblas_gemm_batched_kernelIfLi16ELi16ELi64ELi64ELi4ELi64ELi4ELi4ELi64ELc67ELc78EKDF16_S1_DF16_EEvlllT_PT11_llS4_llS2_PT12_llPT13_lli
; %bb.0:
	s_load_b32 s31, s[0:1], 0x88
	s_bfe_u32 s2, ttmp6, 0x40014
	s_lshr_b32 s3, ttmp7, 16
	s_add_co_i32 s2, s2, 1
	s_bfe_u32 s4, ttmp6, 0x40008
	s_mul_i32 s2, s3, s2
	s_getreg_b32 s20, hwreg(HW_REG_IB_STS2, 6, 4)
	s_add_co_i32 s4, s4, s2
	s_cmp_eq_u32 s20, 0
	s_cselect_b32 s2, s3, s4
	s_mov_b32 s3, 0
	s_wait_kmcnt 0x0
	s_cmp_ge_i32 s2, s31
	s_cbranch_scc1 .LBB368_10
; %bb.1:
	v_bfe_u32 v2, v0, 10, 10
	v_and_b32_e32 v4, 0x3ff, v0
	s_bfe_u32 s22, ttmp6, 0x4000c
	s_bfe_u32 s28, ttmp6, 0x40010
	s_clause 0x2
	s_load_b256 s[12:19], s[0:1], 0x20
	s_load_b128 s[24:27], s[0:1], 0x40
	s_load_b256 s[4:11], s[0:1], 0x58
	v_dual_mov_b32 v3, 0 :: v_dual_lshlrev_b32 v16, 4, v2
	s_and_b32 s23, ttmp7, 0xffff
	s_add_co_i32 s22, s22, 1
	s_add_co_i32 s28, s28, 1
	s_delay_alu instid0(VALU_DEP_1)
	v_dual_add_nc_u32 v17, v16, v4 :: v_dual_mov_b32 v7, v3
	s_and_b32 s21, ttmp6, 15
	s_mul_i32 s22, ttmp9, s22
	s_mul_i32 s28, s23, s28
	s_bfe_u32 s29, ttmp6, 0x40004
	s_add_co_i32 s21, s21, s22
	s_add_co_i32 s29, s29, s28
	s_cmp_eq_u32 s20, 0
	v_lshrrev_b32_e32 v6, 2, v17
	s_cselect_b32 s20, s23, s29
	s_cselect_b32 s28, ttmp9, s21
	s_lshl_b32 s34, s20, 6
	s_mov_b32 s35, s3
	s_ashr_i32 s29, s28, 31
	v_add_nc_u64_e32 v[8:9], s[34:35], v[6:7]
	v_and_b32_e32 v7, 63, v17
	s_load_b128 s[20:23], s[0:1], 0x78
	s_lshl_b64 s[36:37], s[28:29], 6
	v_add_nc_u64_e32 v[12:13], s[34:35], v[2:3]
	s_delay_alu instid0(VALU_DEP_2)
	v_dual_mov_b32 v11, s37 :: v_dual_bitop2_b32 v10, s36, v7 bitop3:0x54
	s_wait_kmcnt 0x0
	v_mul_u64_e32 v[8:9], s[24:25], v[8:9]
	s_clause 0x1
	s_load_b32 s33, s[0:1], 0x50
	s_load_b96 s[28:30], s[0:1], 0x10
	v_dual_mov_b32 v5, v3 :: v_dual_bitop2_b32 v2, 3, v0 bitop3:0x40
	v_mul_u64_e32 v[10:11], s[14:15], v[10:11]
	v_mul_u64_e32 v[14:15], s[6:7], v[12:13]
	v_add_nc_u32_e32 v31, 0x400, v16
	s_delay_alu instid0(VALU_DEP_4) | instskip(SKIP_2) | instid1(VALU_DEP_3)
	v_dual_lshlrev_b32 v18, 2, v2 :: v_dual_lshlrev_b32 v30, 2, v4
	v_dual_lshlrev_b32 v2, 1, v2 :: v_dual_lshrrev_b32 v16, 6, v17
	v_lshlrev_b32_e32 v17, 2, v7
	v_lshl_or_b32 v18, v6, 4, v18
	v_mul_u64_e32 v[0:1], s[20:21], v[12:13]
	v_add_nc_u64_e32 v[12:13], s[36:37], v[4:5]
	s_delay_alu instid0(VALU_DEP_3)
	v_add_nc_u32_e32 v33, 0x400, v18
	s_wait_kmcnt 0x0
	s_cmp_eq_f32 s33, 0
	v_cmp_gt_i64_e64 s0, s[28:29], 0
	s_cselect_b32 s1, -1, 0
	s_lshl_b64 s[14:15], s[20:21], 4
	s_lshl_b64 s[20:21], s[6:7], 4
	s_lshl_b64 s[6:7], s[16:17], 1
	v_cndmask_b32_e64 v19, 0, 1, s0
	v_lshl_add_u64 v[4:5], v[8:9], 1, v[2:3]
	v_lshlrev_b32_e32 v2, 1, v16
	v_lshlrev_b64_e32 v[8:9], 1, v[12:13]
	v_lshl_or_b32 v32, v16, 8, v17
	v_cmp_ne_u32_e64 s0, 1, v19
	v_add_nc_u64_e32 v[4:5], s[18:19], v[4:5]
	v_lshl_add_u64 v[6:7], v[10:11], 1, v[2:3]
	v_lshl_add_u64 v[2:3], v[14:15], 1, s[4:5]
	s_lshl_b64 s[4:5], s[26:27], 1
	s_delay_alu instid0(VALU_DEP_2)
	v_add_nc_u64_e32 v[6:7], s[12:13], v[6:7]
	s_lshl_b64 s[12:13], s[14:15], 1
	s_lshl_b64 s[14:15], s[20:21], 1
	s_branch .LBB368_3
.LBB368_2:                              ;   in Loop: Header=BB368_3 Depth=1
	s_add_co_i32 s2, s2, 0x10000
	s_delay_alu instid0(SALU_CYCLE_1)
	s_cmp_lt_i32 s2, s31
	s_cbranch_scc0 .LBB368_10
.LBB368_3:                              ; =>This Loop Header: Depth=1
                                        ;     Child Loop BB368_5 Depth 2
	v_dual_mov_b32 v25, 0 :: v_dual_mov_b32 v24, 0
	v_dual_mov_b32 v23, 0 :: v_dual_mov_b32 v22, 0
	;; [unrolled: 1-line block ×4, first 2 shown]
	s_wait_xcnt 0x1
	v_dual_mov_b32 v17, 0 :: v_dual_mov_b32 v16, 0
	s_wait_xcnt 0x0
	v_dual_mov_b32 v15, 0 :: v_dual_mov_b32 v14, 0
	v_dual_mov_b32 v13, 0 :: v_dual_mov_b32 v12, 0
	;; [unrolled: 1-line block ×3, first 2 shown]
	s_and_b32 vcc_lo, exec_lo, s0
	s_cbranch_vccnz .LBB368_6
; %bb.4:                                ;   in Loop: Header=BB368_3 Depth=1
	v_mad_nc_u64_u32 v[26:27], s4, s2, v[4:5]
	v_mad_nc_u64_u32 v[28:29], s6, s2, v[6:7]
	v_mov_b32_e32 v10, 0
	s_mov_b64 s[16:17], 0
	s_delay_alu instid0(VALU_DEP_1)
	v_dual_mov_b32 v11, v10 :: v_dual_mov_b32 v12, v10
	v_dual_mov_b32 v13, v10 :: v_dual_mov_b32 v14, v10
	v_mad_u32 v27, s5, s2, v27
	v_mad_u32 v29, s7, s2, v29
	v_dual_mov_b32 v15, v10 :: v_dual_mov_b32 v16, v10
	v_dual_mov_b32 v17, v10 :: v_dual_mov_b32 v18, v10
	;; [unrolled: 1-line block ×5, first 2 shown]
	v_mov_b32_e32 v25, v10
.LBB368_5:                              ;   Parent Loop BB368_3 Depth=1
                                        ; =>  This Inner Loop Header: Depth=2
	global_load_u16 v34, v[28:29], off
	global_load_u16 v35, v[26:27], off
	s_add_nc_u64 s[16:17], s[16:17], 4
	s_wait_xcnt 0x0
	v_add_nc_u64_e32 v[26:27], 8, v[26:27]
	v_cmp_lt_i64_e64 s18, s[16:17], s[28:29]
	v_add_nc_u64_e32 v[28:29], 8, v[28:29]
	s_and_b32 vcc_lo, exec_lo, s18
	s_wait_loadcnt 0x1
	v_cvt_f32_f16_e32 v34, v34
	s_wait_loadcnt 0x0
	v_cvt_f32_f16_e32 v35, v35
	ds_store_b32 v32, v34
	ds_store_b32 v33, v35
	s_wait_dscnt 0x0
	s_barrier_signal -1
	s_barrier_wait -1
	ds_load_2addr_b32 v[50:51], v30 offset1:16
	ds_load_2addr_b32 v[52:53], v30 offset0:64 offset1:80
	ds_load_2addr_b32 v[54:55], v30 offset0:128 offset1:144
	;; [unrolled: 1-line block ×6, first 2 shown]
	ds_load_b128 v[34:37], v31
	ds_load_b128 v[38:41], v31 offset:256
	ds_load_2addr_b32 v[64:65], v30 offset0:224 offset1:240
	ds_load_b128 v[42:45], v31 offset:512
	ds_load_b128 v[46:49], v31 offset:768
	s_wait_dscnt 0x0
	s_barrier_signal -1
	s_barrier_wait -1
	v_dual_mov_b32 v66, v51 :: v_dual_mov_b32 v67, v50
	v_dual_mov_b32 v50, v53 :: v_dual_mov_b32 v51, v52
	;; [unrolled: 1-line block ×6, first 2 shown]
	v_pk_fma_f32 v[24:25], v[66:67], v[34:35], v[24:25] op_sel_hi:[1,0,1]
	v_pk_fma_f32 v[20:21], v[66:67], v[38:39], v[20:21] op_sel_hi:[1,0,1]
	s_delay_alu instid0(VALU_DEP_4)
	v_pk_fma_f32 v[22:23], v[56:57], v[34:35], v[22:23] op_sel_hi:[1,0,1]
	v_pk_fma_f32 v[16:17], v[66:67], v[42:43], v[16:17] op_sel_hi:[1,0,1]
	;; [unrolled: 1-line block ×6, first 2 shown]
	v_dual_mov_b32 v60, v63 :: v_dual_mov_b32 v61, v62
	v_pk_fma_f32 v[24:25], v[50:51], v[34:35], v[24:25] op_sel:[0,1,0]
	v_pk_fma_f32 v[22:23], v[58:59], v[34:35], v[22:23] op_sel:[0,1,0]
	;; [unrolled: 1-line block ×8, first 2 shown]
	v_dual_mov_b32 v62, v37 :: v_dual_mov_b32 v68, v65
	v_dual_mov_b32 v69, v64 :: v_dual_mov_b32 v64, v41
	;; [unrolled: 1-line block ×3, first 2 shown]
	v_pk_fma_f32 v[24:25], v[52:53], v[36:37], v[24:25] op_sel_hi:[1,0,1]
	v_pk_fma_f32 v[22:23], v[60:61], v[36:37], v[22:23] op_sel_hi:[1,0,1]
	v_pk_fma_f32 v[20:21], v[52:53], v[40:41], v[20:21] op_sel_hi:[1,0,1]
	v_pk_fma_f32 v[18:19], v[60:61], v[40:41], v[18:19] op_sel_hi:[1,0,1]
	v_pk_fma_f32 v[16:17], v[52:53], v[44:45], v[16:17] op_sel_hi:[1,0,1]
	v_pk_fma_f32 v[14:15], v[60:61], v[44:45], v[14:15] op_sel_hi:[1,0,1]
	v_pk_fma_f32 v[12:13], v[52:53], v[48:49], v[12:13] op_sel_hi:[1,0,1]
	v_pk_fma_f32 v[10:11], v[60:61], v[48:49], v[10:11] op_sel_hi:[1,0,1]
	v_pk_fma_f32 v[24:25], v[54:55], v[62:63], v[24:25] op_sel_hi:[1,0,1]
	v_pk_fma_f32 v[22:23], v[68:69], v[62:63], v[22:23] op_sel_hi:[1,0,1]
	v_pk_fma_f32 v[20:21], v[54:55], v[64:65], v[20:21] op_sel_hi:[1,0,1]
	v_pk_fma_f32 v[18:19], v[68:69], v[64:65], v[18:19] op_sel_hi:[1,0,1]
	v_pk_fma_f32 v[16:17], v[54:55], v[70:71], v[16:17] op_sel_hi:[1,0,1]
	v_pk_fma_f32 v[14:15], v[68:69], v[70:71], v[14:15] op_sel_hi:[1,0,1]
	v_pk_fma_f32 v[12:13], v[54:55], v[72:73], v[12:13] op_sel_hi:[1,0,1]
	v_pk_fma_f32 v[10:11], v[68:69], v[72:73], v[10:11] op_sel_hi:[1,0,1]
	s_cbranch_vccnz .LBB368_5
.LBB368_6:                              ;   in Loop: Header=BB368_3 Depth=1
	s_mul_u64 s[16:17], s[22:23], s[2:3]
	s_and_not1_b32 vcc_lo, exec_lo, s1
	s_lshl_b64 s[16:17], s[16:17], 1
	s_delay_alu instid0(SALU_CYCLE_1) | instskip(NEXT) | instid1(SALU_CYCLE_1)
	s_add_nc_u64 s[16:17], s[10:11], s[16:17]
	v_lshl_add_u64 v[26:27], v[0:1], 1, s[16:17]
	s_delay_alu instid0(VALU_DEP_1)
	v_add_nc_u64_e32 v[28:29], v[26:27], v[8:9]
	v_add_nc_u64_e32 v[26:27], s[12:13], v[26:27]
	s_cbranch_vccnz .LBB368_8
; %bb.7:                                ;   in Loop: Header=BB368_3 Depth=1
	v_fma_mixlo_f16 v36, s30, v25, 0
	v_fma_mixlo_f16 v37, s30, v24, 0
	s_delay_alu instid0(VALU_DEP_3)
	v_add_nc_u64_e32 v[34:35], s[12:13], v[26:27]
	v_fma_mixlo_f16 v38, s30, v23, 0
	v_fma_mixlo_f16 v39, s30, v22, 0
	s_clause 0x3
	global_store_b16 v[28:29], v36, off
	global_store_b16 v[28:29], v37, off offset:32
	global_store_b16 v[28:29], v38, off offset:64
	;; [unrolled: 1-line block ×3, first 2 shown]
	s_wait_xcnt 0x2
	v_add_nc_u64_e32 v[36:37], v[26:27], v[8:9]
	v_fma_mixlo_f16 v40, s30, v21, 0
	v_fma_mixlo_f16 v41, s30, v20, 0
	s_wait_xcnt 0x0
	v_add_nc_u64_e32 v[38:39], v[34:35], v[8:9]
	v_add_nc_u64_e32 v[34:35], s[12:13], v[34:35]
	v_fma_mixlo_f16 v42, s30, v19, 0
	v_fma_mixlo_f16 v43, s30, v18, 0
	s_clause 0x3
	global_store_b16 v[36:37], v40, off
	global_store_b16 v[36:37], v41, off offset:32
	global_store_b16 v[36:37], v42, off offset:64
	;; [unrolled: 1-line block ×3, first 2 shown]
	s_wait_xcnt 0x0
	v_fma_mixlo_f16 v36, s30, v17, 0
	v_fma_mixlo_f16 v37, s30, v16, 0
	;; [unrolled: 1-line block ×4, first 2 shown]
	v_add_nc_u64_e32 v[34:35], v[34:35], v[8:9]
	s_clause 0x3
	global_store_b16 v[38:39], v36, off
	global_store_b16 v[38:39], v37, off offset:32
	global_store_b16 v[38:39], v40, off offset:64
	;; [unrolled: 1-line block ×3, first 2 shown]
	s_wait_xcnt 0x3
	v_fma_mixlo_f16 v36, s30, v13, 0
	s_wait_xcnt 0x2
	v_fma_mixlo_f16 v37, s30, v12, 0
	;; [unrolled: 2-line block ×3, first 2 shown]
	v_fma_mixlo_f16 v39, s30, v10, 0
	s_clause 0x3
	global_store_b16 v[34:35], v36, off
	global_store_b16 v[34:35], v37, off offset:32
	global_store_b16 v[34:35], v38, off offset:64
	;; [unrolled: 1-line block ×3, first 2 shown]
	s_cbranch_execnz .LBB368_2
	s_branch .LBB368_9
.LBB368_8:                              ;   in Loop: Header=BB368_3 Depth=1
.LBB368_9:                              ;   in Loop: Header=BB368_3 Depth=1
	s_mul_u64 s[16:17], s[8:9], s[2:3]
	s_wait_xcnt 0x0
	v_lshl_add_u64 v[34:35], s[16:17], 1, v[2:3]
	s_delay_alu instid0(VALU_DEP_1) | instskip(SKIP_3) | instid1(VALU_DEP_1)
	v_add_nc_u64_e32 v[36:37], v[34:35], v[8:9]
	global_load_u16 v38, v[36:37], off
	s_wait_loadcnt 0x0
	v_cvt_f32_f16_e32 v38, v38
	v_mul_f32_e32 v38, s33, v38
	s_delay_alu instid0(VALU_DEP_1) | instskip(SKIP_4) | instid1(VALU_DEP_1)
	v_fma_mixlo_f16 v25, s30, v25, v38
	global_store_b16 v[28:29], v25, off
	global_load_u16 v25, v[36:37], off offset:32
	s_wait_loadcnt 0x0
	v_cvt_f32_f16_e32 v25, v25
	v_mul_f32_e32 v25, s33, v25
	s_delay_alu instid0(VALU_DEP_1) | instskip(SKIP_4) | instid1(VALU_DEP_1)
	v_fma_mixlo_f16 v24, s30, v24, v25
	global_store_b16 v[28:29], v24, off offset:32
	global_load_u16 v24, v[36:37], off offset:64
	s_wait_loadcnt 0x0
	v_cvt_f32_f16_e32 v24, v24
	v_mul_f32_e32 v24, s33, v24
	s_delay_alu instid0(VALU_DEP_1)
	v_fma_mixlo_f16 v23, s30, v23, v24
	v_add_nc_u64_e32 v[24:25], s[14:15], v[34:35]
	global_store_b16 v[28:29], v23, off offset:64
	global_load_u16 v23, v[36:37], off offset:96
	v_add_nc_u64_e32 v[34:35], v[24:25], v[8:9]
	s_wait_loadcnt 0x0
	v_cvt_f32_f16_e32 v23, v23
	s_delay_alu instid0(VALU_DEP_1) | instskip(NEXT) | instid1(VALU_DEP_1)
	v_mul_f32_e32 v23, s33, v23
	v_fma_mixlo_f16 v22, s30, v22, v23
	global_store_b16 v[28:29], v22, off offset:96
	global_load_u16 v22, v[34:35], off
	s_wait_loadcnt 0x0
	v_cvt_f32_f16_e32 v22, v22
	s_delay_alu instid0(VALU_DEP_1) | instskip(SKIP_1) | instid1(VALU_DEP_2)
	v_mul_f32_e32 v28, s33, v22
	v_add_nc_u64_e32 v[22:23], v[26:27], v[8:9]
	v_fma_mixlo_f16 v21, s30, v21, v28
	global_store_b16 v[22:23], v21, off
	global_load_u16 v21, v[34:35], off offset:32
	s_wait_loadcnt 0x0
	v_cvt_f32_f16_e32 v21, v21
	s_delay_alu instid0(VALU_DEP_1) | instskip(NEXT) | instid1(VALU_DEP_1)
	v_mul_f32_e32 v21, s33, v21
	v_fma_mixlo_f16 v20, s30, v20, v21
	global_store_b16 v[22:23], v20, off offset:32
	global_load_u16 v20, v[34:35], off offset:64
	s_wait_loadcnt 0x0
	v_cvt_f32_f16_e32 v20, v20
	s_delay_alu instid0(VALU_DEP_1) | instskip(NEXT) | instid1(VALU_DEP_1)
	v_mul_f32_e32 v20, s33, v20
	v_fma_mixlo_f16 v19, s30, v19, v20
	v_add_nc_u64_e32 v[20:21], s[14:15], v[24:25]
	global_store_b16 v[22:23], v19, off offset:64
	global_load_u16 v19, v[34:35], off offset:96
	v_add_nc_u64_e32 v[24:25], v[20:21], v[8:9]
	s_wait_loadcnt 0x0
	v_cvt_f32_f16_e32 v19, v19
	s_delay_alu instid0(VALU_DEP_1) | instskip(NEXT) | instid1(VALU_DEP_1)
	v_mul_f32_e32 v19, s33, v19
	v_fma_mixlo_f16 v18, s30, v18, v19
	global_store_b16 v[22:23], v18, off offset:96
	global_load_u16 v18, v[24:25], off
	s_wait_loadcnt 0x0
	v_cvt_f32_f16_e32 v22, v18
	v_add_nc_u64_e32 v[18:19], s[12:13], v[26:27]
	s_delay_alu instid0(VALU_DEP_2) | instskip(NEXT) | instid1(VALU_DEP_2)
	v_mul_f32_e32 v26, s33, v22
	v_add_nc_u64_e32 v[22:23], v[18:19], v[8:9]
	s_delay_alu instid0(VALU_DEP_2) | instskip(SKIP_4) | instid1(VALU_DEP_1)
	v_fma_mixlo_f16 v17, s30, v17, v26
	global_store_b16 v[22:23], v17, off
	global_load_u16 v17, v[24:25], off offset:32
	s_wait_loadcnt 0x0
	v_cvt_f32_f16_e32 v17, v17
	v_mul_f32_e32 v17, s33, v17
	s_delay_alu instid0(VALU_DEP_1) | instskip(SKIP_4) | instid1(VALU_DEP_1)
	v_fma_mixlo_f16 v16, s30, v16, v17
	global_store_b16 v[22:23], v16, off offset:32
	global_load_u16 v16, v[24:25], off offset:64
	s_wait_loadcnt 0x0
	v_cvt_f32_f16_e32 v16, v16
	v_mul_f32_e32 v16, s33, v16
	s_delay_alu instid0(VALU_DEP_1)
	v_fma_mixlo_f16 v15, s30, v15, v16
	v_add_nc_u64_e32 v[16:17], s[14:15], v[20:21]
	global_store_b16 v[22:23], v15, off offset:64
	global_load_u16 v15, v[24:25], off offset:96
	v_add_nc_u64_e32 v[16:17], v[16:17], v[8:9]
	s_wait_loadcnt 0x0
	v_cvt_f32_f16_e32 v15, v15
	s_delay_alu instid0(VALU_DEP_1) | instskip(NEXT) | instid1(VALU_DEP_1)
	v_mul_f32_e32 v15, s33, v15
	v_fma_mixlo_f16 v14, s30, v14, v15
	global_store_b16 v[22:23], v14, off offset:96
	global_load_u16 v14, v[16:17], off
	s_wait_loadcnt 0x0
	v_cvt_f32_f16_e32 v20, v14
	v_add_nc_u64_e32 v[14:15], s[12:13], v[18:19]
	s_delay_alu instid0(VALU_DEP_2) | instskip(NEXT) | instid1(VALU_DEP_2)
	v_mul_f32_e32 v18, s33, v20
	v_add_nc_u64_e32 v[14:15], v[14:15], v[8:9]
	s_delay_alu instid0(VALU_DEP_2) | instskip(SKIP_4) | instid1(VALU_DEP_1)
	v_fma_mixlo_f16 v13, s30, v13, v18
	global_store_b16 v[14:15], v13, off
	global_load_u16 v13, v[16:17], off offset:32
	s_wait_loadcnt 0x0
	v_cvt_f32_f16_e32 v13, v13
	v_mul_f32_e32 v13, s33, v13
	s_delay_alu instid0(VALU_DEP_1) | instskip(SKIP_4) | instid1(VALU_DEP_1)
	v_fma_mixlo_f16 v12, s30, v12, v13
	global_store_b16 v[14:15], v12, off offset:32
	global_load_u16 v12, v[16:17], off offset:64
	s_wait_loadcnt 0x0
	v_cvt_f32_f16_e32 v12, v12
	v_mul_f32_e32 v12, s33, v12
	s_delay_alu instid0(VALU_DEP_1) | instskip(SKIP_4) | instid1(VALU_DEP_1)
	v_fma_mixlo_f16 v11, s30, v11, v12
	global_store_b16 v[14:15], v11, off offset:64
	global_load_u16 v11, v[16:17], off offset:96
	s_wait_loadcnt 0x0
	v_cvt_f32_f16_e32 v11, v11
	v_mul_f32_e32 v11, s33, v11
	s_delay_alu instid0(VALU_DEP_1)
	v_fma_mixlo_f16 v10, s30, v10, v11
	global_store_b16 v[14:15], v10, off offset:96
	s_branch .LBB368_2
.LBB368_10:
	s_sendmsg sendmsg(MSG_DEALLOC_VGPRS)
	s_endpgm
	.section	.rodata,"a",@progbits
	.p2align	6, 0x0
	.amdhsa_kernel _ZN12_GLOBAL__N_127rocblas_gemm_batched_kernelIfLi16ELi16ELi64ELi64ELi4ELi64ELi4ELi4ELi64ELc67ELc78EKDF16_S1_DF16_EEvlllT_PT11_llS4_llS2_PT12_llPT13_lli
		.amdhsa_group_segment_fixed_size 2048
		.amdhsa_private_segment_fixed_size 0
		.amdhsa_kernarg_size 140
		.amdhsa_user_sgpr_count 2
		.amdhsa_user_sgpr_dispatch_ptr 0
		.amdhsa_user_sgpr_queue_ptr 0
		.amdhsa_user_sgpr_kernarg_segment_ptr 1
		.amdhsa_user_sgpr_dispatch_id 0
		.amdhsa_user_sgpr_kernarg_preload_length 0
		.amdhsa_user_sgpr_kernarg_preload_offset 0
		.amdhsa_user_sgpr_private_segment_size 0
		.amdhsa_wavefront_size32 1
		.amdhsa_uses_dynamic_stack 0
		.amdhsa_enable_private_segment 0
		.amdhsa_system_sgpr_workgroup_id_x 1
		.amdhsa_system_sgpr_workgroup_id_y 1
		.amdhsa_system_sgpr_workgroup_id_z 1
		.amdhsa_system_sgpr_workgroup_info 0
		.amdhsa_system_vgpr_workitem_id 1
		.amdhsa_next_free_vgpr 74
		.amdhsa_next_free_sgpr 38
		.amdhsa_named_barrier_count 0
		.amdhsa_reserve_vcc 1
		.amdhsa_float_round_mode_32 0
		.amdhsa_float_round_mode_16_64 0
		.amdhsa_float_denorm_mode_32 3
		.amdhsa_float_denorm_mode_16_64 3
		.amdhsa_fp16_overflow 0
		.amdhsa_memory_ordered 1
		.amdhsa_forward_progress 1
		.amdhsa_inst_pref_size 20
		.amdhsa_round_robin_scheduling 0
		.amdhsa_exception_fp_ieee_invalid_op 0
		.amdhsa_exception_fp_denorm_src 0
		.amdhsa_exception_fp_ieee_div_zero 0
		.amdhsa_exception_fp_ieee_overflow 0
		.amdhsa_exception_fp_ieee_underflow 0
		.amdhsa_exception_fp_ieee_inexact 0
		.amdhsa_exception_int_div_zero 0
	.end_amdhsa_kernel
	.section	.text._ZN12_GLOBAL__N_127rocblas_gemm_batched_kernelIfLi16ELi16ELi64ELi64ELi4ELi64ELi4ELi4ELi64ELc67ELc78EKDF16_S1_DF16_EEvlllT_PT11_llS4_llS2_PT12_llPT13_lli,"axG",@progbits,_ZN12_GLOBAL__N_127rocblas_gemm_batched_kernelIfLi16ELi16ELi64ELi64ELi4ELi64ELi4ELi4ELi64ELc67ELc78EKDF16_S1_DF16_EEvlllT_PT11_llS4_llS2_PT12_llPT13_lli,comdat
.Lfunc_end368:
	.size	_ZN12_GLOBAL__N_127rocblas_gemm_batched_kernelIfLi16ELi16ELi64ELi64ELi4ELi64ELi4ELi4ELi64ELc67ELc78EKDF16_S1_DF16_EEvlllT_PT11_llS4_llS2_PT12_llPT13_lli, .Lfunc_end368-_ZN12_GLOBAL__N_127rocblas_gemm_batched_kernelIfLi16ELi16ELi64ELi64ELi4ELi64ELi4ELi4ELi64ELc67ELc78EKDF16_S1_DF16_EEvlllT_PT11_llS4_llS2_PT12_llPT13_lli
                                        ; -- End function
	.set _ZN12_GLOBAL__N_127rocblas_gemm_batched_kernelIfLi16ELi16ELi64ELi64ELi4ELi64ELi4ELi4ELi64ELc67ELc78EKDF16_S1_DF16_EEvlllT_PT11_llS4_llS2_PT12_llPT13_lli.num_vgpr, 74
	.set _ZN12_GLOBAL__N_127rocblas_gemm_batched_kernelIfLi16ELi16ELi64ELi64ELi4ELi64ELi4ELi4ELi64ELc67ELc78EKDF16_S1_DF16_EEvlllT_PT11_llS4_llS2_PT12_llPT13_lli.num_agpr, 0
	.set _ZN12_GLOBAL__N_127rocblas_gemm_batched_kernelIfLi16ELi16ELi64ELi64ELi4ELi64ELi4ELi4ELi64ELc67ELc78EKDF16_S1_DF16_EEvlllT_PT11_llS4_llS2_PT12_llPT13_lli.numbered_sgpr, 38
	.set _ZN12_GLOBAL__N_127rocblas_gemm_batched_kernelIfLi16ELi16ELi64ELi64ELi4ELi64ELi4ELi4ELi64ELc67ELc78EKDF16_S1_DF16_EEvlllT_PT11_llS4_llS2_PT12_llPT13_lli.num_named_barrier, 0
	.set _ZN12_GLOBAL__N_127rocblas_gemm_batched_kernelIfLi16ELi16ELi64ELi64ELi4ELi64ELi4ELi4ELi64ELc67ELc78EKDF16_S1_DF16_EEvlllT_PT11_llS4_llS2_PT12_llPT13_lli.private_seg_size, 0
	.set _ZN12_GLOBAL__N_127rocblas_gemm_batched_kernelIfLi16ELi16ELi64ELi64ELi4ELi64ELi4ELi4ELi64ELc67ELc78EKDF16_S1_DF16_EEvlllT_PT11_llS4_llS2_PT12_llPT13_lli.uses_vcc, 1
	.set _ZN12_GLOBAL__N_127rocblas_gemm_batched_kernelIfLi16ELi16ELi64ELi64ELi4ELi64ELi4ELi4ELi64ELc67ELc78EKDF16_S1_DF16_EEvlllT_PT11_llS4_llS2_PT12_llPT13_lli.uses_flat_scratch, 0
	.set _ZN12_GLOBAL__N_127rocblas_gemm_batched_kernelIfLi16ELi16ELi64ELi64ELi4ELi64ELi4ELi4ELi64ELc67ELc78EKDF16_S1_DF16_EEvlllT_PT11_llS4_llS2_PT12_llPT13_lli.has_dyn_sized_stack, 0
	.set _ZN12_GLOBAL__N_127rocblas_gemm_batched_kernelIfLi16ELi16ELi64ELi64ELi4ELi64ELi4ELi4ELi64ELc67ELc78EKDF16_S1_DF16_EEvlllT_PT11_llS4_llS2_PT12_llPT13_lli.has_recursion, 0
	.set _ZN12_GLOBAL__N_127rocblas_gemm_batched_kernelIfLi16ELi16ELi64ELi64ELi4ELi64ELi4ELi4ELi64ELc67ELc78EKDF16_S1_DF16_EEvlllT_PT11_llS4_llS2_PT12_llPT13_lli.has_indirect_call, 0
	.section	.AMDGPU.csdata,"",@progbits
; Kernel info:
; codeLenInByte = 2548
; TotalNumSgprs: 40
; NumVgprs: 74
; ScratchSize: 0
; MemoryBound: 0
; FloatMode: 240
; IeeeMode: 1
; LDSByteSize: 2048 bytes/workgroup (compile time only)
; SGPRBlocks: 0
; VGPRBlocks: 4
; NumSGPRsForWavesPerEU: 40
; NumVGPRsForWavesPerEU: 74
; NamedBarCnt: 0
; Occupancy: 12
; WaveLimiterHint : 0
; COMPUTE_PGM_RSRC2:SCRATCH_EN: 0
; COMPUTE_PGM_RSRC2:USER_SGPR: 2
; COMPUTE_PGM_RSRC2:TRAP_HANDLER: 0
; COMPUTE_PGM_RSRC2:TGID_X_EN: 1
; COMPUTE_PGM_RSRC2:TGID_Y_EN: 1
; COMPUTE_PGM_RSRC2:TGID_Z_EN: 1
; COMPUTE_PGM_RSRC2:TIDIG_COMP_CNT: 1
	.section	.text._ZN12_GLOBAL__N_127rocblas_gemm_batched_kernelIfLi16ELi16ELi64ELi64ELi4ELi64ELi4ELi4ELi64ELc67ELc84EKDF16_S1_DF16_EEvlllT_PT11_llS4_llS2_PT12_llPT13_lli,"axG",@progbits,_ZN12_GLOBAL__N_127rocblas_gemm_batched_kernelIfLi16ELi16ELi64ELi64ELi4ELi64ELi4ELi4ELi64ELc67ELc84EKDF16_S1_DF16_EEvlllT_PT11_llS4_llS2_PT12_llPT13_lli,comdat
	.globl	_ZN12_GLOBAL__N_127rocblas_gemm_batched_kernelIfLi16ELi16ELi64ELi64ELi4ELi64ELi4ELi4ELi64ELc67ELc84EKDF16_S1_DF16_EEvlllT_PT11_llS4_llS2_PT12_llPT13_lli ; -- Begin function _ZN12_GLOBAL__N_127rocblas_gemm_batched_kernelIfLi16ELi16ELi64ELi64ELi4ELi64ELi4ELi4ELi64ELc67ELc84EKDF16_S1_DF16_EEvlllT_PT11_llS4_llS2_PT12_llPT13_lli
	.p2align	8
	.type	_ZN12_GLOBAL__N_127rocblas_gemm_batched_kernelIfLi16ELi16ELi64ELi64ELi4ELi64ELi4ELi4ELi64ELc67ELc84EKDF16_S1_DF16_EEvlllT_PT11_llS4_llS2_PT12_llPT13_lli,@function
_ZN12_GLOBAL__N_127rocblas_gemm_batched_kernelIfLi16ELi16ELi64ELi64ELi4ELi64ELi4ELi4ELi64ELc67ELc84EKDF16_S1_DF16_EEvlllT_PT11_llS4_llS2_PT12_llPT13_lli: ; @_ZN12_GLOBAL__N_127rocblas_gemm_batched_kernelIfLi16ELi16ELi64ELi64ELi4ELi64ELi4ELi4ELi64ELc67ELc84EKDF16_S1_DF16_EEvlllT_PT11_llS4_llS2_PT12_llPT13_lli
; %bb.0:
	s_load_b32 s31, s[0:1], 0x88
	s_bfe_u32 s2, ttmp6, 0x40014
	s_lshr_b32 s3, ttmp7, 16
	s_add_co_i32 s2, s2, 1
	s_bfe_u32 s4, ttmp6, 0x40008
	s_mul_i32 s2, s3, s2
	s_getreg_b32 s20, hwreg(HW_REG_IB_STS2, 6, 4)
	s_add_co_i32 s4, s4, s2
	s_cmp_eq_u32 s20, 0
	s_cselect_b32 s2, s3, s4
	s_mov_b32 s3, 0
	s_wait_kmcnt 0x0
	s_cmp_ge_i32 s2, s31
	s_cbranch_scc1 .LBB369_10
; %bb.1:
	s_bfe_u32 s21, ttmp6, 0x4000c
	s_bfe_u32 s23, ttmp6, 0x40010
	s_add_co_i32 s21, s21, 1
	s_and_b32 s28, ttmp7, 0xffff
	s_add_co_i32 s23, s23, 1
	v_bfe_u32 v4, v0, 10, 10
	s_and_b32 s22, ttmp6, 15
	s_mul_i32 s21, ttmp9, s21
	s_mul_i32 s23, s28, s23
	s_bfe_u32 s29, ttmp6, 0x40004
	s_add_co_i32 s22, s22, s21
	s_add_co_i32 s29, s29, s23
	s_cmp_eq_u32 s20, 0
	v_and_b32_e32 v2, 0x3ff, v0
	v_dual_mov_b32 v5, 0 :: v_dual_lshlrev_b32 v16, 4, v4
	s_cselect_b32 s20, ttmp9, s22
	s_clause 0x2
	s_load_b256 s[12:19], s[0:1], 0x20
	s_load_b128 s[24:27], s[0:1], 0x40
	s_load_b256 s[4:11], s[0:1], 0x58
	s_cselect_b32 s22, s28, s29
	s_ashr_i32 s21, s20, 31
	s_lshl_b32 s34, s22, 6
	s_lshl_b64 s[36:37], s[20:21], 6
	v_add_nc_u32_e32 v1, v16, v2
	s_load_b128 s[20:23], s[0:1], 0x78
	s_mov_b32 s35, s3
	v_mov_b32_e32 v9, s37
	v_add_nc_u64_e32 v[6:7], s[34:35], v[4:5]
	v_and_b32_e32 v3, 63, v1
	s_clause 0x1
	s_load_b32 s33, s[0:1], 0x50
	s_load_b96 s[28:30], s[0:1], 0x10
	v_add_nc_u32_e32 v33, 0x400, v16
	v_dual_lshlrev_b32 v32, 2, v2 :: v_dual_bitop2_b32 v8, s36, v3 bitop3:0x54
	v_dual_lshrrev_b32 v10, 2, v1 :: v_dual_bitop2_b32 v4, 3, v0 bitop3:0x40
	v_mov_b32_e32 v11, v5
	s_wait_kmcnt 0x0
	s_delay_alu instid0(VALU_DEP_3)
	v_mul_u64_e32 v[8:9], s[14:15], v[8:9]
	v_mul_u64_e32 v[12:13], s[6:7], v[6:7]
	v_lshlrev_b32_e32 v17, 2, v4
	v_mad_nc_u64_u32 v[14:15], s24, v4, v[10:11]
	v_lshrrev_b32_e32 v11, 6, v1
	v_mul_u64_e32 v[0:1], s[20:21], v[6:7]
	v_dual_mov_b32 v3, v5 :: v_dual_lshlrev_b32 v6, 2, v3
	s_cmp_eq_f32 s33, 0
	v_cmp_gt_i64_e64 s0, s[28:29], 0
	s_delay_alu instid0(VALU_DEP_2)
	v_lshl_or_b32 v30, v11, 8, v6
	v_mad_u32 v15, s25, v4, v15
	v_lshl_or_b32 v4, v10, 4, v17
	s_cselect_b32 s1, -1, 0
	s_lshl_b64 s[14:15], s[20:21], 4
	s_lshl_b64 s[20:21], s[6:7], 4
	;; [unrolled: 1-line block ×3, first 2 shown]
	v_add_nc_u32_e32 v31, 0x400, v4
	v_lshlrev_b32_e32 v4, 1, v11
	v_add_nc_u64_e32 v[10:11], s[36:37], v[2:3]
	s_lshl_b64 s[14:15], s[14:15], 1
	v_add_nc_u64_e32 v[6:7], s[34:35], v[14:15]
	s_delay_alu instid0(VALU_DEP_3) | instskip(SKIP_2) | instid1(VALU_DEP_4)
	v_lshl_add_u64 v[8:9], v[8:9], 1, v[4:5]
	v_lshl_add_u64 v[2:3], v[12:13], 1, s[4:5]
	v_cndmask_b32_e64 v12, 0, 1, s0
	v_lshl_add_u64 v[4:5], v[6:7], 1, s[18:19]
	s_lshl_b64 s[4:5], s[26:27], 1
	v_add_nc_u64_e32 v[6:7], s[12:13], v[8:9]
	v_lshlrev_b64_e32 v[8:9], 1, v[10:11]
	v_cmp_ne_u32_e64 s0, 1, v12
	s_lshl_b64 s[12:13], s[16:17], 1
	s_lshl_b64 s[16:17], s[20:21], 1
	s_branch .LBB369_3
.LBB369_2:                              ;   in Loop: Header=BB369_3 Depth=1
	s_add_co_i32 s2, s2, 0x10000
	s_delay_alu instid0(SALU_CYCLE_1)
	s_cmp_lt_i32 s2, s31
	s_cbranch_scc0 .LBB369_10
.LBB369_3:                              ; =>This Loop Header: Depth=1
                                        ;     Child Loop BB369_5 Depth 2
	v_dual_mov_b32 v25, 0 :: v_dual_mov_b32 v24, 0
	v_dual_mov_b32 v23, 0 :: v_dual_mov_b32 v22, 0
	v_dual_mov_b32 v21, 0 :: v_dual_mov_b32 v20, 0
	v_dual_mov_b32 v19, 0 :: v_dual_mov_b32 v18, 0
	s_wait_xcnt 0x1
	v_dual_mov_b32 v17, 0 :: v_dual_mov_b32 v16, 0
	s_wait_xcnt 0x0
	v_dual_mov_b32 v15, 0 :: v_dual_mov_b32 v14, 0
	v_dual_mov_b32 v13, 0 :: v_dual_mov_b32 v12, 0
	;; [unrolled: 1-line block ×3, first 2 shown]
	s_and_b32 vcc_lo, exec_lo, s0
	s_cbranch_vccnz .LBB369_6
; %bb.4:                                ;   in Loop: Header=BB369_3 Depth=1
	v_mad_nc_u64_u32 v[26:27], s4, s2, v[4:5]
	v_mad_nc_u64_u32 v[28:29], s12, s2, v[6:7]
	v_mov_b32_e32 v10, 0
	s_mov_b64 s[18:19], 0
	s_delay_alu instid0(VALU_DEP_1)
	v_dual_mov_b32 v11, v10 :: v_dual_mov_b32 v12, v10
	v_dual_mov_b32 v13, v10 :: v_dual_mov_b32 v14, v10
	v_mad_u32 v27, s5, s2, v27
	v_mad_u32 v29, s13, s2, v29
	v_dual_mov_b32 v15, v10 :: v_dual_mov_b32 v16, v10
	v_dual_mov_b32 v17, v10 :: v_dual_mov_b32 v18, v10
	v_dual_mov_b32 v19, v10 :: v_dual_mov_b32 v20, v10
	v_dual_mov_b32 v21, v10 :: v_dual_mov_b32 v22, v10
	v_dual_mov_b32 v23, v10 :: v_dual_mov_b32 v24, v10
	v_mov_b32_e32 v25, v10
.LBB369_5:                              ;   Parent Loop BB369_3 Depth=1
                                        ; =>  This Inner Loop Header: Depth=2
	global_load_u16 v34, v[28:29], off
	global_load_u16 v35, v[26:27], off
	s_add_nc_u64 s[18:19], s[18:19], 4
	s_wait_xcnt 0x0
	v_add_nc_u64_e32 v[26:27], s[6:7], v[26:27]
	v_cmp_lt_i64_e64 s20, s[18:19], s[28:29]
	v_add_nc_u64_e32 v[28:29], 8, v[28:29]
	s_and_b32 vcc_lo, exec_lo, s20
	s_wait_loadcnt 0x1
	v_cvt_f32_f16_e32 v34, v34
	s_wait_loadcnt 0x0
	v_cvt_f32_f16_e32 v35, v35
	ds_store_b32 v30, v34
	ds_store_b32 v31, v35
	s_wait_dscnt 0x0
	s_barrier_signal -1
	s_barrier_wait -1
	ds_load_2addr_b32 v[50:51], v32 offset1:16
	ds_load_2addr_b32 v[52:53], v32 offset0:64 offset1:80
	ds_load_2addr_b32 v[54:55], v32 offset0:128 offset1:144
	;; [unrolled: 1-line block ×6, first 2 shown]
	ds_load_b128 v[34:37], v33
	ds_load_b128 v[38:41], v33 offset:256
	ds_load_2addr_b32 v[64:65], v32 offset0:224 offset1:240
	ds_load_b128 v[42:45], v33 offset:512
	ds_load_b128 v[46:49], v33 offset:768
	s_wait_dscnt 0x0
	s_barrier_signal -1
	s_barrier_wait -1
	v_dual_mov_b32 v66, v51 :: v_dual_mov_b32 v67, v50
	v_dual_mov_b32 v50, v53 :: v_dual_mov_b32 v51, v52
	;; [unrolled: 1-line block ×6, first 2 shown]
	v_pk_fma_f32 v[24:25], v[66:67], v[34:35], v[24:25] op_sel_hi:[1,0,1]
	v_pk_fma_f32 v[20:21], v[66:67], v[38:39], v[20:21] op_sel_hi:[1,0,1]
	s_delay_alu instid0(VALU_DEP_4)
	v_pk_fma_f32 v[22:23], v[56:57], v[34:35], v[22:23] op_sel_hi:[1,0,1]
	v_pk_fma_f32 v[16:17], v[66:67], v[42:43], v[16:17] op_sel_hi:[1,0,1]
	;; [unrolled: 1-line block ×6, first 2 shown]
	v_dual_mov_b32 v60, v63 :: v_dual_mov_b32 v61, v62
	v_pk_fma_f32 v[24:25], v[50:51], v[34:35], v[24:25] op_sel:[0,1,0]
	v_pk_fma_f32 v[22:23], v[58:59], v[34:35], v[22:23] op_sel:[0,1,0]
	;; [unrolled: 1-line block ×8, first 2 shown]
	v_dual_mov_b32 v62, v37 :: v_dual_mov_b32 v68, v65
	v_dual_mov_b32 v69, v64 :: v_dual_mov_b32 v64, v41
	;; [unrolled: 1-line block ×3, first 2 shown]
	v_pk_fma_f32 v[24:25], v[52:53], v[36:37], v[24:25] op_sel_hi:[1,0,1]
	v_pk_fma_f32 v[22:23], v[60:61], v[36:37], v[22:23] op_sel_hi:[1,0,1]
	;; [unrolled: 1-line block ×16, first 2 shown]
	s_cbranch_vccnz .LBB369_5
.LBB369_6:                              ;   in Loop: Header=BB369_3 Depth=1
	s_mul_u64 s[18:19], s[22:23], s[2:3]
	s_and_not1_b32 vcc_lo, exec_lo, s1
	s_lshl_b64 s[18:19], s[18:19], 1
	s_delay_alu instid0(SALU_CYCLE_1) | instskip(NEXT) | instid1(SALU_CYCLE_1)
	s_add_nc_u64 s[18:19], s[10:11], s[18:19]
	v_lshl_add_u64 v[26:27], v[0:1], 1, s[18:19]
	s_delay_alu instid0(VALU_DEP_1)
	v_add_nc_u64_e32 v[28:29], v[26:27], v[8:9]
	v_add_nc_u64_e32 v[26:27], s[14:15], v[26:27]
	s_cbranch_vccnz .LBB369_8
; %bb.7:                                ;   in Loop: Header=BB369_3 Depth=1
	v_fma_mixlo_f16 v36, s30, v25, 0
	v_fma_mixlo_f16 v37, s30, v24, 0
	s_delay_alu instid0(VALU_DEP_3)
	v_add_nc_u64_e32 v[34:35], s[14:15], v[26:27]
	v_fma_mixlo_f16 v38, s30, v23, 0
	v_fma_mixlo_f16 v39, s30, v22, 0
	s_clause 0x3
	global_store_b16 v[28:29], v36, off
	global_store_b16 v[28:29], v37, off offset:32
	global_store_b16 v[28:29], v38, off offset:64
	;; [unrolled: 1-line block ×3, first 2 shown]
	s_wait_xcnt 0x2
	v_add_nc_u64_e32 v[36:37], v[26:27], v[8:9]
	v_fma_mixlo_f16 v40, s30, v21, 0
	v_fma_mixlo_f16 v41, s30, v20, 0
	s_wait_xcnt 0x0
	v_add_nc_u64_e32 v[38:39], v[34:35], v[8:9]
	v_add_nc_u64_e32 v[34:35], s[14:15], v[34:35]
	v_fma_mixlo_f16 v42, s30, v19, 0
	v_fma_mixlo_f16 v43, s30, v18, 0
	s_clause 0x3
	global_store_b16 v[36:37], v40, off
	global_store_b16 v[36:37], v41, off offset:32
	global_store_b16 v[36:37], v42, off offset:64
	;; [unrolled: 1-line block ×3, first 2 shown]
	s_wait_xcnt 0x0
	v_fma_mixlo_f16 v36, s30, v17, 0
	v_fma_mixlo_f16 v37, s30, v16, 0
	;; [unrolled: 1-line block ×4, first 2 shown]
	v_add_nc_u64_e32 v[34:35], v[34:35], v[8:9]
	s_clause 0x3
	global_store_b16 v[38:39], v36, off
	global_store_b16 v[38:39], v37, off offset:32
	global_store_b16 v[38:39], v40, off offset:64
	;; [unrolled: 1-line block ×3, first 2 shown]
	s_wait_xcnt 0x3
	v_fma_mixlo_f16 v36, s30, v13, 0
	s_wait_xcnt 0x2
	v_fma_mixlo_f16 v37, s30, v12, 0
	;; [unrolled: 2-line block ×3, first 2 shown]
	v_fma_mixlo_f16 v39, s30, v10, 0
	s_clause 0x3
	global_store_b16 v[34:35], v36, off
	global_store_b16 v[34:35], v37, off offset:32
	global_store_b16 v[34:35], v38, off offset:64
	;; [unrolled: 1-line block ×3, first 2 shown]
	s_cbranch_execnz .LBB369_2
	s_branch .LBB369_9
.LBB369_8:                              ;   in Loop: Header=BB369_3 Depth=1
.LBB369_9:                              ;   in Loop: Header=BB369_3 Depth=1
	s_mul_u64 s[18:19], s[8:9], s[2:3]
	s_wait_xcnt 0x0
	v_lshl_add_u64 v[34:35], s[18:19], 1, v[2:3]
	s_delay_alu instid0(VALU_DEP_1) | instskip(SKIP_3) | instid1(VALU_DEP_1)
	v_add_nc_u64_e32 v[36:37], v[34:35], v[8:9]
	global_load_u16 v38, v[36:37], off
	s_wait_loadcnt 0x0
	v_cvt_f32_f16_e32 v38, v38
	v_mul_f32_e32 v38, s33, v38
	s_delay_alu instid0(VALU_DEP_1) | instskip(SKIP_4) | instid1(VALU_DEP_1)
	v_fma_mixlo_f16 v25, s30, v25, v38
	global_store_b16 v[28:29], v25, off
	global_load_u16 v25, v[36:37], off offset:32
	s_wait_loadcnt 0x0
	v_cvt_f32_f16_e32 v25, v25
	v_mul_f32_e32 v25, s33, v25
	s_delay_alu instid0(VALU_DEP_1) | instskip(SKIP_4) | instid1(VALU_DEP_1)
	v_fma_mixlo_f16 v24, s30, v24, v25
	global_store_b16 v[28:29], v24, off offset:32
	global_load_u16 v24, v[36:37], off offset:64
	s_wait_loadcnt 0x0
	v_cvt_f32_f16_e32 v24, v24
	v_mul_f32_e32 v24, s33, v24
	s_delay_alu instid0(VALU_DEP_1)
	v_fma_mixlo_f16 v23, s30, v23, v24
	v_add_nc_u64_e32 v[24:25], s[16:17], v[34:35]
	global_store_b16 v[28:29], v23, off offset:64
	global_load_u16 v23, v[36:37], off offset:96
	v_add_nc_u64_e32 v[34:35], v[24:25], v[8:9]
	s_wait_loadcnt 0x0
	v_cvt_f32_f16_e32 v23, v23
	s_delay_alu instid0(VALU_DEP_1) | instskip(NEXT) | instid1(VALU_DEP_1)
	v_mul_f32_e32 v23, s33, v23
	v_fma_mixlo_f16 v22, s30, v22, v23
	global_store_b16 v[28:29], v22, off offset:96
	global_load_u16 v22, v[34:35], off
	s_wait_loadcnt 0x0
	v_cvt_f32_f16_e32 v22, v22
	s_delay_alu instid0(VALU_DEP_1) | instskip(SKIP_1) | instid1(VALU_DEP_2)
	v_mul_f32_e32 v28, s33, v22
	v_add_nc_u64_e32 v[22:23], v[26:27], v[8:9]
	v_fma_mixlo_f16 v21, s30, v21, v28
	global_store_b16 v[22:23], v21, off
	global_load_u16 v21, v[34:35], off offset:32
	s_wait_loadcnt 0x0
	v_cvt_f32_f16_e32 v21, v21
	s_delay_alu instid0(VALU_DEP_1) | instskip(NEXT) | instid1(VALU_DEP_1)
	v_mul_f32_e32 v21, s33, v21
	v_fma_mixlo_f16 v20, s30, v20, v21
	global_store_b16 v[22:23], v20, off offset:32
	global_load_u16 v20, v[34:35], off offset:64
	s_wait_loadcnt 0x0
	v_cvt_f32_f16_e32 v20, v20
	s_delay_alu instid0(VALU_DEP_1) | instskip(NEXT) | instid1(VALU_DEP_1)
	v_mul_f32_e32 v20, s33, v20
	v_fma_mixlo_f16 v19, s30, v19, v20
	v_add_nc_u64_e32 v[20:21], s[16:17], v[24:25]
	global_store_b16 v[22:23], v19, off offset:64
	global_load_u16 v19, v[34:35], off offset:96
	v_add_nc_u64_e32 v[24:25], v[20:21], v[8:9]
	s_wait_loadcnt 0x0
	v_cvt_f32_f16_e32 v19, v19
	s_delay_alu instid0(VALU_DEP_1) | instskip(NEXT) | instid1(VALU_DEP_1)
	v_mul_f32_e32 v19, s33, v19
	v_fma_mixlo_f16 v18, s30, v18, v19
	global_store_b16 v[22:23], v18, off offset:96
	global_load_u16 v18, v[24:25], off
	s_wait_loadcnt 0x0
	v_cvt_f32_f16_e32 v22, v18
	v_add_nc_u64_e32 v[18:19], s[14:15], v[26:27]
	s_delay_alu instid0(VALU_DEP_2) | instskip(NEXT) | instid1(VALU_DEP_2)
	v_mul_f32_e32 v26, s33, v22
	v_add_nc_u64_e32 v[22:23], v[18:19], v[8:9]
	s_delay_alu instid0(VALU_DEP_2) | instskip(SKIP_4) | instid1(VALU_DEP_1)
	v_fma_mixlo_f16 v17, s30, v17, v26
	global_store_b16 v[22:23], v17, off
	global_load_u16 v17, v[24:25], off offset:32
	s_wait_loadcnt 0x0
	v_cvt_f32_f16_e32 v17, v17
	v_mul_f32_e32 v17, s33, v17
	s_delay_alu instid0(VALU_DEP_1) | instskip(SKIP_4) | instid1(VALU_DEP_1)
	v_fma_mixlo_f16 v16, s30, v16, v17
	global_store_b16 v[22:23], v16, off offset:32
	global_load_u16 v16, v[24:25], off offset:64
	s_wait_loadcnt 0x0
	v_cvt_f32_f16_e32 v16, v16
	v_mul_f32_e32 v16, s33, v16
	s_delay_alu instid0(VALU_DEP_1)
	v_fma_mixlo_f16 v15, s30, v15, v16
	v_add_nc_u64_e32 v[16:17], s[16:17], v[20:21]
	global_store_b16 v[22:23], v15, off offset:64
	global_load_u16 v15, v[24:25], off offset:96
	v_add_nc_u64_e32 v[16:17], v[16:17], v[8:9]
	s_wait_loadcnt 0x0
	v_cvt_f32_f16_e32 v15, v15
	s_delay_alu instid0(VALU_DEP_1) | instskip(NEXT) | instid1(VALU_DEP_1)
	v_mul_f32_e32 v15, s33, v15
	v_fma_mixlo_f16 v14, s30, v14, v15
	global_store_b16 v[22:23], v14, off offset:96
	global_load_u16 v14, v[16:17], off
	s_wait_loadcnt 0x0
	v_cvt_f32_f16_e32 v20, v14
	v_add_nc_u64_e32 v[14:15], s[14:15], v[18:19]
	s_delay_alu instid0(VALU_DEP_2) | instskip(NEXT) | instid1(VALU_DEP_2)
	v_mul_f32_e32 v18, s33, v20
	v_add_nc_u64_e32 v[14:15], v[14:15], v[8:9]
	s_delay_alu instid0(VALU_DEP_2) | instskip(SKIP_4) | instid1(VALU_DEP_1)
	v_fma_mixlo_f16 v13, s30, v13, v18
	global_store_b16 v[14:15], v13, off
	global_load_u16 v13, v[16:17], off offset:32
	s_wait_loadcnt 0x0
	v_cvt_f32_f16_e32 v13, v13
	v_mul_f32_e32 v13, s33, v13
	s_delay_alu instid0(VALU_DEP_1) | instskip(SKIP_4) | instid1(VALU_DEP_1)
	v_fma_mixlo_f16 v12, s30, v12, v13
	global_store_b16 v[14:15], v12, off offset:32
	global_load_u16 v12, v[16:17], off offset:64
	s_wait_loadcnt 0x0
	v_cvt_f32_f16_e32 v12, v12
	v_mul_f32_e32 v12, s33, v12
	s_delay_alu instid0(VALU_DEP_1) | instskip(SKIP_4) | instid1(VALU_DEP_1)
	v_fma_mixlo_f16 v11, s30, v11, v12
	global_store_b16 v[14:15], v11, off offset:64
	global_load_u16 v11, v[16:17], off offset:96
	s_wait_loadcnt 0x0
	v_cvt_f32_f16_e32 v11, v11
	v_mul_f32_e32 v11, s33, v11
	s_delay_alu instid0(VALU_DEP_1)
	v_fma_mixlo_f16 v10, s30, v10, v11
	global_store_b16 v[14:15], v10, off offset:96
	s_branch .LBB369_2
.LBB369_10:
	s_sendmsg sendmsg(MSG_DEALLOC_VGPRS)
	s_endpgm
	.section	.rodata,"a",@progbits
	.p2align	6, 0x0
	.amdhsa_kernel _ZN12_GLOBAL__N_127rocblas_gemm_batched_kernelIfLi16ELi16ELi64ELi64ELi4ELi64ELi4ELi4ELi64ELc67ELc84EKDF16_S1_DF16_EEvlllT_PT11_llS4_llS2_PT12_llPT13_lli
		.amdhsa_group_segment_fixed_size 2048
		.amdhsa_private_segment_fixed_size 0
		.amdhsa_kernarg_size 140
		.amdhsa_user_sgpr_count 2
		.amdhsa_user_sgpr_dispatch_ptr 0
		.amdhsa_user_sgpr_queue_ptr 0
		.amdhsa_user_sgpr_kernarg_segment_ptr 1
		.amdhsa_user_sgpr_dispatch_id 0
		.amdhsa_user_sgpr_kernarg_preload_length 0
		.amdhsa_user_sgpr_kernarg_preload_offset 0
		.amdhsa_user_sgpr_private_segment_size 0
		.amdhsa_wavefront_size32 1
		.amdhsa_uses_dynamic_stack 0
		.amdhsa_enable_private_segment 0
		.amdhsa_system_sgpr_workgroup_id_x 1
		.amdhsa_system_sgpr_workgroup_id_y 1
		.amdhsa_system_sgpr_workgroup_id_z 1
		.amdhsa_system_sgpr_workgroup_info 0
		.amdhsa_system_vgpr_workitem_id 1
		.amdhsa_next_free_vgpr 74
		.amdhsa_next_free_sgpr 38
		.amdhsa_named_barrier_count 0
		.amdhsa_reserve_vcc 1
		.amdhsa_float_round_mode_32 0
		.amdhsa_float_round_mode_16_64 0
		.amdhsa_float_denorm_mode_32 3
		.amdhsa_float_denorm_mode_16_64 3
		.amdhsa_fp16_overflow 0
		.amdhsa_memory_ordered 1
		.amdhsa_forward_progress 1
		.amdhsa_inst_pref_size 20
		.amdhsa_round_robin_scheduling 0
		.amdhsa_exception_fp_ieee_invalid_op 0
		.amdhsa_exception_fp_denorm_src 0
		.amdhsa_exception_fp_ieee_div_zero 0
		.amdhsa_exception_fp_ieee_overflow 0
		.amdhsa_exception_fp_ieee_underflow 0
		.amdhsa_exception_fp_ieee_inexact 0
		.amdhsa_exception_int_div_zero 0
	.end_amdhsa_kernel
	.section	.text._ZN12_GLOBAL__N_127rocblas_gemm_batched_kernelIfLi16ELi16ELi64ELi64ELi4ELi64ELi4ELi4ELi64ELc67ELc84EKDF16_S1_DF16_EEvlllT_PT11_llS4_llS2_PT12_llPT13_lli,"axG",@progbits,_ZN12_GLOBAL__N_127rocblas_gemm_batched_kernelIfLi16ELi16ELi64ELi64ELi4ELi64ELi4ELi4ELi64ELc67ELc84EKDF16_S1_DF16_EEvlllT_PT11_llS4_llS2_PT12_llPT13_lli,comdat
.Lfunc_end369:
	.size	_ZN12_GLOBAL__N_127rocblas_gemm_batched_kernelIfLi16ELi16ELi64ELi64ELi4ELi64ELi4ELi4ELi64ELc67ELc84EKDF16_S1_DF16_EEvlllT_PT11_llS4_llS2_PT12_llPT13_lli, .Lfunc_end369-_ZN12_GLOBAL__N_127rocblas_gemm_batched_kernelIfLi16ELi16ELi64ELi64ELi4ELi64ELi4ELi4ELi64ELc67ELc84EKDF16_S1_DF16_EEvlllT_PT11_llS4_llS2_PT12_llPT13_lli
                                        ; -- End function
	.set _ZN12_GLOBAL__N_127rocblas_gemm_batched_kernelIfLi16ELi16ELi64ELi64ELi4ELi64ELi4ELi4ELi64ELc67ELc84EKDF16_S1_DF16_EEvlllT_PT11_llS4_llS2_PT12_llPT13_lli.num_vgpr, 74
	.set _ZN12_GLOBAL__N_127rocblas_gemm_batched_kernelIfLi16ELi16ELi64ELi64ELi4ELi64ELi4ELi4ELi64ELc67ELc84EKDF16_S1_DF16_EEvlllT_PT11_llS4_llS2_PT12_llPT13_lli.num_agpr, 0
	.set _ZN12_GLOBAL__N_127rocblas_gemm_batched_kernelIfLi16ELi16ELi64ELi64ELi4ELi64ELi4ELi4ELi64ELc67ELc84EKDF16_S1_DF16_EEvlllT_PT11_llS4_llS2_PT12_llPT13_lli.numbered_sgpr, 38
	.set _ZN12_GLOBAL__N_127rocblas_gemm_batched_kernelIfLi16ELi16ELi64ELi64ELi4ELi64ELi4ELi4ELi64ELc67ELc84EKDF16_S1_DF16_EEvlllT_PT11_llS4_llS2_PT12_llPT13_lli.num_named_barrier, 0
	.set _ZN12_GLOBAL__N_127rocblas_gemm_batched_kernelIfLi16ELi16ELi64ELi64ELi4ELi64ELi4ELi4ELi64ELc67ELc84EKDF16_S1_DF16_EEvlllT_PT11_llS4_llS2_PT12_llPT13_lli.private_seg_size, 0
	.set _ZN12_GLOBAL__N_127rocblas_gemm_batched_kernelIfLi16ELi16ELi64ELi64ELi4ELi64ELi4ELi4ELi64ELc67ELc84EKDF16_S1_DF16_EEvlllT_PT11_llS4_llS2_PT12_llPT13_lli.uses_vcc, 1
	.set _ZN12_GLOBAL__N_127rocblas_gemm_batched_kernelIfLi16ELi16ELi64ELi64ELi4ELi64ELi4ELi4ELi64ELc67ELc84EKDF16_S1_DF16_EEvlllT_PT11_llS4_llS2_PT12_llPT13_lli.uses_flat_scratch, 0
	.set _ZN12_GLOBAL__N_127rocblas_gemm_batched_kernelIfLi16ELi16ELi64ELi64ELi4ELi64ELi4ELi4ELi64ELc67ELc84EKDF16_S1_DF16_EEvlllT_PT11_llS4_llS2_PT12_llPT13_lli.has_dyn_sized_stack, 0
	.set _ZN12_GLOBAL__N_127rocblas_gemm_batched_kernelIfLi16ELi16ELi64ELi64ELi4ELi64ELi4ELi4ELi64ELc67ELc84EKDF16_S1_DF16_EEvlllT_PT11_llS4_llS2_PT12_llPT13_lli.has_recursion, 0
	.set _ZN12_GLOBAL__N_127rocblas_gemm_batched_kernelIfLi16ELi16ELi64ELi64ELi4ELi64ELi4ELi4ELi64ELc67ELc84EKDF16_S1_DF16_EEvlllT_PT11_llS4_llS2_PT12_llPT13_lli.has_indirect_call, 0
	.section	.AMDGPU.csdata,"",@progbits
; Kernel info:
; codeLenInByte = 2532
; TotalNumSgprs: 40
; NumVgprs: 74
; ScratchSize: 0
; MemoryBound: 0
; FloatMode: 240
; IeeeMode: 1
; LDSByteSize: 2048 bytes/workgroup (compile time only)
; SGPRBlocks: 0
; VGPRBlocks: 4
; NumSGPRsForWavesPerEU: 40
; NumVGPRsForWavesPerEU: 74
; NamedBarCnt: 0
; Occupancy: 12
; WaveLimiterHint : 0
; COMPUTE_PGM_RSRC2:SCRATCH_EN: 0
; COMPUTE_PGM_RSRC2:USER_SGPR: 2
; COMPUTE_PGM_RSRC2:TRAP_HANDLER: 0
; COMPUTE_PGM_RSRC2:TGID_X_EN: 1
; COMPUTE_PGM_RSRC2:TGID_Y_EN: 1
; COMPUTE_PGM_RSRC2:TGID_Z_EN: 1
; COMPUTE_PGM_RSRC2:TIDIG_COMP_CNT: 1
	.section	.text._ZN12_GLOBAL__N_127rocblas_gemm_batched_kernelIfLi16ELi16ELi64ELi64ELi4ELi64ELi4ELi4ELi64ELc78ELc67EKDF16_S1_DF16_EEvlllT_PT11_llS4_llS2_PT12_llPT13_lli,"axG",@progbits,_ZN12_GLOBAL__N_127rocblas_gemm_batched_kernelIfLi16ELi16ELi64ELi64ELi4ELi64ELi4ELi4ELi64ELc78ELc67EKDF16_S1_DF16_EEvlllT_PT11_llS4_llS2_PT12_llPT13_lli,comdat
	.globl	_ZN12_GLOBAL__N_127rocblas_gemm_batched_kernelIfLi16ELi16ELi64ELi64ELi4ELi64ELi4ELi4ELi64ELc78ELc67EKDF16_S1_DF16_EEvlllT_PT11_llS4_llS2_PT12_llPT13_lli ; -- Begin function _ZN12_GLOBAL__N_127rocblas_gemm_batched_kernelIfLi16ELi16ELi64ELi64ELi4ELi64ELi4ELi4ELi64ELc78ELc67EKDF16_S1_DF16_EEvlllT_PT11_llS4_llS2_PT12_llPT13_lli
	.p2align	8
	.type	_ZN12_GLOBAL__N_127rocblas_gemm_batched_kernelIfLi16ELi16ELi64ELi64ELi4ELi64ELi4ELi4ELi64ELc78ELc67EKDF16_S1_DF16_EEvlllT_PT11_llS4_llS2_PT12_llPT13_lli,@function
_ZN12_GLOBAL__N_127rocblas_gemm_batched_kernelIfLi16ELi16ELi64ELi64ELi4ELi64ELi4ELi4ELi64ELc78ELc67EKDF16_S1_DF16_EEvlllT_PT11_llS4_llS2_PT12_llPT13_lli: ; @_ZN12_GLOBAL__N_127rocblas_gemm_batched_kernelIfLi16ELi16ELi64ELi64ELi4ELi64ELi4ELi4ELi64ELc78ELc67EKDF16_S1_DF16_EEvlllT_PT11_llS4_llS2_PT12_llPT13_lli
; %bb.0:
	s_load_b32 s31, s[0:1], 0x88
	s_bfe_u32 s2, ttmp6, 0x40014
	s_lshr_b32 s3, ttmp7, 16
	s_add_co_i32 s2, s2, 1
	s_bfe_u32 s4, ttmp6, 0x40008
	s_mul_i32 s2, s3, s2
	s_getreg_b32 s20, hwreg(HW_REG_IB_STS2, 6, 4)
	s_add_co_i32 s4, s4, s2
	s_cmp_eq_u32 s20, 0
	s_cselect_b32 s2, s3, s4
	s_mov_b32 s3, 0
	s_wait_kmcnt 0x0
	s_cmp_ge_i32 s2, s31
	s_cbranch_scc1 .LBB370_10
; %bb.1:
	s_bfe_u32 s21, ttmp6, 0x4000c
	s_bfe_u32 s23, ttmp6, 0x40010
	s_clause 0x2
	s_load_b256 s[12:19], s[0:1], 0x20
	s_load_b128 s[24:27], s[0:1], 0x40
	s_load_b256 s[4:11], s[0:1], 0x58
	s_add_co_i32 s21, s21, 1
	s_and_b32 s28, ttmp7, 0xffff
	s_add_co_i32 s23, s23, 1
	s_and_b32 s22, ttmp6, 15
	s_mul_i32 s21, ttmp9, s21
	s_mul_i32 s23, s28, s23
	s_bfe_u32 s29, ttmp6, 0x40004
	s_add_co_i32 s22, s22, s21
	s_add_co_i32 s29, s29, s23
	s_cmp_eq_u32 s20, 0
	v_bfe_u32 v2, v0, 10, 10
	v_mov_b32_e32 v3, 0
	s_cselect_b32 s20, s28, s29
	s_cselect_b32 s28, ttmp9, s22
	s_lshl_b32 s34, s20, 6
	s_load_b128 s[20:23], s[0:1], 0x78
	s_mov_b32 s35, s3
	v_and_b32_e32 v4, 0x3ff, v0
	v_lshlrev_b32_e32 v16, 4, v2
	v_add_nc_u64_e32 v[6:7], s[34:35], v[2:3]
	v_mov_b32_e32 v9, v3
	s_ashr_i32 s29, s28, 31
	s_load_b32 s33, s[0:1], 0x50
	v_add_nc_u32_e32 v1, v16, v4
	v_and_b32_e32 v5, 3, v0
	s_lshl_b64 s[36:37], s[28:29], 6
	s_wait_kmcnt 0x0
	v_mul_u64_e32 v[10:11], s[6:7], v[6:7]
	s_load_b96 s[28:30], s[0:1], 0x10
	v_dual_lshrrev_b32 v8, 2, v1 :: v_dual_lshrrev_b32 v17, 6, v1
	v_dual_lshlrev_b32 v32, 2, v4 :: v_dual_bitop2_b32 v2, 63, v1 bitop3:0x40
	v_add_nc_u32_e32 v33, 0x400, v16
	s_delay_alu instid0(VALU_DEP_3) | instskip(NEXT) | instid1(VALU_DEP_4)
	v_mad_nc_u64_u32 v[12:13], s24, v5, v[8:9]
	v_mad_nc_u64_u32 v[14:15], s14, v17, s[36:37]
	v_mul_u64_e32 v[0:1], s[20:21], v[6:7]
	v_dual_lshlrev_b32 v9, 2, v5 :: v_dual_lshlrev_b32 v6, 2, v2
	s_delay_alu instid0(VALU_DEP_1) | instskip(NEXT) | instid1(VALU_DEP_2)
	v_lshl_or_b32 v7, v8, 4, v9
	v_lshl_or_b32 v30, v17, 8, v6
	s_cmp_eq_f32 s33, 0
	v_mad_u32 v13, s25, v5, v13
	v_mad_u32 v15, s15, v17, v15
	v_mov_b32_e32 v5, v3
	s_wait_kmcnt 0x0
	v_cmp_gt_i64_e64 s0, s[28:29], 0
	v_add_nc_u32_e32 v31, 0x400, v7
	s_cselect_b32 s1, -1, 0
	s_lshl_b64 s[20:21], s[20:21], 4
	v_add_nc_u64_e32 v[8:9], s[36:37], v[4:5]
	s_lshl_b64 s[14:15], s[14:15], 3
	v_add_nc_u64_e32 v[6:7], s[34:35], v[12:13]
	v_add_nc_u64_e32 v[12:13], v[14:15], v[2:3]
	s_lshl_b64 s[34:35], s[6:7], 4
	v_lshl_add_u64 v[2:3], v[10:11], 1, s[4:5]
	v_cndmask_b32_e64 v10, 0, 1, s0
	v_lshlrev_b64_e32 v[8:9], 1, v[8:9]
	s_lshl_b64 s[4:5], s[26:27], 1
	v_lshl_add_u64 v[4:5], v[6:7], 1, s[18:19]
	v_lshl_add_u64 v[6:7], v[12:13], 1, s[12:13]
	v_cmp_ne_u32_e64 s0, 1, v10
	s_lshl_b64 s[6:7], s[24:25], 3
	s_lshl_b64 s[12:13], s[16:17], 1
	;; [unrolled: 1-line block ×4, first 2 shown]
	s_branch .LBB370_3
.LBB370_2:                              ;   in Loop: Header=BB370_3 Depth=1
	s_add_co_i32 s2, s2, 0x10000
	s_delay_alu instid0(SALU_CYCLE_1)
	s_cmp_lt_i32 s2, s31
	s_cbranch_scc0 .LBB370_10
.LBB370_3:                              ; =>This Loop Header: Depth=1
                                        ;     Child Loop BB370_5 Depth 2
	v_dual_mov_b32 v25, 0 :: v_dual_mov_b32 v24, 0
	v_dual_mov_b32 v23, 0 :: v_dual_mov_b32 v22, 0
	;; [unrolled: 1-line block ×4, first 2 shown]
	s_wait_xcnt 0x1
	v_dual_mov_b32 v17, 0 :: v_dual_mov_b32 v16, 0
	s_wait_xcnt 0x0
	v_dual_mov_b32 v15, 0 :: v_dual_mov_b32 v14, 0
	v_dual_mov_b32 v13, 0 :: v_dual_mov_b32 v12, 0
	;; [unrolled: 1-line block ×3, first 2 shown]
	s_and_b32 vcc_lo, exec_lo, s0
	s_cbranch_vccnz .LBB370_6
; %bb.4:                                ;   in Loop: Header=BB370_3 Depth=1
	v_mad_nc_u64_u32 v[26:27], s4, s2, v[4:5]
	v_mad_nc_u64_u32 v[28:29], s12, s2, v[6:7]
	v_mov_b32_e32 v10, 0
	s_mov_b64 s[20:21], 0
	s_delay_alu instid0(VALU_DEP_1)
	v_dual_mov_b32 v11, v10 :: v_dual_mov_b32 v12, v10
	v_dual_mov_b32 v13, v10 :: v_dual_mov_b32 v14, v10
	v_mad_u32 v27, s5, s2, v27
	v_mad_u32 v29, s13, s2, v29
	v_dual_mov_b32 v15, v10 :: v_dual_mov_b32 v16, v10
	v_dual_mov_b32 v17, v10 :: v_dual_mov_b32 v18, v10
	;; [unrolled: 1-line block ×5, first 2 shown]
	v_mov_b32_e32 v25, v10
.LBB370_5:                              ;   Parent Loop BB370_3 Depth=1
                                        ; =>  This Inner Loop Header: Depth=2
	global_load_u16 v34, v[28:29], off
	global_load_u16 v35, v[26:27], off
	s_add_nc_u64 s[20:21], s[20:21], 4
	s_wait_xcnt 0x0
	v_add_nc_u64_e32 v[26:27], s[6:7], v[26:27]
	v_cmp_lt_i64_e64 s24, s[20:21], s[28:29]
	v_add_nc_u64_e32 v[28:29], s[14:15], v[28:29]
	s_and_b32 vcc_lo, exec_lo, s24
	s_wait_loadcnt 0x1
	v_cvt_f32_f16_e32 v34, v34
	s_wait_loadcnt 0x0
	v_cvt_f32_f16_e32 v35, v35
	ds_store_b32 v30, v34
	ds_store_b32 v31, v35
	s_wait_dscnt 0x0
	s_barrier_signal -1
	s_barrier_wait -1
	ds_load_2addr_b32 v[50:51], v32 offset1:16
	ds_load_2addr_b32 v[52:53], v32 offset0:64 offset1:80
	ds_load_2addr_b32 v[54:55], v32 offset0:128 offset1:144
	;; [unrolled: 1-line block ×6, first 2 shown]
	ds_load_b128 v[34:37], v33
	ds_load_b128 v[38:41], v33 offset:256
	ds_load_2addr_b32 v[64:65], v32 offset0:224 offset1:240
	ds_load_b128 v[42:45], v33 offset:512
	ds_load_b128 v[46:49], v33 offset:768
	s_wait_dscnt 0x0
	s_barrier_signal -1
	s_barrier_wait -1
	v_dual_mov_b32 v66, v51 :: v_dual_mov_b32 v67, v50
	v_dual_mov_b32 v50, v53 :: v_dual_mov_b32 v51, v52
	;; [unrolled: 1-line block ×6, first 2 shown]
	v_pk_fma_f32 v[24:25], v[66:67], v[34:35], v[24:25] op_sel_hi:[1,0,1]
	v_pk_fma_f32 v[20:21], v[66:67], v[38:39], v[20:21] op_sel_hi:[1,0,1]
	s_delay_alu instid0(VALU_DEP_4)
	v_pk_fma_f32 v[22:23], v[56:57], v[34:35], v[22:23] op_sel_hi:[1,0,1]
	v_pk_fma_f32 v[16:17], v[66:67], v[42:43], v[16:17] op_sel_hi:[1,0,1]
	;; [unrolled: 1-line block ×6, first 2 shown]
	v_dual_mov_b32 v60, v63 :: v_dual_mov_b32 v61, v62
	v_pk_fma_f32 v[24:25], v[50:51], v[34:35], v[24:25] op_sel:[0,1,0]
	v_pk_fma_f32 v[22:23], v[58:59], v[34:35], v[22:23] op_sel:[0,1,0]
	v_pk_fma_f32 v[20:21], v[50:51], v[38:39], v[20:21] op_sel:[0,1,0]
	v_pk_fma_f32 v[16:17], v[50:51], v[42:43], v[16:17] op_sel:[0,1,0]
	v_pk_fma_f32 v[12:13], v[50:51], v[46:47], v[12:13] op_sel:[0,1,0]
	v_pk_fma_f32 v[18:19], v[58:59], v[38:39], v[18:19] op_sel:[0,1,0]
	v_pk_fma_f32 v[14:15], v[58:59], v[42:43], v[14:15] op_sel:[0,1,0]
	v_pk_fma_f32 v[10:11], v[58:59], v[46:47], v[10:11] op_sel:[0,1,0]
	v_dual_mov_b32 v62, v37 :: v_dual_mov_b32 v68, v65
	v_dual_mov_b32 v69, v64 :: v_dual_mov_b32 v64, v41
	;; [unrolled: 1-line block ×3, first 2 shown]
	v_pk_fma_f32 v[24:25], v[52:53], v[36:37], v[24:25] op_sel_hi:[1,0,1]
	v_pk_fma_f32 v[22:23], v[60:61], v[36:37], v[22:23] op_sel_hi:[1,0,1]
	;; [unrolled: 1-line block ×16, first 2 shown]
	s_cbranch_vccnz .LBB370_5
.LBB370_6:                              ;   in Loop: Header=BB370_3 Depth=1
	s_mul_u64 s[20:21], s[22:23], s[2:3]
	s_and_not1_b32 vcc_lo, exec_lo, s1
	s_lshl_b64 s[20:21], s[20:21], 1
	s_delay_alu instid0(SALU_CYCLE_1) | instskip(NEXT) | instid1(SALU_CYCLE_1)
	s_add_nc_u64 s[20:21], s[10:11], s[20:21]
	v_lshl_add_u64 v[26:27], v[0:1], 1, s[20:21]
	s_delay_alu instid0(VALU_DEP_1)
	v_add_nc_u64_e32 v[28:29], v[26:27], v[8:9]
	v_add_nc_u64_e32 v[26:27], s[16:17], v[26:27]
	s_cbranch_vccnz .LBB370_8
; %bb.7:                                ;   in Loop: Header=BB370_3 Depth=1
	v_fma_mixlo_f16 v36, s30, v25, 0
	v_fma_mixlo_f16 v37, s30, v24, 0
	s_delay_alu instid0(VALU_DEP_3)
	v_add_nc_u64_e32 v[34:35], s[16:17], v[26:27]
	v_fma_mixlo_f16 v38, s30, v23, 0
	v_fma_mixlo_f16 v39, s30, v22, 0
	s_clause 0x3
	global_store_b16 v[28:29], v36, off
	global_store_b16 v[28:29], v37, off offset:32
	global_store_b16 v[28:29], v38, off offset:64
	;; [unrolled: 1-line block ×3, first 2 shown]
	s_wait_xcnt 0x2
	v_add_nc_u64_e32 v[36:37], v[26:27], v[8:9]
	v_fma_mixlo_f16 v40, s30, v21, 0
	v_fma_mixlo_f16 v41, s30, v20, 0
	s_wait_xcnt 0x0
	v_add_nc_u64_e32 v[38:39], v[34:35], v[8:9]
	v_add_nc_u64_e32 v[34:35], s[16:17], v[34:35]
	v_fma_mixlo_f16 v42, s30, v19, 0
	v_fma_mixlo_f16 v43, s30, v18, 0
	s_clause 0x3
	global_store_b16 v[36:37], v40, off
	global_store_b16 v[36:37], v41, off offset:32
	global_store_b16 v[36:37], v42, off offset:64
	;; [unrolled: 1-line block ×3, first 2 shown]
	s_wait_xcnt 0x0
	v_fma_mixlo_f16 v36, s30, v17, 0
	v_fma_mixlo_f16 v37, s30, v16, 0
	;; [unrolled: 1-line block ×4, first 2 shown]
	v_add_nc_u64_e32 v[34:35], v[34:35], v[8:9]
	s_clause 0x3
	global_store_b16 v[38:39], v36, off
	global_store_b16 v[38:39], v37, off offset:32
	global_store_b16 v[38:39], v40, off offset:64
	;; [unrolled: 1-line block ×3, first 2 shown]
	s_wait_xcnt 0x3
	v_fma_mixlo_f16 v36, s30, v13, 0
	s_wait_xcnt 0x2
	v_fma_mixlo_f16 v37, s30, v12, 0
	;; [unrolled: 2-line block ×3, first 2 shown]
	v_fma_mixlo_f16 v39, s30, v10, 0
	s_clause 0x3
	global_store_b16 v[34:35], v36, off
	global_store_b16 v[34:35], v37, off offset:32
	global_store_b16 v[34:35], v38, off offset:64
	;; [unrolled: 1-line block ×3, first 2 shown]
	s_cbranch_execnz .LBB370_2
	s_branch .LBB370_9
.LBB370_8:                              ;   in Loop: Header=BB370_3 Depth=1
.LBB370_9:                              ;   in Loop: Header=BB370_3 Depth=1
	s_mul_u64 s[20:21], s[8:9], s[2:3]
	s_wait_xcnt 0x0
	v_lshl_add_u64 v[34:35], s[20:21], 1, v[2:3]
	s_delay_alu instid0(VALU_DEP_1) | instskip(SKIP_3) | instid1(VALU_DEP_1)
	v_add_nc_u64_e32 v[36:37], v[34:35], v[8:9]
	global_load_u16 v38, v[36:37], off
	s_wait_loadcnt 0x0
	v_cvt_f32_f16_e32 v38, v38
	v_mul_f32_e32 v38, s33, v38
	s_delay_alu instid0(VALU_DEP_1) | instskip(SKIP_4) | instid1(VALU_DEP_1)
	v_fma_mixlo_f16 v25, s30, v25, v38
	global_store_b16 v[28:29], v25, off
	global_load_u16 v25, v[36:37], off offset:32
	s_wait_loadcnt 0x0
	v_cvt_f32_f16_e32 v25, v25
	v_mul_f32_e32 v25, s33, v25
	s_delay_alu instid0(VALU_DEP_1) | instskip(SKIP_4) | instid1(VALU_DEP_1)
	v_fma_mixlo_f16 v24, s30, v24, v25
	global_store_b16 v[28:29], v24, off offset:32
	global_load_u16 v24, v[36:37], off offset:64
	s_wait_loadcnt 0x0
	v_cvt_f32_f16_e32 v24, v24
	v_mul_f32_e32 v24, s33, v24
	s_delay_alu instid0(VALU_DEP_1)
	v_fma_mixlo_f16 v23, s30, v23, v24
	v_add_nc_u64_e32 v[24:25], s[18:19], v[34:35]
	global_store_b16 v[28:29], v23, off offset:64
	global_load_u16 v23, v[36:37], off offset:96
	v_add_nc_u64_e32 v[34:35], v[24:25], v[8:9]
	s_wait_loadcnt 0x0
	v_cvt_f32_f16_e32 v23, v23
	s_delay_alu instid0(VALU_DEP_1) | instskip(NEXT) | instid1(VALU_DEP_1)
	v_mul_f32_e32 v23, s33, v23
	v_fma_mixlo_f16 v22, s30, v22, v23
	global_store_b16 v[28:29], v22, off offset:96
	global_load_u16 v22, v[34:35], off
	s_wait_loadcnt 0x0
	v_cvt_f32_f16_e32 v22, v22
	s_delay_alu instid0(VALU_DEP_1) | instskip(SKIP_1) | instid1(VALU_DEP_2)
	v_mul_f32_e32 v28, s33, v22
	v_add_nc_u64_e32 v[22:23], v[26:27], v[8:9]
	v_fma_mixlo_f16 v21, s30, v21, v28
	global_store_b16 v[22:23], v21, off
	global_load_u16 v21, v[34:35], off offset:32
	s_wait_loadcnt 0x0
	v_cvt_f32_f16_e32 v21, v21
	s_delay_alu instid0(VALU_DEP_1) | instskip(NEXT) | instid1(VALU_DEP_1)
	v_mul_f32_e32 v21, s33, v21
	v_fma_mixlo_f16 v20, s30, v20, v21
	global_store_b16 v[22:23], v20, off offset:32
	global_load_u16 v20, v[34:35], off offset:64
	s_wait_loadcnt 0x0
	v_cvt_f32_f16_e32 v20, v20
	s_delay_alu instid0(VALU_DEP_1) | instskip(NEXT) | instid1(VALU_DEP_1)
	v_mul_f32_e32 v20, s33, v20
	v_fma_mixlo_f16 v19, s30, v19, v20
	v_add_nc_u64_e32 v[20:21], s[18:19], v[24:25]
	global_store_b16 v[22:23], v19, off offset:64
	global_load_u16 v19, v[34:35], off offset:96
	v_add_nc_u64_e32 v[24:25], v[20:21], v[8:9]
	s_wait_loadcnt 0x0
	v_cvt_f32_f16_e32 v19, v19
	s_delay_alu instid0(VALU_DEP_1) | instskip(NEXT) | instid1(VALU_DEP_1)
	v_mul_f32_e32 v19, s33, v19
	v_fma_mixlo_f16 v18, s30, v18, v19
	global_store_b16 v[22:23], v18, off offset:96
	global_load_u16 v18, v[24:25], off
	s_wait_loadcnt 0x0
	v_cvt_f32_f16_e32 v22, v18
	v_add_nc_u64_e32 v[18:19], s[16:17], v[26:27]
	s_delay_alu instid0(VALU_DEP_2) | instskip(NEXT) | instid1(VALU_DEP_2)
	v_mul_f32_e32 v26, s33, v22
	v_add_nc_u64_e32 v[22:23], v[18:19], v[8:9]
	s_delay_alu instid0(VALU_DEP_2) | instskip(SKIP_4) | instid1(VALU_DEP_1)
	v_fma_mixlo_f16 v17, s30, v17, v26
	global_store_b16 v[22:23], v17, off
	global_load_u16 v17, v[24:25], off offset:32
	s_wait_loadcnt 0x0
	v_cvt_f32_f16_e32 v17, v17
	v_mul_f32_e32 v17, s33, v17
	s_delay_alu instid0(VALU_DEP_1) | instskip(SKIP_4) | instid1(VALU_DEP_1)
	v_fma_mixlo_f16 v16, s30, v16, v17
	global_store_b16 v[22:23], v16, off offset:32
	global_load_u16 v16, v[24:25], off offset:64
	s_wait_loadcnt 0x0
	v_cvt_f32_f16_e32 v16, v16
	v_mul_f32_e32 v16, s33, v16
	s_delay_alu instid0(VALU_DEP_1)
	v_fma_mixlo_f16 v15, s30, v15, v16
	v_add_nc_u64_e32 v[16:17], s[18:19], v[20:21]
	global_store_b16 v[22:23], v15, off offset:64
	global_load_u16 v15, v[24:25], off offset:96
	v_add_nc_u64_e32 v[16:17], v[16:17], v[8:9]
	s_wait_loadcnt 0x0
	v_cvt_f32_f16_e32 v15, v15
	s_delay_alu instid0(VALU_DEP_1) | instskip(NEXT) | instid1(VALU_DEP_1)
	v_mul_f32_e32 v15, s33, v15
	v_fma_mixlo_f16 v14, s30, v14, v15
	global_store_b16 v[22:23], v14, off offset:96
	global_load_u16 v14, v[16:17], off
	s_wait_loadcnt 0x0
	v_cvt_f32_f16_e32 v20, v14
	v_add_nc_u64_e32 v[14:15], s[16:17], v[18:19]
	s_delay_alu instid0(VALU_DEP_2) | instskip(NEXT) | instid1(VALU_DEP_2)
	v_mul_f32_e32 v18, s33, v20
	v_add_nc_u64_e32 v[14:15], v[14:15], v[8:9]
	s_delay_alu instid0(VALU_DEP_2) | instskip(SKIP_4) | instid1(VALU_DEP_1)
	v_fma_mixlo_f16 v13, s30, v13, v18
	global_store_b16 v[14:15], v13, off
	global_load_u16 v13, v[16:17], off offset:32
	s_wait_loadcnt 0x0
	v_cvt_f32_f16_e32 v13, v13
	v_mul_f32_e32 v13, s33, v13
	s_delay_alu instid0(VALU_DEP_1) | instskip(SKIP_4) | instid1(VALU_DEP_1)
	v_fma_mixlo_f16 v12, s30, v12, v13
	global_store_b16 v[14:15], v12, off offset:32
	global_load_u16 v12, v[16:17], off offset:64
	s_wait_loadcnt 0x0
	v_cvt_f32_f16_e32 v12, v12
	v_mul_f32_e32 v12, s33, v12
	s_delay_alu instid0(VALU_DEP_1) | instskip(SKIP_4) | instid1(VALU_DEP_1)
	v_fma_mixlo_f16 v11, s30, v11, v12
	global_store_b16 v[14:15], v11, off offset:64
	global_load_u16 v11, v[16:17], off offset:96
	s_wait_loadcnt 0x0
	v_cvt_f32_f16_e32 v11, v11
	v_mul_f32_e32 v11, s33, v11
	s_delay_alu instid0(VALU_DEP_1)
	v_fma_mixlo_f16 v10, s30, v10, v11
	global_store_b16 v[14:15], v10, off offset:96
	s_branch .LBB370_2
.LBB370_10:
	s_sendmsg sendmsg(MSG_DEALLOC_VGPRS)
	s_endpgm
	.section	.rodata,"a",@progbits
	.p2align	6, 0x0
	.amdhsa_kernel _ZN12_GLOBAL__N_127rocblas_gemm_batched_kernelIfLi16ELi16ELi64ELi64ELi4ELi64ELi4ELi4ELi64ELc78ELc67EKDF16_S1_DF16_EEvlllT_PT11_llS4_llS2_PT12_llPT13_lli
		.amdhsa_group_segment_fixed_size 2048
		.amdhsa_private_segment_fixed_size 0
		.amdhsa_kernarg_size 140
		.amdhsa_user_sgpr_count 2
		.amdhsa_user_sgpr_dispatch_ptr 0
		.amdhsa_user_sgpr_queue_ptr 0
		.amdhsa_user_sgpr_kernarg_segment_ptr 1
		.amdhsa_user_sgpr_dispatch_id 0
		.amdhsa_user_sgpr_kernarg_preload_length 0
		.amdhsa_user_sgpr_kernarg_preload_offset 0
		.amdhsa_user_sgpr_private_segment_size 0
		.amdhsa_wavefront_size32 1
		.amdhsa_uses_dynamic_stack 0
		.amdhsa_enable_private_segment 0
		.amdhsa_system_sgpr_workgroup_id_x 1
		.amdhsa_system_sgpr_workgroup_id_y 1
		.amdhsa_system_sgpr_workgroup_id_z 1
		.amdhsa_system_sgpr_workgroup_info 0
		.amdhsa_system_vgpr_workitem_id 1
		.amdhsa_next_free_vgpr 74
		.amdhsa_next_free_sgpr 38
		.amdhsa_named_barrier_count 0
		.amdhsa_reserve_vcc 1
		.amdhsa_float_round_mode_32 0
		.amdhsa_float_round_mode_16_64 0
		.amdhsa_float_denorm_mode_32 3
		.amdhsa_float_denorm_mode_16_64 3
		.amdhsa_fp16_overflow 0
		.amdhsa_memory_ordered 1
		.amdhsa_forward_progress 1
		.amdhsa_inst_pref_size 20
		.amdhsa_round_robin_scheduling 0
		.amdhsa_exception_fp_ieee_invalid_op 0
		.amdhsa_exception_fp_denorm_src 0
		.amdhsa_exception_fp_ieee_div_zero 0
		.amdhsa_exception_fp_ieee_overflow 0
		.amdhsa_exception_fp_ieee_underflow 0
		.amdhsa_exception_fp_ieee_inexact 0
		.amdhsa_exception_int_div_zero 0
	.end_amdhsa_kernel
	.section	.text._ZN12_GLOBAL__N_127rocblas_gemm_batched_kernelIfLi16ELi16ELi64ELi64ELi4ELi64ELi4ELi4ELi64ELc78ELc67EKDF16_S1_DF16_EEvlllT_PT11_llS4_llS2_PT12_llPT13_lli,"axG",@progbits,_ZN12_GLOBAL__N_127rocblas_gemm_batched_kernelIfLi16ELi16ELi64ELi64ELi4ELi64ELi4ELi4ELi64ELc78ELc67EKDF16_S1_DF16_EEvlllT_PT11_llS4_llS2_PT12_llPT13_lli,comdat
.Lfunc_end370:
	.size	_ZN12_GLOBAL__N_127rocblas_gemm_batched_kernelIfLi16ELi16ELi64ELi64ELi4ELi64ELi4ELi4ELi64ELc78ELc67EKDF16_S1_DF16_EEvlllT_PT11_llS4_llS2_PT12_llPT13_lli, .Lfunc_end370-_ZN12_GLOBAL__N_127rocblas_gemm_batched_kernelIfLi16ELi16ELi64ELi64ELi4ELi64ELi4ELi4ELi64ELc78ELc67EKDF16_S1_DF16_EEvlllT_PT11_llS4_llS2_PT12_llPT13_lli
                                        ; -- End function
	.set _ZN12_GLOBAL__N_127rocblas_gemm_batched_kernelIfLi16ELi16ELi64ELi64ELi4ELi64ELi4ELi4ELi64ELc78ELc67EKDF16_S1_DF16_EEvlllT_PT11_llS4_llS2_PT12_llPT13_lli.num_vgpr, 74
	.set _ZN12_GLOBAL__N_127rocblas_gemm_batched_kernelIfLi16ELi16ELi64ELi64ELi4ELi64ELi4ELi4ELi64ELc78ELc67EKDF16_S1_DF16_EEvlllT_PT11_llS4_llS2_PT12_llPT13_lli.num_agpr, 0
	.set _ZN12_GLOBAL__N_127rocblas_gemm_batched_kernelIfLi16ELi16ELi64ELi64ELi4ELi64ELi4ELi4ELi64ELc78ELc67EKDF16_S1_DF16_EEvlllT_PT11_llS4_llS2_PT12_llPT13_lli.numbered_sgpr, 38
	.set _ZN12_GLOBAL__N_127rocblas_gemm_batched_kernelIfLi16ELi16ELi64ELi64ELi4ELi64ELi4ELi4ELi64ELc78ELc67EKDF16_S1_DF16_EEvlllT_PT11_llS4_llS2_PT12_llPT13_lli.num_named_barrier, 0
	.set _ZN12_GLOBAL__N_127rocblas_gemm_batched_kernelIfLi16ELi16ELi64ELi64ELi4ELi64ELi4ELi4ELi64ELc78ELc67EKDF16_S1_DF16_EEvlllT_PT11_llS4_llS2_PT12_llPT13_lli.private_seg_size, 0
	.set _ZN12_GLOBAL__N_127rocblas_gemm_batched_kernelIfLi16ELi16ELi64ELi64ELi4ELi64ELi4ELi4ELi64ELc78ELc67EKDF16_S1_DF16_EEvlllT_PT11_llS4_llS2_PT12_llPT13_lli.uses_vcc, 1
	.set _ZN12_GLOBAL__N_127rocblas_gemm_batched_kernelIfLi16ELi16ELi64ELi64ELi4ELi64ELi4ELi4ELi64ELc78ELc67EKDF16_S1_DF16_EEvlllT_PT11_llS4_llS2_PT12_llPT13_lli.uses_flat_scratch, 0
	.set _ZN12_GLOBAL__N_127rocblas_gemm_batched_kernelIfLi16ELi16ELi64ELi64ELi4ELi64ELi4ELi4ELi64ELc78ELc67EKDF16_S1_DF16_EEvlllT_PT11_llS4_llS2_PT12_llPT13_lli.has_dyn_sized_stack, 0
	.set _ZN12_GLOBAL__N_127rocblas_gemm_batched_kernelIfLi16ELi16ELi64ELi64ELi4ELi64ELi4ELi4ELi64ELc78ELc67EKDF16_S1_DF16_EEvlllT_PT11_llS4_llS2_PT12_llPT13_lli.has_recursion, 0
	.set _ZN12_GLOBAL__N_127rocblas_gemm_batched_kernelIfLi16ELi16ELi64ELi64ELi4ELi64ELi4ELi4ELi64ELc78ELc67EKDF16_S1_DF16_EEvlllT_PT11_llS4_llS2_PT12_llPT13_lli.has_indirect_call, 0
	.section	.AMDGPU.csdata,"",@progbits
; Kernel info:
; codeLenInByte = 2536
; TotalNumSgprs: 40
; NumVgprs: 74
; ScratchSize: 0
; MemoryBound: 0
; FloatMode: 240
; IeeeMode: 1
; LDSByteSize: 2048 bytes/workgroup (compile time only)
; SGPRBlocks: 0
; VGPRBlocks: 4
; NumSGPRsForWavesPerEU: 40
; NumVGPRsForWavesPerEU: 74
; NamedBarCnt: 0
; Occupancy: 12
; WaveLimiterHint : 0
; COMPUTE_PGM_RSRC2:SCRATCH_EN: 0
; COMPUTE_PGM_RSRC2:USER_SGPR: 2
; COMPUTE_PGM_RSRC2:TRAP_HANDLER: 0
; COMPUTE_PGM_RSRC2:TGID_X_EN: 1
; COMPUTE_PGM_RSRC2:TGID_Y_EN: 1
; COMPUTE_PGM_RSRC2:TGID_Z_EN: 1
; COMPUTE_PGM_RSRC2:TIDIG_COMP_CNT: 1
	.section	.text._ZN12_GLOBAL__N_127rocblas_gemm_batched_kernelIfLi16ELi16ELi64ELi64ELi4ELi64ELi4ELi4ELi64ELc84ELc67EKDF16_S1_DF16_EEvlllT_PT11_llS4_llS2_PT12_llPT13_lli,"axG",@progbits,_ZN12_GLOBAL__N_127rocblas_gemm_batched_kernelIfLi16ELi16ELi64ELi64ELi4ELi64ELi4ELi4ELi64ELc84ELc67EKDF16_S1_DF16_EEvlllT_PT11_llS4_llS2_PT12_llPT13_lli,comdat
	.globl	_ZN12_GLOBAL__N_127rocblas_gemm_batched_kernelIfLi16ELi16ELi64ELi64ELi4ELi64ELi4ELi4ELi64ELc84ELc67EKDF16_S1_DF16_EEvlllT_PT11_llS4_llS2_PT12_llPT13_lli ; -- Begin function _ZN12_GLOBAL__N_127rocblas_gemm_batched_kernelIfLi16ELi16ELi64ELi64ELi4ELi64ELi4ELi4ELi64ELc84ELc67EKDF16_S1_DF16_EEvlllT_PT11_llS4_llS2_PT12_llPT13_lli
	.p2align	8
	.type	_ZN12_GLOBAL__N_127rocblas_gemm_batched_kernelIfLi16ELi16ELi64ELi64ELi4ELi64ELi4ELi4ELi64ELc84ELc67EKDF16_S1_DF16_EEvlllT_PT11_llS4_llS2_PT12_llPT13_lli,@function
_ZN12_GLOBAL__N_127rocblas_gemm_batched_kernelIfLi16ELi16ELi64ELi64ELi4ELi64ELi4ELi4ELi64ELc84ELc67EKDF16_S1_DF16_EEvlllT_PT11_llS4_llS2_PT12_llPT13_lli: ; @_ZN12_GLOBAL__N_127rocblas_gemm_batched_kernelIfLi16ELi16ELi64ELi64ELi4ELi64ELi4ELi4ELi64ELc84ELc67EKDF16_S1_DF16_EEvlllT_PT11_llS4_llS2_PT12_llPT13_lli
; %bb.0:
	s_load_b32 s31, s[0:1], 0x88
	s_bfe_u32 s2, ttmp6, 0x40014
	s_lshr_b32 s3, ttmp7, 16
	s_add_co_i32 s2, s2, 1
	s_bfe_u32 s4, ttmp6, 0x40008
	s_mul_i32 s2, s3, s2
	s_getreg_b32 s20, hwreg(HW_REG_IB_STS2, 6, 4)
	s_add_co_i32 s4, s4, s2
	s_cmp_eq_u32 s20, 0
	s_cselect_b32 s2, s3, s4
	s_mov_b32 s3, 0
	s_wait_kmcnt 0x0
	s_cmp_ge_i32 s2, s31
	s_cbranch_scc1 .LBB371_10
; %bb.1:
	s_bfe_u32 s21, ttmp6, 0x4000c
	s_bfe_u32 s23, ttmp6, 0x40010
	s_add_co_i32 s21, s21, 1
	s_and_b32 s28, ttmp7, 0xffff
	s_add_co_i32 s23, s23, 1
	v_bfe_u32 v4, v0, 10, 10
	s_and_b32 s22, ttmp6, 15
	s_mul_i32 s21, ttmp9, s21
	s_mul_i32 s23, s28, s23
	s_bfe_u32 s29, ttmp6, 0x40004
	s_add_co_i32 s22, s22, s21
	s_add_co_i32 s29, s29, s23
	s_cmp_eq_u32 s20, 0
	v_and_b32_e32 v2, 0x3ff, v0
	v_dual_mov_b32 v5, 0 :: v_dual_lshlrev_b32 v16, 4, v4
	s_cselect_b32 s20, ttmp9, s22
	s_clause 0x2
	s_load_b256 s[12:19], s[0:1], 0x20
	s_load_b128 s[24:27], s[0:1], 0x40
	s_load_b256 s[4:11], s[0:1], 0x58
	s_cselect_b32 s22, s28, s29
	s_ashr_i32 s21, s20, 31
	s_lshl_b32 s34, s22, 6
	s_lshl_b64 s[36:37], s[20:21], 6
	v_add_nc_u32_e32 v1, v16, v2
	s_load_b128 s[20:23], s[0:1], 0x78
	s_mov_b32 s35, s3
	v_mov_b32_e32 v9, s37
	v_add_nc_u64_e32 v[6:7], s[34:35], v[4:5]
	v_and_b32_e32 v3, 63, v1
	s_clause 0x1
	s_load_b32 s33, s[0:1], 0x50
	s_load_b96 s[28:30], s[0:1], 0x10
	v_add_nc_u32_e32 v33, 0x400, v16
	v_dual_lshlrev_b32 v32, 2, v2 :: v_dual_bitop2_b32 v8, s36, v3 bitop3:0x54
	v_dual_lshrrev_b32 v10, 2, v1 :: v_dual_bitop2_b32 v4, 3, v0 bitop3:0x40
	v_mov_b32_e32 v11, v5
	s_wait_kmcnt 0x0
	s_delay_alu instid0(VALU_DEP_3)
	v_mul_u64_e32 v[8:9], s[14:15], v[8:9]
	v_mul_u64_e32 v[12:13], s[6:7], v[6:7]
	v_lshlrev_b32_e32 v17, 2, v4
	v_mad_nc_u64_u32 v[14:15], s24, v4, v[10:11]
	v_lshrrev_b32_e32 v11, 6, v1
	v_mul_u64_e32 v[0:1], s[20:21], v[6:7]
	v_dual_mov_b32 v3, v5 :: v_dual_lshlrev_b32 v6, 2, v3
	s_cmp_eq_f32 s33, 0
	v_cmp_gt_i64_e64 s0, s[28:29], 0
	s_delay_alu instid0(VALU_DEP_2)
	v_lshl_or_b32 v30, v11, 8, v6
	v_mad_u32 v15, s25, v4, v15
	v_lshl_or_b32 v4, v10, 4, v17
	s_cselect_b32 s1, -1, 0
	s_lshl_b64 s[14:15], s[20:21], 4
	s_lshl_b64 s[20:21], s[6:7], 4
	s_lshl_b64 s[6:7], s[24:25], 3
	v_add_nc_u32_e32 v31, 0x400, v4
	v_lshlrev_b32_e32 v4, 1, v11
	v_add_nc_u64_e32 v[10:11], s[36:37], v[2:3]
	s_lshl_b64 s[14:15], s[14:15], 1
	v_add_nc_u64_e32 v[6:7], s[34:35], v[14:15]
	s_delay_alu instid0(VALU_DEP_3) | instskip(SKIP_2) | instid1(VALU_DEP_4)
	v_lshl_add_u64 v[8:9], v[8:9], 1, v[4:5]
	v_lshl_add_u64 v[2:3], v[12:13], 1, s[4:5]
	v_cndmask_b32_e64 v12, 0, 1, s0
	v_lshl_add_u64 v[4:5], v[6:7], 1, s[18:19]
	s_lshl_b64 s[4:5], s[26:27], 1
	v_add_nc_u64_e32 v[6:7], s[12:13], v[8:9]
	v_lshlrev_b64_e32 v[8:9], 1, v[10:11]
	v_cmp_ne_u32_e64 s0, 1, v12
	s_lshl_b64 s[12:13], s[16:17], 1
	s_lshl_b64 s[16:17], s[20:21], 1
	s_branch .LBB371_3
.LBB371_2:                              ;   in Loop: Header=BB371_3 Depth=1
	s_add_co_i32 s2, s2, 0x10000
	s_delay_alu instid0(SALU_CYCLE_1)
	s_cmp_lt_i32 s2, s31
	s_cbranch_scc0 .LBB371_10
.LBB371_3:                              ; =>This Loop Header: Depth=1
                                        ;     Child Loop BB371_5 Depth 2
	v_dual_mov_b32 v25, 0 :: v_dual_mov_b32 v24, 0
	v_dual_mov_b32 v23, 0 :: v_dual_mov_b32 v22, 0
	;; [unrolled: 1-line block ×4, first 2 shown]
	s_wait_xcnt 0x1
	v_dual_mov_b32 v17, 0 :: v_dual_mov_b32 v16, 0
	s_wait_xcnt 0x0
	v_dual_mov_b32 v15, 0 :: v_dual_mov_b32 v14, 0
	v_dual_mov_b32 v13, 0 :: v_dual_mov_b32 v12, 0
	v_dual_mov_b32 v11, 0 :: v_dual_mov_b32 v10, 0
	s_and_b32 vcc_lo, exec_lo, s0
	s_cbranch_vccnz .LBB371_6
; %bb.4:                                ;   in Loop: Header=BB371_3 Depth=1
	v_mad_nc_u64_u32 v[26:27], s4, s2, v[4:5]
	v_mad_nc_u64_u32 v[28:29], s12, s2, v[6:7]
	v_mov_b32_e32 v10, 0
	s_mov_b64 s[18:19], 0
	s_delay_alu instid0(VALU_DEP_1)
	v_dual_mov_b32 v11, v10 :: v_dual_mov_b32 v12, v10
	v_dual_mov_b32 v13, v10 :: v_dual_mov_b32 v14, v10
	v_mad_u32 v27, s5, s2, v27
	v_mad_u32 v29, s13, s2, v29
	v_dual_mov_b32 v15, v10 :: v_dual_mov_b32 v16, v10
	v_dual_mov_b32 v17, v10 :: v_dual_mov_b32 v18, v10
	;; [unrolled: 1-line block ×5, first 2 shown]
	v_mov_b32_e32 v25, v10
.LBB371_5:                              ;   Parent Loop BB371_3 Depth=1
                                        ; =>  This Inner Loop Header: Depth=2
	global_load_u16 v34, v[28:29], off
	global_load_u16 v35, v[26:27], off
	s_add_nc_u64 s[18:19], s[18:19], 4
	s_wait_xcnt 0x0
	v_add_nc_u64_e32 v[26:27], s[6:7], v[26:27]
	v_cmp_lt_i64_e64 s20, s[18:19], s[28:29]
	v_add_nc_u64_e32 v[28:29], 8, v[28:29]
	s_and_b32 vcc_lo, exec_lo, s20
	s_wait_loadcnt 0x1
	v_cvt_f32_f16_e32 v34, v34
	s_wait_loadcnt 0x0
	v_cvt_f32_f16_e32 v35, v35
	ds_store_b32 v30, v34
	ds_store_b32 v31, v35
	s_wait_dscnt 0x0
	s_barrier_signal -1
	s_barrier_wait -1
	ds_load_2addr_b32 v[50:51], v32 offset1:16
	ds_load_2addr_b32 v[52:53], v32 offset0:64 offset1:80
	ds_load_2addr_b32 v[54:55], v32 offset0:128 offset1:144
	;; [unrolled: 1-line block ×6, first 2 shown]
	ds_load_b128 v[34:37], v33
	ds_load_b128 v[38:41], v33 offset:256
	ds_load_2addr_b32 v[64:65], v32 offset0:224 offset1:240
	ds_load_b128 v[42:45], v33 offset:512
	ds_load_b128 v[46:49], v33 offset:768
	s_wait_dscnt 0x0
	s_barrier_signal -1
	s_barrier_wait -1
	v_dual_mov_b32 v66, v51 :: v_dual_mov_b32 v67, v50
	v_dual_mov_b32 v50, v53 :: v_dual_mov_b32 v51, v52
	;; [unrolled: 1-line block ×6, first 2 shown]
	v_pk_fma_f32 v[24:25], v[66:67], v[34:35], v[24:25] op_sel_hi:[1,0,1]
	v_pk_fma_f32 v[20:21], v[66:67], v[38:39], v[20:21] op_sel_hi:[1,0,1]
	s_delay_alu instid0(VALU_DEP_4)
	v_pk_fma_f32 v[22:23], v[56:57], v[34:35], v[22:23] op_sel_hi:[1,0,1]
	v_pk_fma_f32 v[16:17], v[66:67], v[42:43], v[16:17] op_sel_hi:[1,0,1]
	;; [unrolled: 1-line block ×6, first 2 shown]
	v_dual_mov_b32 v60, v63 :: v_dual_mov_b32 v61, v62
	v_pk_fma_f32 v[24:25], v[50:51], v[34:35], v[24:25] op_sel:[0,1,0]
	v_pk_fma_f32 v[22:23], v[58:59], v[34:35], v[22:23] op_sel:[0,1,0]
	;; [unrolled: 1-line block ×8, first 2 shown]
	v_dual_mov_b32 v62, v37 :: v_dual_mov_b32 v68, v65
	v_dual_mov_b32 v69, v64 :: v_dual_mov_b32 v64, v41
	;; [unrolled: 1-line block ×3, first 2 shown]
	v_pk_fma_f32 v[24:25], v[52:53], v[36:37], v[24:25] op_sel_hi:[1,0,1]
	v_pk_fma_f32 v[22:23], v[60:61], v[36:37], v[22:23] op_sel_hi:[1,0,1]
	;; [unrolled: 1-line block ×16, first 2 shown]
	s_cbranch_vccnz .LBB371_5
.LBB371_6:                              ;   in Loop: Header=BB371_3 Depth=1
	s_mul_u64 s[18:19], s[22:23], s[2:3]
	s_and_not1_b32 vcc_lo, exec_lo, s1
	s_lshl_b64 s[18:19], s[18:19], 1
	s_delay_alu instid0(SALU_CYCLE_1) | instskip(NEXT) | instid1(SALU_CYCLE_1)
	s_add_nc_u64 s[18:19], s[10:11], s[18:19]
	v_lshl_add_u64 v[26:27], v[0:1], 1, s[18:19]
	s_delay_alu instid0(VALU_DEP_1)
	v_add_nc_u64_e32 v[28:29], v[26:27], v[8:9]
	v_add_nc_u64_e32 v[26:27], s[14:15], v[26:27]
	s_cbranch_vccnz .LBB371_8
; %bb.7:                                ;   in Loop: Header=BB371_3 Depth=1
	v_fma_mixlo_f16 v36, s30, v25, 0
	v_fma_mixlo_f16 v37, s30, v24, 0
	s_delay_alu instid0(VALU_DEP_3)
	v_add_nc_u64_e32 v[34:35], s[14:15], v[26:27]
	v_fma_mixlo_f16 v38, s30, v23, 0
	v_fma_mixlo_f16 v39, s30, v22, 0
	s_clause 0x3
	global_store_b16 v[28:29], v36, off
	global_store_b16 v[28:29], v37, off offset:32
	global_store_b16 v[28:29], v38, off offset:64
	;; [unrolled: 1-line block ×3, first 2 shown]
	s_wait_xcnt 0x2
	v_add_nc_u64_e32 v[36:37], v[26:27], v[8:9]
	v_fma_mixlo_f16 v40, s30, v21, 0
	v_fma_mixlo_f16 v41, s30, v20, 0
	s_wait_xcnt 0x0
	v_add_nc_u64_e32 v[38:39], v[34:35], v[8:9]
	v_add_nc_u64_e32 v[34:35], s[14:15], v[34:35]
	v_fma_mixlo_f16 v42, s30, v19, 0
	v_fma_mixlo_f16 v43, s30, v18, 0
	s_clause 0x3
	global_store_b16 v[36:37], v40, off
	global_store_b16 v[36:37], v41, off offset:32
	global_store_b16 v[36:37], v42, off offset:64
	;; [unrolled: 1-line block ×3, first 2 shown]
	s_wait_xcnt 0x0
	v_fma_mixlo_f16 v36, s30, v17, 0
	v_fma_mixlo_f16 v37, s30, v16, 0
	;; [unrolled: 1-line block ×4, first 2 shown]
	v_add_nc_u64_e32 v[34:35], v[34:35], v[8:9]
	s_clause 0x3
	global_store_b16 v[38:39], v36, off
	global_store_b16 v[38:39], v37, off offset:32
	global_store_b16 v[38:39], v40, off offset:64
	;; [unrolled: 1-line block ×3, first 2 shown]
	s_wait_xcnt 0x3
	v_fma_mixlo_f16 v36, s30, v13, 0
	s_wait_xcnt 0x2
	v_fma_mixlo_f16 v37, s30, v12, 0
	;; [unrolled: 2-line block ×3, first 2 shown]
	v_fma_mixlo_f16 v39, s30, v10, 0
	s_clause 0x3
	global_store_b16 v[34:35], v36, off
	global_store_b16 v[34:35], v37, off offset:32
	global_store_b16 v[34:35], v38, off offset:64
	;; [unrolled: 1-line block ×3, first 2 shown]
	s_cbranch_execnz .LBB371_2
	s_branch .LBB371_9
.LBB371_8:                              ;   in Loop: Header=BB371_3 Depth=1
.LBB371_9:                              ;   in Loop: Header=BB371_3 Depth=1
	s_mul_u64 s[18:19], s[8:9], s[2:3]
	s_wait_xcnt 0x0
	v_lshl_add_u64 v[34:35], s[18:19], 1, v[2:3]
	s_delay_alu instid0(VALU_DEP_1) | instskip(SKIP_3) | instid1(VALU_DEP_1)
	v_add_nc_u64_e32 v[36:37], v[34:35], v[8:9]
	global_load_u16 v38, v[36:37], off
	s_wait_loadcnt 0x0
	v_cvt_f32_f16_e32 v38, v38
	v_mul_f32_e32 v38, s33, v38
	s_delay_alu instid0(VALU_DEP_1) | instskip(SKIP_4) | instid1(VALU_DEP_1)
	v_fma_mixlo_f16 v25, s30, v25, v38
	global_store_b16 v[28:29], v25, off
	global_load_u16 v25, v[36:37], off offset:32
	s_wait_loadcnt 0x0
	v_cvt_f32_f16_e32 v25, v25
	v_mul_f32_e32 v25, s33, v25
	s_delay_alu instid0(VALU_DEP_1) | instskip(SKIP_4) | instid1(VALU_DEP_1)
	v_fma_mixlo_f16 v24, s30, v24, v25
	global_store_b16 v[28:29], v24, off offset:32
	global_load_u16 v24, v[36:37], off offset:64
	s_wait_loadcnt 0x0
	v_cvt_f32_f16_e32 v24, v24
	v_mul_f32_e32 v24, s33, v24
	s_delay_alu instid0(VALU_DEP_1)
	v_fma_mixlo_f16 v23, s30, v23, v24
	v_add_nc_u64_e32 v[24:25], s[16:17], v[34:35]
	global_store_b16 v[28:29], v23, off offset:64
	global_load_u16 v23, v[36:37], off offset:96
	v_add_nc_u64_e32 v[34:35], v[24:25], v[8:9]
	s_wait_loadcnt 0x0
	v_cvt_f32_f16_e32 v23, v23
	s_delay_alu instid0(VALU_DEP_1) | instskip(NEXT) | instid1(VALU_DEP_1)
	v_mul_f32_e32 v23, s33, v23
	v_fma_mixlo_f16 v22, s30, v22, v23
	global_store_b16 v[28:29], v22, off offset:96
	global_load_u16 v22, v[34:35], off
	s_wait_loadcnt 0x0
	v_cvt_f32_f16_e32 v22, v22
	s_delay_alu instid0(VALU_DEP_1) | instskip(SKIP_1) | instid1(VALU_DEP_2)
	v_mul_f32_e32 v28, s33, v22
	v_add_nc_u64_e32 v[22:23], v[26:27], v[8:9]
	v_fma_mixlo_f16 v21, s30, v21, v28
	global_store_b16 v[22:23], v21, off
	global_load_u16 v21, v[34:35], off offset:32
	s_wait_loadcnt 0x0
	v_cvt_f32_f16_e32 v21, v21
	s_delay_alu instid0(VALU_DEP_1) | instskip(NEXT) | instid1(VALU_DEP_1)
	v_mul_f32_e32 v21, s33, v21
	v_fma_mixlo_f16 v20, s30, v20, v21
	global_store_b16 v[22:23], v20, off offset:32
	global_load_u16 v20, v[34:35], off offset:64
	s_wait_loadcnt 0x0
	v_cvt_f32_f16_e32 v20, v20
	s_delay_alu instid0(VALU_DEP_1) | instskip(NEXT) | instid1(VALU_DEP_1)
	v_mul_f32_e32 v20, s33, v20
	v_fma_mixlo_f16 v19, s30, v19, v20
	v_add_nc_u64_e32 v[20:21], s[16:17], v[24:25]
	global_store_b16 v[22:23], v19, off offset:64
	global_load_u16 v19, v[34:35], off offset:96
	v_add_nc_u64_e32 v[24:25], v[20:21], v[8:9]
	s_wait_loadcnt 0x0
	v_cvt_f32_f16_e32 v19, v19
	s_delay_alu instid0(VALU_DEP_1) | instskip(NEXT) | instid1(VALU_DEP_1)
	v_mul_f32_e32 v19, s33, v19
	v_fma_mixlo_f16 v18, s30, v18, v19
	global_store_b16 v[22:23], v18, off offset:96
	global_load_u16 v18, v[24:25], off
	s_wait_loadcnt 0x0
	v_cvt_f32_f16_e32 v22, v18
	v_add_nc_u64_e32 v[18:19], s[14:15], v[26:27]
	s_delay_alu instid0(VALU_DEP_2) | instskip(NEXT) | instid1(VALU_DEP_2)
	v_mul_f32_e32 v26, s33, v22
	v_add_nc_u64_e32 v[22:23], v[18:19], v[8:9]
	s_delay_alu instid0(VALU_DEP_2) | instskip(SKIP_4) | instid1(VALU_DEP_1)
	v_fma_mixlo_f16 v17, s30, v17, v26
	global_store_b16 v[22:23], v17, off
	global_load_u16 v17, v[24:25], off offset:32
	s_wait_loadcnt 0x0
	v_cvt_f32_f16_e32 v17, v17
	v_mul_f32_e32 v17, s33, v17
	s_delay_alu instid0(VALU_DEP_1) | instskip(SKIP_4) | instid1(VALU_DEP_1)
	v_fma_mixlo_f16 v16, s30, v16, v17
	global_store_b16 v[22:23], v16, off offset:32
	global_load_u16 v16, v[24:25], off offset:64
	s_wait_loadcnt 0x0
	v_cvt_f32_f16_e32 v16, v16
	v_mul_f32_e32 v16, s33, v16
	s_delay_alu instid0(VALU_DEP_1)
	v_fma_mixlo_f16 v15, s30, v15, v16
	v_add_nc_u64_e32 v[16:17], s[16:17], v[20:21]
	global_store_b16 v[22:23], v15, off offset:64
	global_load_u16 v15, v[24:25], off offset:96
	v_add_nc_u64_e32 v[16:17], v[16:17], v[8:9]
	s_wait_loadcnt 0x0
	v_cvt_f32_f16_e32 v15, v15
	s_delay_alu instid0(VALU_DEP_1) | instskip(NEXT) | instid1(VALU_DEP_1)
	v_mul_f32_e32 v15, s33, v15
	v_fma_mixlo_f16 v14, s30, v14, v15
	global_store_b16 v[22:23], v14, off offset:96
	global_load_u16 v14, v[16:17], off
	s_wait_loadcnt 0x0
	v_cvt_f32_f16_e32 v20, v14
	v_add_nc_u64_e32 v[14:15], s[14:15], v[18:19]
	s_delay_alu instid0(VALU_DEP_2) | instskip(NEXT) | instid1(VALU_DEP_2)
	v_mul_f32_e32 v18, s33, v20
	v_add_nc_u64_e32 v[14:15], v[14:15], v[8:9]
	s_delay_alu instid0(VALU_DEP_2) | instskip(SKIP_4) | instid1(VALU_DEP_1)
	v_fma_mixlo_f16 v13, s30, v13, v18
	global_store_b16 v[14:15], v13, off
	global_load_u16 v13, v[16:17], off offset:32
	s_wait_loadcnt 0x0
	v_cvt_f32_f16_e32 v13, v13
	v_mul_f32_e32 v13, s33, v13
	s_delay_alu instid0(VALU_DEP_1) | instskip(SKIP_4) | instid1(VALU_DEP_1)
	v_fma_mixlo_f16 v12, s30, v12, v13
	global_store_b16 v[14:15], v12, off offset:32
	global_load_u16 v12, v[16:17], off offset:64
	s_wait_loadcnt 0x0
	v_cvt_f32_f16_e32 v12, v12
	v_mul_f32_e32 v12, s33, v12
	s_delay_alu instid0(VALU_DEP_1) | instskip(SKIP_4) | instid1(VALU_DEP_1)
	v_fma_mixlo_f16 v11, s30, v11, v12
	global_store_b16 v[14:15], v11, off offset:64
	global_load_u16 v11, v[16:17], off offset:96
	s_wait_loadcnt 0x0
	v_cvt_f32_f16_e32 v11, v11
	v_mul_f32_e32 v11, s33, v11
	s_delay_alu instid0(VALU_DEP_1)
	v_fma_mixlo_f16 v10, s30, v10, v11
	global_store_b16 v[14:15], v10, off offset:96
	s_branch .LBB371_2
.LBB371_10:
	s_sendmsg sendmsg(MSG_DEALLOC_VGPRS)
	s_endpgm
	.section	.rodata,"a",@progbits
	.p2align	6, 0x0
	.amdhsa_kernel _ZN12_GLOBAL__N_127rocblas_gemm_batched_kernelIfLi16ELi16ELi64ELi64ELi4ELi64ELi4ELi4ELi64ELc84ELc67EKDF16_S1_DF16_EEvlllT_PT11_llS4_llS2_PT12_llPT13_lli
		.amdhsa_group_segment_fixed_size 2048
		.amdhsa_private_segment_fixed_size 0
		.amdhsa_kernarg_size 140
		.amdhsa_user_sgpr_count 2
		.amdhsa_user_sgpr_dispatch_ptr 0
		.amdhsa_user_sgpr_queue_ptr 0
		.amdhsa_user_sgpr_kernarg_segment_ptr 1
		.amdhsa_user_sgpr_dispatch_id 0
		.amdhsa_user_sgpr_kernarg_preload_length 0
		.amdhsa_user_sgpr_kernarg_preload_offset 0
		.amdhsa_user_sgpr_private_segment_size 0
		.amdhsa_wavefront_size32 1
		.amdhsa_uses_dynamic_stack 0
		.amdhsa_enable_private_segment 0
		.amdhsa_system_sgpr_workgroup_id_x 1
		.amdhsa_system_sgpr_workgroup_id_y 1
		.amdhsa_system_sgpr_workgroup_id_z 1
		.amdhsa_system_sgpr_workgroup_info 0
		.amdhsa_system_vgpr_workitem_id 1
		.amdhsa_next_free_vgpr 74
		.amdhsa_next_free_sgpr 38
		.amdhsa_named_barrier_count 0
		.amdhsa_reserve_vcc 1
		.amdhsa_float_round_mode_32 0
		.amdhsa_float_round_mode_16_64 0
		.amdhsa_float_denorm_mode_32 3
		.amdhsa_float_denorm_mode_16_64 3
		.amdhsa_fp16_overflow 0
		.amdhsa_memory_ordered 1
		.amdhsa_forward_progress 1
		.amdhsa_inst_pref_size 20
		.amdhsa_round_robin_scheduling 0
		.amdhsa_exception_fp_ieee_invalid_op 0
		.amdhsa_exception_fp_denorm_src 0
		.amdhsa_exception_fp_ieee_div_zero 0
		.amdhsa_exception_fp_ieee_overflow 0
		.amdhsa_exception_fp_ieee_underflow 0
		.amdhsa_exception_fp_ieee_inexact 0
		.amdhsa_exception_int_div_zero 0
	.end_amdhsa_kernel
	.section	.text._ZN12_GLOBAL__N_127rocblas_gemm_batched_kernelIfLi16ELi16ELi64ELi64ELi4ELi64ELi4ELi4ELi64ELc84ELc67EKDF16_S1_DF16_EEvlllT_PT11_llS4_llS2_PT12_llPT13_lli,"axG",@progbits,_ZN12_GLOBAL__N_127rocblas_gemm_batched_kernelIfLi16ELi16ELi64ELi64ELi4ELi64ELi4ELi4ELi64ELc84ELc67EKDF16_S1_DF16_EEvlllT_PT11_llS4_llS2_PT12_llPT13_lli,comdat
.Lfunc_end371:
	.size	_ZN12_GLOBAL__N_127rocblas_gemm_batched_kernelIfLi16ELi16ELi64ELi64ELi4ELi64ELi4ELi4ELi64ELc84ELc67EKDF16_S1_DF16_EEvlllT_PT11_llS4_llS2_PT12_llPT13_lli, .Lfunc_end371-_ZN12_GLOBAL__N_127rocblas_gemm_batched_kernelIfLi16ELi16ELi64ELi64ELi4ELi64ELi4ELi4ELi64ELc84ELc67EKDF16_S1_DF16_EEvlllT_PT11_llS4_llS2_PT12_llPT13_lli
                                        ; -- End function
	.set _ZN12_GLOBAL__N_127rocblas_gemm_batched_kernelIfLi16ELi16ELi64ELi64ELi4ELi64ELi4ELi4ELi64ELc84ELc67EKDF16_S1_DF16_EEvlllT_PT11_llS4_llS2_PT12_llPT13_lli.num_vgpr, 74
	.set _ZN12_GLOBAL__N_127rocblas_gemm_batched_kernelIfLi16ELi16ELi64ELi64ELi4ELi64ELi4ELi4ELi64ELc84ELc67EKDF16_S1_DF16_EEvlllT_PT11_llS4_llS2_PT12_llPT13_lli.num_agpr, 0
	.set _ZN12_GLOBAL__N_127rocblas_gemm_batched_kernelIfLi16ELi16ELi64ELi64ELi4ELi64ELi4ELi4ELi64ELc84ELc67EKDF16_S1_DF16_EEvlllT_PT11_llS4_llS2_PT12_llPT13_lli.numbered_sgpr, 38
	.set _ZN12_GLOBAL__N_127rocblas_gemm_batched_kernelIfLi16ELi16ELi64ELi64ELi4ELi64ELi4ELi4ELi64ELc84ELc67EKDF16_S1_DF16_EEvlllT_PT11_llS4_llS2_PT12_llPT13_lli.num_named_barrier, 0
	.set _ZN12_GLOBAL__N_127rocblas_gemm_batched_kernelIfLi16ELi16ELi64ELi64ELi4ELi64ELi4ELi4ELi64ELc84ELc67EKDF16_S1_DF16_EEvlllT_PT11_llS4_llS2_PT12_llPT13_lli.private_seg_size, 0
	.set _ZN12_GLOBAL__N_127rocblas_gemm_batched_kernelIfLi16ELi16ELi64ELi64ELi4ELi64ELi4ELi4ELi64ELc84ELc67EKDF16_S1_DF16_EEvlllT_PT11_llS4_llS2_PT12_llPT13_lli.uses_vcc, 1
	.set _ZN12_GLOBAL__N_127rocblas_gemm_batched_kernelIfLi16ELi16ELi64ELi64ELi4ELi64ELi4ELi4ELi64ELc84ELc67EKDF16_S1_DF16_EEvlllT_PT11_llS4_llS2_PT12_llPT13_lli.uses_flat_scratch, 0
	.set _ZN12_GLOBAL__N_127rocblas_gemm_batched_kernelIfLi16ELi16ELi64ELi64ELi4ELi64ELi4ELi4ELi64ELc84ELc67EKDF16_S1_DF16_EEvlllT_PT11_llS4_llS2_PT12_llPT13_lli.has_dyn_sized_stack, 0
	.set _ZN12_GLOBAL__N_127rocblas_gemm_batched_kernelIfLi16ELi16ELi64ELi64ELi4ELi64ELi4ELi4ELi64ELc84ELc67EKDF16_S1_DF16_EEvlllT_PT11_llS4_llS2_PT12_llPT13_lli.has_recursion, 0
	.set _ZN12_GLOBAL__N_127rocblas_gemm_batched_kernelIfLi16ELi16ELi64ELi64ELi4ELi64ELi4ELi4ELi64ELc84ELc67EKDF16_S1_DF16_EEvlllT_PT11_llS4_llS2_PT12_llPT13_lli.has_indirect_call, 0
	.section	.AMDGPU.csdata,"",@progbits
; Kernel info:
; codeLenInByte = 2532
; TotalNumSgprs: 40
; NumVgprs: 74
; ScratchSize: 0
; MemoryBound: 0
; FloatMode: 240
; IeeeMode: 1
; LDSByteSize: 2048 bytes/workgroup (compile time only)
; SGPRBlocks: 0
; VGPRBlocks: 4
; NumSGPRsForWavesPerEU: 40
; NumVGPRsForWavesPerEU: 74
; NamedBarCnt: 0
; Occupancy: 12
; WaveLimiterHint : 0
; COMPUTE_PGM_RSRC2:SCRATCH_EN: 0
; COMPUTE_PGM_RSRC2:USER_SGPR: 2
; COMPUTE_PGM_RSRC2:TRAP_HANDLER: 0
; COMPUTE_PGM_RSRC2:TGID_X_EN: 1
; COMPUTE_PGM_RSRC2:TGID_Y_EN: 1
; COMPUTE_PGM_RSRC2:TGID_Z_EN: 1
; COMPUTE_PGM_RSRC2:TIDIG_COMP_CNT: 1
	.section	.text._ZN12_GLOBAL__N_127rocblas_gemm_batched_kernelIfLi16ELi16ELi32ELi32ELi8ELi32ELi8ELi8ELi32ELc78ELc78EKDF16_S1_DF16_EEvlllT_PT11_llS4_llS2_PT12_llPT13_lli,"axG",@progbits,_ZN12_GLOBAL__N_127rocblas_gemm_batched_kernelIfLi16ELi16ELi32ELi32ELi8ELi32ELi8ELi8ELi32ELc78ELc78EKDF16_S1_DF16_EEvlllT_PT11_llS4_llS2_PT12_llPT13_lli,comdat
	.globl	_ZN12_GLOBAL__N_127rocblas_gemm_batched_kernelIfLi16ELi16ELi32ELi32ELi8ELi32ELi8ELi8ELi32ELc78ELc78EKDF16_S1_DF16_EEvlllT_PT11_llS4_llS2_PT12_llPT13_lli ; -- Begin function _ZN12_GLOBAL__N_127rocblas_gemm_batched_kernelIfLi16ELi16ELi32ELi32ELi8ELi32ELi8ELi8ELi32ELc78ELc78EKDF16_S1_DF16_EEvlllT_PT11_llS4_llS2_PT12_llPT13_lli
	.p2align	8
	.type	_ZN12_GLOBAL__N_127rocblas_gemm_batched_kernelIfLi16ELi16ELi32ELi32ELi8ELi32ELi8ELi8ELi32ELc78ELc78EKDF16_S1_DF16_EEvlllT_PT11_llS4_llS2_PT12_llPT13_lli,@function
_ZN12_GLOBAL__N_127rocblas_gemm_batched_kernelIfLi16ELi16ELi32ELi32ELi8ELi32ELi8ELi8ELi32ELc78ELc78EKDF16_S1_DF16_EEvlllT_PT11_llS4_llS2_PT12_llPT13_lli: ; @_ZN12_GLOBAL__N_127rocblas_gemm_batched_kernelIfLi16ELi16ELi32ELi32ELi8ELi32ELi8ELi8ELi32ELc78ELc78EKDF16_S1_DF16_EEvlllT_PT11_llS4_llS2_PT12_llPT13_lli
; %bb.0:
	s_load_b32 s31, s[0:1], 0x88
	s_bfe_u32 s2, ttmp6, 0x40014
	s_lshr_b32 s3, ttmp7, 16
	s_add_co_i32 s2, s2, 1
	s_bfe_u32 s4, ttmp6, 0x40008
	s_mul_i32 s2, s3, s2
	s_getreg_b32 s20, hwreg(HW_REG_IB_STS2, 6, 4)
	s_add_co_i32 s4, s4, s2
	s_cmp_eq_u32 s20, 0
	s_cselect_b32 s2, s3, s4
	s_mov_b32 s3, 0
	s_wait_kmcnt 0x0
	s_cmp_ge_i32 s2, s31
	s_cbranch_scc1 .LBB372_10
; %bb.1:
	v_bfe_u32 v2, v0, 10, 10
	v_and_b32_e32 v4, 0x3ff, v0
	s_bfe_u32 s21, ttmp6, 0x4000c
	s_bfe_u32 s23, ttmp6, 0x40010
	s_clause 0x2
	s_load_b256 s[12:19], s[0:1], 0x20
	s_load_b128 s[24:27], s[0:1], 0x40
	s_load_b256 s[4:11], s[0:1], 0x58
	s_add_co_i32 s21, s21, 1
	s_and_b32 s28, ttmp7, 0xffff
	s_add_co_i32 s23, s23, 1
	v_lshl_add_u32 v16, v2, 4, v4
	v_mov_b32_e32 v3, 0
	s_and_b32 s22, ttmp6, 15
	s_mul_i32 s21, ttmp9, s21
	s_mul_i32 s23, s28, s23
	s_bfe_u32 s29, ttmp6, 0x40004
	s_add_co_i32 s22, s22, s21
	s_add_co_i32 s29, s29, s23
	s_cmp_eq_u32 s20, 0
	v_dual_mov_b32 v7, v3 :: v_dual_lshrrev_b32 v6, 3, v16
	v_lshrrev_b32_e32 v17, 5, v16
	s_cselect_b32 s20, s28, s29
	s_cselect_b32 s28, ttmp9, s22
	s_lshl_b32 s34, s20, 5
	s_mov_b32 s35, s3
	s_load_b128 s[20:23], s[0:1], 0x78
	v_add_nc_u64_e32 v[8:9], s[34:35], v[6:7]
	v_add_nc_u64_e32 v[10:11], s[34:35], v[2:3]
	s_ashr_i32 s29, s28, 31
	s_load_b32 s33, s[0:1], 0x50
	v_dual_mov_b32 v5, v3 :: v_dual_bitop2_b32 v7, 7, v0 bitop3:0x40
	v_lshl_add_u32 v19, v2, 5, 0x400
	s_wait_kmcnt 0x0
	v_mul_u64_e32 v[8:9], s[24:25], v[8:9]
	v_mul_u64_e32 v[12:13], s[6:7], v[10:11]
	s_lshl_b64 s[24:25], s[28:29], 5
	s_load_b96 s[28:30], s[0:1], 0x10
	v_mad_nc_u64_u32 v[14:15], s14, v17, s[24:25]
	v_dual_lshlrev_b32 v2, 1, v7 :: v_dual_lshlrev_b32 v18, 2, v4
	v_mul_u64_e32 v[0:1], s[20:21], v[10:11]
	v_dual_mov_b32 v11, v3 :: v_dual_bitop2_b32 v10, 31, v16 bitop3:0x40
	s_delay_alu instid0(VALU_DEP_4) | instskip(SKIP_2) | instid1(VALU_DEP_3)
	v_mad_u32 v15, s15, v17, v15
	v_lshlrev_b32_e32 v16, 2, v7
	s_cmp_eq_f32 s33, 0
	v_lshlrev_b32_e32 v20, 2, v10
	s_delay_alu instid0(VALU_DEP_2)
	v_lshl_or_b32 v16, v6, 5, v16
	v_add_nc_u64_e32 v[6:7], s[24:25], v[4:5]
	s_wait_kmcnt 0x0
	v_cmp_gt_i64_e64 s0, s[28:29], 0
	v_lshl_or_b32 v20, v17, 7, v20
	s_cselect_b32 s1, -1, 0
	v_add_nc_u32_e32 v21, 0x400, v16
	s_lshl_b64 s[20:21], s[20:21], 4
	s_lshl_b64 s[6:7], s[6:7], 4
	v_lshlrev_b64_e32 v[6:7], 1, v[6:7]
	s_lshl_b64 s[14:15], s[14:15], 4
	v_lshl_add_u64 v[4:5], v[8:9], 1, v[2:3]
	v_add_nc_u64_e32 v[8:9], v[14:15], v[10:11]
	v_cndmask_b32_e64 v10, 0, 1, s0
	v_lshl_add_u64 v[2:3], v[12:13], 1, s[4:5]
	s_lshl_b64 s[4:5], s[26:27], 1
	v_add_nc_u64_e32 v[4:5], s[18:19], v[4:5]
	s_delay_alu instid0(VALU_DEP_3)
	v_cmp_ne_u32_e64 s0, 1, v10
	v_lshl_add_u64 v[8:9], v[8:9], 1, s[12:13]
	s_lshl_b64 s[12:13], s[16:17], 1
	s_branch .LBB372_3
.LBB372_2:                              ;   in Loop: Header=BB372_3 Depth=1
	s_add_co_i32 s2, s2, 0x10000
	s_delay_alu instid0(SALU_CYCLE_1)
	s_cmp_lt_i32 s2, s31
	s_cbranch_scc0 .LBB372_10
.LBB372_3:                              ; =>This Loop Header: Depth=1
                                        ;     Child Loop BB372_5 Depth 2
	s_wait_xcnt 0x0
	v_dual_mov_b32 v13, 0 :: v_dual_mov_b32 v12, 0
	v_dual_mov_b32 v11, 0 :: v_dual_mov_b32 v10, 0
	s_and_b32 vcc_lo, exec_lo, s0
	s_cbranch_vccnz .LBB372_6
; %bb.4:                                ;   in Loop: Header=BB372_3 Depth=1
	v_mad_nc_u64_u32 v[14:15], s4, s2, v[4:5]
	v_mad_nc_u64_u32 v[16:17], s12, s2, v[8:9]
	v_mov_b32_e32 v10, 0
	s_mov_b64 s[16:17], 0
	s_delay_alu instid0(VALU_DEP_1)
	v_dual_mov_b32 v11, v10 :: v_dual_mov_b32 v12, v10
	v_mov_b32_e32 v13, v10
	v_mad_u32 v15, s5, s2, v15
	v_mad_u32 v17, s13, s2, v17
.LBB372_5:                              ;   Parent Loop BB372_3 Depth=1
                                        ; =>  This Inner Loop Header: Depth=2
	global_load_u16 v22, v[16:17], off
	global_load_u16 v23, v[14:15], off
	s_add_nc_u64 s[16:17], s[16:17], 8
	s_wait_xcnt 0x0
	v_add_nc_u64_e32 v[14:15], 16, v[14:15]
	v_cmp_lt_i64_e64 s18, s[16:17], s[28:29]
	v_add_nc_u64_e32 v[16:17], s[14:15], v[16:17]
	s_and_b32 vcc_lo, exec_lo, s18
	s_wait_loadcnt 0x1
	v_cvt_f32_f16_e32 v22, v22
	s_wait_loadcnt 0x0
	v_cvt_f32_f16_e32 v23, v23
	ds_store_b32 v20, v22
	ds_store_b32 v21, v23
	s_wait_dscnt 0x0
	s_barrier_signal -1
	s_barrier_wait -1
	ds_load_2addr_b32 v[38:39], v18 offset1:16
	ds_load_2addr_b32 v[40:41], v18 offset0:32 offset1:48
	ds_load_b128 v[22:25], v19
	ds_load_2addr_b32 v[42:43], v18 offset0:64 offset1:80
	ds_load_b128 v[26:29], v19 offset:512
	ds_load_2addr_b32 v[44:45], v18 offset0:96 offset1:112
	ds_load_b128 v[30:33], v19 offset:16
	;; [unrolled: 2-line block ×3, first 2 shown]
	ds_load_2addr_b32 v[48:49], v18 offset0:160 offset1:176
	ds_load_2addr_b32 v[50:51], v18 offset0:192 offset1:208
	;; [unrolled: 1-line block ×3, first 2 shown]
	s_wait_dscnt 0x0
	s_barrier_signal -1
	s_barrier_wait -1
	v_dual_mov_b32 v54, v39 :: v_dual_mov_b32 v55, v38
	v_dual_mov_b32 v38, v41 :: v_dual_mov_b32 v39, v40
	;; [unrolled: 1-line block ×3, first 2 shown]
	s_delay_alu instid0(VALU_DEP_3) | instskip(SKIP_3) | instid1(VALU_DEP_4)
	v_pk_fma_f32 v[12:13], v[54:55], v[22:23], v[12:13] op_sel_hi:[1,0,1]
	v_pk_fma_f32 v[10:11], v[54:55], v[26:27], v[10:11] op_sel_hi:[1,0,1]
	v_dual_mov_b32 v42, v45 :: v_dual_mov_b32 v43, v44
	v_mov_b32_e32 v44, v25
	v_pk_fma_f32 v[12:13], v[38:39], v[22:23], v[12:13] op_sel:[0,1,0]
	s_delay_alu instid0(VALU_DEP_4) | instskip(SKIP_2) | instid1(VALU_DEP_4)
	v_pk_fma_f32 v[10:11], v[38:39], v[26:27], v[10:11] op_sel:[0,1,0]
	v_dual_mov_b32 v22, v29 :: v_dual_mov_b32 v26, v53
	v_mov_b32_e32 v27, v52
	v_pk_fma_f32 v[12:13], v[40:41], v[24:25], v[12:13] op_sel_hi:[1,0,1]
	s_delay_alu instid0(VALU_DEP_4) | instskip(SKIP_2) | instid1(VALU_DEP_4)
	v_pk_fma_f32 v[10:11], v[40:41], v[28:29], v[10:11] op_sel_hi:[1,0,1]
	v_dual_mov_b32 v24, v47 :: v_dual_mov_b32 v25, v46
	v_mov_b32_e32 v28, v37
	v_pk_fma_f32 v[12:13], v[42:43], v[44:45], v[12:13] op_sel_hi:[1,0,1]
	s_delay_alu instid0(VALU_DEP_4) | instskip(SKIP_1) | instid1(VALU_DEP_3)
	v_pk_fma_f32 v[10:11], v[42:43], v[22:23], v[10:11] op_sel_hi:[1,0,1]
	v_dual_mov_b32 v22, v49 :: v_dual_mov_b32 v23, v48
	v_pk_fma_f32 v[12:13], v[24:25], v[30:31], v[12:13] op_sel_hi:[1,0,1]
	s_delay_alu instid0(VALU_DEP_3) | instskip(SKIP_1) | instid1(VALU_DEP_3)
	v_pk_fma_f32 v[10:11], v[24:25], v[34:35], v[10:11] op_sel_hi:[1,0,1]
	v_dual_mov_b32 v24, v51 :: v_dual_mov_b32 v25, v50
	v_pk_fma_f32 v[12:13], v[22:23], v[30:31], v[12:13] op_sel:[0,1,0]
	s_delay_alu instid0(VALU_DEP_3) | instskip(SKIP_1) | instid1(VALU_DEP_3)
	v_pk_fma_f32 v[10:11], v[22:23], v[34:35], v[10:11] op_sel:[0,1,0]
	v_mov_b32_e32 v22, v33
	v_pk_fma_f32 v[12:13], v[24:25], v[32:33], v[12:13] op_sel_hi:[1,0,1]
	s_delay_alu instid0(VALU_DEP_3) | instskip(NEXT) | instid1(VALU_DEP_2)
	v_pk_fma_f32 v[10:11], v[24:25], v[36:37], v[10:11] op_sel_hi:[1,0,1]
	v_pk_fma_f32 v[12:13], v[26:27], v[22:23], v[12:13] op_sel_hi:[1,0,1]
	s_delay_alu instid0(VALU_DEP_2)
	v_pk_fma_f32 v[10:11], v[26:27], v[28:29], v[10:11] op_sel_hi:[1,0,1]
	s_cbranch_vccnz .LBB372_5
.LBB372_6:                              ;   in Loop: Header=BB372_3 Depth=1
	s_mul_u64 s[16:17], s[22:23], s[2:3]
	s_and_not1_b32 vcc_lo, exec_lo, s1
	s_lshl_b64 s[16:17], s[16:17], 1
	s_delay_alu instid0(SALU_CYCLE_1) | instskip(NEXT) | instid1(SALU_CYCLE_1)
	s_add_nc_u64 s[16:17], s[10:11], s[16:17]
	v_lshl_add_u64 v[14:15], v[0:1], 1, s[16:17]
	s_delay_alu instid0(VALU_DEP_1)
	v_add_nc_u64_e32 v[16:17], v[14:15], v[6:7]
	v_lshl_add_u64 v[14:15], s[20:21], 1, v[14:15]
	s_cbranch_vccnz .LBB372_8
; %bb.7:                                ;   in Loop: Header=BB372_3 Depth=1
	s_delay_alu instid0(VALU_DEP_1)
	v_add_nc_u64_e32 v[22:23], v[14:15], v[6:7]
	v_fma_mixlo_f16 v24, s30, v13, 0
	v_fma_mixlo_f16 v26, s30, v11, 0
	v_fma_mixlo_f16 v25, s30, v12, 0
	v_fma_mixlo_f16 v27, s30, v10, 0
	s_clause 0x3
	global_store_b16 v[16:17], v24, off
	global_store_b16 v[16:17], v25, off offset:32
	global_store_b16 v[22:23], v26, off
	global_store_b16 v[22:23], v27, off offset:32
	s_cbranch_execnz .LBB372_2
	s_branch .LBB372_9
.LBB372_8:                              ;   in Loop: Header=BB372_3 Depth=1
.LBB372_9:                              ;   in Loop: Header=BB372_3 Depth=1
	s_mul_u64 s[16:17], s[8:9], s[2:3]
	s_wait_xcnt 0x0
	v_lshl_add_u64 v[22:23], s[16:17], 1, v[2:3]
	s_delay_alu instid0(VALU_DEP_1) | instskip(SKIP_1) | instid1(VALU_DEP_1)
	v_add_nc_u64_e32 v[24:25], v[22:23], v[6:7]
	v_lshl_add_u64 v[22:23], s[6:7], 1, v[22:23]
	v_add_nc_u64_e32 v[22:23], v[22:23], v[6:7]
	global_load_u16 v26, v[24:25], off
	s_wait_loadcnt 0x0
	v_cvt_f32_f16_e32 v26, v26
	s_delay_alu instid0(VALU_DEP_1) | instskip(NEXT) | instid1(VALU_DEP_1)
	v_mul_f32_e32 v26, s33, v26
	v_fma_mixlo_f16 v13, s30, v13, v26
	global_store_b16 v[16:17], v13, off
	global_load_u16 v13, v[24:25], off offset:32
	s_wait_loadcnt 0x0
	v_cvt_f32_f16_e32 v13, v13
	s_delay_alu instid0(VALU_DEP_1) | instskip(NEXT) | instid1(VALU_DEP_1)
	v_mul_f32_e32 v13, s33, v13
	v_fma_mixlo_f16 v12, s30, v12, v13
	global_store_b16 v[16:17], v12, off offset:32
	global_load_u16 v12, v[22:23], off
	s_wait_loadcnt 0x0
	v_cvt_f32_f16_e32 v12, v12
	s_delay_alu instid0(VALU_DEP_1) | instskip(SKIP_1) | instid1(VALU_DEP_2)
	v_mul_f32_e32 v16, s33, v12
	v_add_nc_u64_e32 v[12:13], v[14:15], v[6:7]
	v_fma_mixlo_f16 v11, s30, v11, v16
	global_store_b16 v[12:13], v11, off
	global_load_u16 v11, v[22:23], off offset:32
	s_wait_loadcnt 0x0
	v_cvt_f32_f16_e32 v11, v11
	s_delay_alu instid0(VALU_DEP_1) | instskip(NEXT) | instid1(VALU_DEP_1)
	v_mul_f32_e32 v11, s33, v11
	v_fma_mixlo_f16 v10, s30, v10, v11
	global_store_b16 v[12:13], v10, off offset:32
	s_branch .LBB372_2
.LBB372_10:
	s_endpgm
	.section	.rodata,"a",@progbits
	.p2align	6, 0x0
	.amdhsa_kernel _ZN12_GLOBAL__N_127rocblas_gemm_batched_kernelIfLi16ELi16ELi32ELi32ELi8ELi32ELi8ELi8ELi32ELc78ELc78EKDF16_S1_DF16_EEvlllT_PT11_llS4_llS2_PT12_llPT13_lli
		.amdhsa_group_segment_fixed_size 2048
		.amdhsa_private_segment_fixed_size 0
		.amdhsa_kernarg_size 140
		.amdhsa_user_sgpr_count 2
		.amdhsa_user_sgpr_dispatch_ptr 0
		.amdhsa_user_sgpr_queue_ptr 0
		.amdhsa_user_sgpr_kernarg_segment_ptr 1
		.amdhsa_user_sgpr_dispatch_id 0
		.amdhsa_user_sgpr_kernarg_preload_length 0
		.amdhsa_user_sgpr_kernarg_preload_offset 0
		.amdhsa_user_sgpr_private_segment_size 0
		.amdhsa_wavefront_size32 1
		.amdhsa_uses_dynamic_stack 0
		.amdhsa_enable_private_segment 0
		.amdhsa_system_sgpr_workgroup_id_x 1
		.amdhsa_system_sgpr_workgroup_id_y 1
		.amdhsa_system_sgpr_workgroup_id_z 1
		.amdhsa_system_sgpr_workgroup_info 0
		.amdhsa_system_vgpr_workitem_id 1
		.amdhsa_next_free_vgpr 56
		.amdhsa_next_free_sgpr 36
		.amdhsa_named_barrier_count 0
		.amdhsa_reserve_vcc 1
		.amdhsa_float_round_mode_32 0
		.amdhsa_float_round_mode_16_64 0
		.amdhsa_float_denorm_mode_32 3
		.amdhsa_float_denorm_mode_16_64 3
		.amdhsa_fp16_overflow 0
		.amdhsa_memory_ordered 1
		.amdhsa_forward_progress 1
		.amdhsa_inst_pref_size 12
		.amdhsa_round_robin_scheduling 0
		.amdhsa_exception_fp_ieee_invalid_op 0
		.amdhsa_exception_fp_denorm_src 0
		.amdhsa_exception_fp_ieee_div_zero 0
		.amdhsa_exception_fp_ieee_overflow 0
		.amdhsa_exception_fp_ieee_underflow 0
		.amdhsa_exception_fp_ieee_inexact 0
		.amdhsa_exception_int_div_zero 0
	.end_amdhsa_kernel
	.section	.text._ZN12_GLOBAL__N_127rocblas_gemm_batched_kernelIfLi16ELi16ELi32ELi32ELi8ELi32ELi8ELi8ELi32ELc78ELc78EKDF16_S1_DF16_EEvlllT_PT11_llS4_llS2_PT12_llPT13_lli,"axG",@progbits,_ZN12_GLOBAL__N_127rocblas_gemm_batched_kernelIfLi16ELi16ELi32ELi32ELi8ELi32ELi8ELi8ELi32ELc78ELc78EKDF16_S1_DF16_EEvlllT_PT11_llS4_llS2_PT12_llPT13_lli,comdat
.Lfunc_end372:
	.size	_ZN12_GLOBAL__N_127rocblas_gemm_batched_kernelIfLi16ELi16ELi32ELi32ELi8ELi32ELi8ELi8ELi32ELc78ELc78EKDF16_S1_DF16_EEvlllT_PT11_llS4_llS2_PT12_llPT13_lli, .Lfunc_end372-_ZN12_GLOBAL__N_127rocblas_gemm_batched_kernelIfLi16ELi16ELi32ELi32ELi8ELi32ELi8ELi8ELi32ELc78ELc78EKDF16_S1_DF16_EEvlllT_PT11_llS4_llS2_PT12_llPT13_lli
                                        ; -- End function
	.set _ZN12_GLOBAL__N_127rocblas_gemm_batched_kernelIfLi16ELi16ELi32ELi32ELi8ELi32ELi8ELi8ELi32ELc78ELc78EKDF16_S1_DF16_EEvlllT_PT11_llS4_llS2_PT12_llPT13_lli.num_vgpr, 56
	.set _ZN12_GLOBAL__N_127rocblas_gemm_batched_kernelIfLi16ELi16ELi32ELi32ELi8ELi32ELi8ELi8ELi32ELc78ELc78EKDF16_S1_DF16_EEvlllT_PT11_llS4_llS2_PT12_llPT13_lli.num_agpr, 0
	.set _ZN12_GLOBAL__N_127rocblas_gemm_batched_kernelIfLi16ELi16ELi32ELi32ELi8ELi32ELi8ELi8ELi32ELc78ELc78EKDF16_S1_DF16_EEvlllT_PT11_llS4_llS2_PT12_llPT13_lli.numbered_sgpr, 36
	.set _ZN12_GLOBAL__N_127rocblas_gemm_batched_kernelIfLi16ELi16ELi32ELi32ELi8ELi32ELi8ELi8ELi32ELc78ELc78EKDF16_S1_DF16_EEvlllT_PT11_llS4_llS2_PT12_llPT13_lli.num_named_barrier, 0
	.set _ZN12_GLOBAL__N_127rocblas_gemm_batched_kernelIfLi16ELi16ELi32ELi32ELi8ELi32ELi8ELi8ELi32ELc78ELc78EKDF16_S1_DF16_EEvlllT_PT11_llS4_llS2_PT12_llPT13_lli.private_seg_size, 0
	.set _ZN12_GLOBAL__N_127rocblas_gemm_batched_kernelIfLi16ELi16ELi32ELi32ELi8ELi32ELi8ELi8ELi32ELc78ELc78EKDF16_S1_DF16_EEvlllT_PT11_llS4_llS2_PT12_llPT13_lli.uses_vcc, 1
	.set _ZN12_GLOBAL__N_127rocblas_gemm_batched_kernelIfLi16ELi16ELi32ELi32ELi8ELi32ELi8ELi8ELi32ELc78ELc78EKDF16_S1_DF16_EEvlllT_PT11_llS4_llS2_PT12_llPT13_lli.uses_flat_scratch, 0
	.set _ZN12_GLOBAL__N_127rocblas_gemm_batched_kernelIfLi16ELi16ELi32ELi32ELi8ELi32ELi8ELi8ELi32ELc78ELc78EKDF16_S1_DF16_EEvlllT_PT11_llS4_llS2_PT12_llPT13_lli.has_dyn_sized_stack, 0
	.set _ZN12_GLOBAL__N_127rocblas_gemm_batched_kernelIfLi16ELi16ELi32ELi32ELi8ELi32ELi8ELi8ELi32ELc78ELc78EKDF16_S1_DF16_EEvlllT_PT11_llS4_llS2_PT12_llPT13_lli.has_recursion, 0
	.set _ZN12_GLOBAL__N_127rocblas_gemm_batched_kernelIfLi16ELi16ELi32ELi32ELi8ELi32ELi8ELi8ELi32ELc78ELc78EKDF16_S1_DF16_EEvlllT_PT11_llS4_llS2_PT12_llPT13_lli.has_indirect_call, 0
	.section	.AMDGPU.csdata,"",@progbits
; Kernel info:
; codeLenInByte = 1424
; TotalNumSgprs: 38
; NumVgprs: 56
; ScratchSize: 0
; MemoryBound: 0
; FloatMode: 240
; IeeeMode: 1
; LDSByteSize: 2048 bytes/workgroup (compile time only)
; SGPRBlocks: 0
; VGPRBlocks: 3
; NumSGPRsForWavesPerEU: 38
; NumVGPRsForWavesPerEU: 56
; NamedBarCnt: 0
; Occupancy: 16
; WaveLimiterHint : 0
; COMPUTE_PGM_RSRC2:SCRATCH_EN: 0
; COMPUTE_PGM_RSRC2:USER_SGPR: 2
; COMPUTE_PGM_RSRC2:TRAP_HANDLER: 0
; COMPUTE_PGM_RSRC2:TGID_X_EN: 1
; COMPUTE_PGM_RSRC2:TGID_Y_EN: 1
; COMPUTE_PGM_RSRC2:TGID_Z_EN: 1
; COMPUTE_PGM_RSRC2:TIDIG_COMP_CNT: 1
	.section	.text._ZN12_GLOBAL__N_127rocblas_gemm_batched_kernelIfLi16ELi16ELi32ELi32ELi8ELi32ELi8ELi8ELi32ELc84ELc78EKDF16_S1_DF16_EEvlllT_PT11_llS4_llS2_PT12_llPT13_lli,"axG",@progbits,_ZN12_GLOBAL__N_127rocblas_gemm_batched_kernelIfLi16ELi16ELi32ELi32ELi8ELi32ELi8ELi8ELi32ELc84ELc78EKDF16_S1_DF16_EEvlllT_PT11_llS4_llS2_PT12_llPT13_lli,comdat
	.globl	_ZN12_GLOBAL__N_127rocblas_gemm_batched_kernelIfLi16ELi16ELi32ELi32ELi8ELi32ELi8ELi8ELi32ELc84ELc78EKDF16_S1_DF16_EEvlllT_PT11_llS4_llS2_PT12_llPT13_lli ; -- Begin function _ZN12_GLOBAL__N_127rocblas_gemm_batched_kernelIfLi16ELi16ELi32ELi32ELi8ELi32ELi8ELi8ELi32ELc84ELc78EKDF16_S1_DF16_EEvlllT_PT11_llS4_llS2_PT12_llPT13_lli
	.p2align	8
	.type	_ZN12_GLOBAL__N_127rocblas_gemm_batched_kernelIfLi16ELi16ELi32ELi32ELi8ELi32ELi8ELi8ELi32ELc84ELc78EKDF16_S1_DF16_EEvlllT_PT11_llS4_llS2_PT12_llPT13_lli,@function
_ZN12_GLOBAL__N_127rocblas_gemm_batched_kernelIfLi16ELi16ELi32ELi32ELi8ELi32ELi8ELi8ELi32ELc84ELc78EKDF16_S1_DF16_EEvlllT_PT11_llS4_llS2_PT12_llPT13_lli: ; @_ZN12_GLOBAL__N_127rocblas_gemm_batched_kernelIfLi16ELi16ELi32ELi32ELi8ELi32ELi8ELi8ELi32ELc84ELc78EKDF16_S1_DF16_EEvlllT_PT11_llS4_llS2_PT12_llPT13_lli
; %bb.0:
	s_load_b32 s31, s[0:1], 0x88
	s_bfe_u32 s2, ttmp6, 0x40014
	s_lshr_b32 s3, ttmp7, 16
	s_add_co_i32 s2, s2, 1
	s_bfe_u32 s5, ttmp6, 0x40008
	s_mul_i32 s2, s3, s2
	s_getreg_b32 s4, hwreg(HW_REG_IB_STS2, 6, 4)
	s_add_co_i32 s5, s5, s2
	s_cmp_eq_u32 s4, 0
	s_cselect_b32 s2, s3, s5
	s_mov_b32 s3, 0
	s_wait_kmcnt 0x0
	s_cmp_ge_i32 s2, s31
	s_cbranch_scc1 .LBB373_10
; %bb.1:
	s_bfe_u32 s6, ttmp6, 0x4000c
	s_bfe_u32 s7, ttmp6, 0x40010
	s_add_co_i32 s6, s6, 1
	s_and_b32 s8, ttmp7, 0xffff
	s_add_co_i32 s7, s7, 1
	v_bfe_u32 v4, v0, 10, 10
	v_and_b32_e32 v6, 0x3ff, v0
	s_and_b32 s5, ttmp6, 15
	s_mul_i32 s6, ttmp9, s6
	s_mul_i32 s7, s8, s7
	s_bfe_u32 s9, ttmp6, 0x40004
	s_clause 0x1
	s_load_b256 s[12:19], s[0:1], 0x20
	s_load_b128 s[24:27], s[0:1], 0x40
	s_add_co_i32 s5, s5, s6
	s_add_co_i32 s9, s9, s7
	s_cmp_eq_u32 s4, 0
	v_lshl_add_u32 v1, v4, 4, v6
	v_mov_b32_e32 v5, 0
	s_cselect_b32 s28, ttmp9, s5
	s_cselect_b32 s4, s8, s9
	s_ashr_i32 s29, s28, 31
	v_lshrrev_b32_e32 v8, 3, v1
	s_lshl_b64 s[36:37], s[28:29], 5
	v_mov_b32_e32 v9, v5
	s_lshl_b32 s34, s4, 5
	s_mov_b32 s35, s3
	s_clause 0x3
	s_load_b32 s33, s[0:1], 0x50
	s_load_b256 s[4:11], s[0:1], 0x58
	s_load_b128 s[20:23], s[0:1], 0x78
	s_load_b96 s[28:30], s[0:1], 0x10
	v_add_nc_u64_e32 v[2:3], s[34:35], v[8:9]
	v_dual_mov_b32 v7, v5 :: v_dual_bitop2_b32 v9, 31, v1 bitop3:0x40
	v_dual_lshrrev_b32 v17, 5, v1 :: v_dual_bitop2_b32 v0, 7, v0 bitop3:0x40
	v_lshl_add_u32 v18, v4, 5, 0x400
	v_lshlrev_b32_e32 v19, 2, v6
	s_wait_kmcnt 0x0
	v_mul_u64_e32 v[10:11], s[24:25], v[2:3]
	v_dual_lshlrev_b32 v16, 2, v0 :: v_dual_bitop2_b32 v2, s36, v9 bitop3:0x54
	v_mov_b32_e32 v3, s37
	v_add_nc_u64_e32 v[6:7], s[36:37], v[6:7]
	v_lshlrev_b32_e32 v9, 2, v9
	s_delay_alu instid0(VALU_DEP_4) | instskip(NEXT) | instid1(VALU_DEP_4)
	v_lshl_or_b32 v8, v8, 5, v16
	v_mul_u64_e32 v[12:13], s[14:15], v[2:3]
	v_add_nc_u64_e32 v[2:3], s[34:35], v[4:5]
	v_lshlrev_b32_e32 v4, 1, v0
	v_lshlrev_b64_e32 v[6:7], 1, v[6:7]
	v_cmp_gt_i64_e64 s0, s[28:29], 0
	s_cmp_eq_f32 s33, 0
	v_lshl_or_b32 v20, v17, 7, v9
	v_add_nc_u32_e32 v21, 0x400, v8
	v_mul_u64_e32 v[14:15], s[6:7], v[2:3]
	v_mul_u64_e32 v[2:3], s[20:21], v[2:3]
	s_cselect_b32 s1, -1, 0
	s_lshl_b64 s[14:15], s[20:21], 4
	v_lshl_add_u64 v[0:1], v[10:11], 1, v[4:5]
	v_lshlrev_b32_e32 v4, 1, v17
	v_cndmask_b32_e64 v10, 0, 1, s0
	s_delay_alu instid0(VALU_DEP_3) | instskip(NEXT) | instid1(VALU_DEP_2)
	v_add_nc_u64_e32 v[0:1], s[18:19], v[0:1]
	v_cmp_ne_u32_e64 s0, 1, v10
	s_delay_alu instid0(VALU_DEP_4) | instskip(NEXT) | instid1(VALU_DEP_1)
	v_lshl_add_u64 v[4:5], v[12:13], 1, v[4:5]
	v_add_nc_u64_e32 v[4:5], s[12:13], v[4:5]
	s_lshl_b64 s[12:13], s[16:17], 1
	v_lshl_add_u64 v[8:9], v[14:15], 1, s[4:5]
	s_lshl_b64 s[4:5], s[6:7], 4
	s_lshl_b64 s[6:7], s[26:27], 1
	s_branch .LBB373_3
.LBB373_2:                              ;   in Loop: Header=BB373_3 Depth=1
	s_add_co_i32 s2, s2, 0x10000
	s_delay_alu instid0(SALU_CYCLE_1)
	s_cmp_lt_i32 s2, s31
	s_cbranch_scc0 .LBB373_10
.LBB373_3:                              ; =>This Loop Header: Depth=1
                                        ;     Child Loop BB373_5 Depth 2
	s_wait_xcnt 0x0
	v_dual_mov_b32 v13, 0 :: v_dual_mov_b32 v12, 0
	v_dual_mov_b32 v11, 0 :: v_dual_mov_b32 v10, 0
	s_and_b32 vcc_lo, exec_lo, s0
	s_cbranch_vccnz .LBB373_6
; %bb.4:                                ;   in Loop: Header=BB373_3 Depth=1
	v_mad_nc_u64_u32 v[14:15], s6, s2, v[0:1]
	v_mad_nc_u64_u32 v[16:17], s12, s2, v[4:5]
	v_mov_b32_e32 v10, 0
	s_mov_b64 s[16:17], 0
	s_delay_alu instid0(VALU_DEP_1)
	v_dual_mov_b32 v11, v10 :: v_dual_mov_b32 v12, v10
	v_mov_b32_e32 v13, v10
	v_mad_u32 v15, s7, s2, v15
	v_mad_u32 v17, s13, s2, v17
.LBB373_5:                              ;   Parent Loop BB373_3 Depth=1
                                        ; =>  This Inner Loop Header: Depth=2
	global_load_u16 v22, v[16:17], off
	global_load_u16 v23, v[14:15], off
	s_add_nc_u64 s[16:17], s[16:17], 8
	s_wait_xcnt 0x0
	v_add_nc_u64_e32 v[14:15], 16, v[14:15]
	v_cmp_lt_i64_e64 s18, s[16:17], s[28:29]
	v_add_nc_u64_e32 v[16:17], 16, v[16:17]
	s_and_b32 vcc_lo, exec_lo, s18
	s_wait_loadcnt 0x1
	v_cvt_f32_f16_e32 v22, v22
	s_wait_loadcnt 0x0
	v_cvt_f32_f16_e32 v23, v23
	ds_store_b32 v20, v22
	ds_store_b32 v21, v23
	s_wait_dscnt 0x0
	s_barrier_signal -1
	s_barrier_wait -1
	ds_load_2addr_b32 v[38:39], v19 offset1:16
	ds_load_2addr_b32 v[40:41], v19 offset0:32 offset1:48
	ds_load_b128 v[22:25], v18
	ds_load_2addr_b32 v[42:43], v19 offset0:64 offset1:80
	ds_load_b128 v[26:29], v18 offset:512
	ds_load_2addr_b32 v[44:45], v19 offset0:96 offset1:112
	ds_load_b128 v[30:33], v18 offset:16
	;; [unrolled: 2-line block ×3, first 2 shown]
	ds_load_2addr_b32 v[48:49], v19 offset0:160 offset1:176
	ds_load_2addr_b32 v[50:51], v19 offset0:192 offset1:208
	;; [unrolled: 1-line block ×3, first 2 shown]
	s_wait_dscnt 0x0
	s_barrier_signal -1
	s_barrier_wait -1
	v_dual_mov_b32 v54, v39 :: v_dual_mov_b32 v55, v38
	v_dual_mov_b32 v38, v41 :: v_dual_mov_b32 v39, v40
	;; [unrolled: 1-line block ×3, first 2 shown]
	s_delay_alu instid0(VALU_DEP_3) | instskip(SKIP_3) | instid1(VALU_DEP_4)
	v_pk_fma_f32 v[12:13], v[54:55], v[22:23], v[12:13] op_sel_hi:[1,0,1]
	v_pk_fma_f32 v[10:11], v[54:55], v[26:27], v[10:11] op_sel_hi:[1,0,1]
	v_dual_mov_b32 v42, v45 :: v_dual_mov_b32 v43, v44
	v_mov_b32_e32 v44, v25
	v_pk_fma_f32 v[12:13], v[38:39], v[22:23], v[12:13] op_sel:[0,1,0]
	s_delay_alu instid0(VALU_DEP_4) | instskip(SKIP_2) | instid1(VALU_DEP_4)
	v_pk_fma_f32 v[10:11], v[38:39], v[26:27], v[10:11] op_sel:[0,1,0]
	v_dual_mov_b32 v22, v29 :: v_dual_mov_b32 v26, v53
	v_mov_b32_e32 v27, v52
	v_pk_fma_f32 v[12:13], v[40:41], v[24:25], v[12:13] op_sel_hi:[1,0,1]
	s_delay_alu instid0(VALU_DEP_4) | instskip(SKIP_2) | instid1(VALU_DEP_4)
	v_pk_fma_f32 v[10:11], v[40:41], v[28:29], v[10:11] op_sel_hi:[1,0,1]
	v_dual_mov_b32 v24, v47 :: v_dual_mov_b32 v25, v46
	v_mov_b32_e32 v28, v37
	v_pk_fma_f32 v[12:13], v[42:43], v[44:45], v[12:13] op_sel_hi:[1,0,1]
	s_delay_alu instid0(VALU_DEP_4) | instskip(SKIP_1) | instid1(VALU_DEP_3)
	v_pk_fma_f32 v[10:11], v[42:43], v[22:23], v[10:11] op_sel_hi:[1,0,1]
	v_dual_mov_b32 v22, v49 :: v_dual_mov_b32 v23, v48
	v_pk_fma_f32 v[12:13], v[24:25], v[30:31], v[12:13] op_sel_hi:[1,0,1]
	s_delay_alu instid0(VALU_DEP_3) | instskip(SKIP_1) | instid1(VALU_DEP_3)
	v_pk_fma_f32 v[10:11], v[24:25], v[34:35], v[10:11] op_sel_hi:[1,0,1]
	v_dual_mov_b32 v24, v51 :: v_dual_mov_b32 v25, v50
	v_pk_fma_f32 v[12:13], v[22:23], v[30:31], v[12:13] op_sel:[0,1,0]
	s_delay_alu instid0(VALU_DEP_3) | instskip(SKIP_1) | instid1(VALU_DEP_3)
	v_pk_fma_f32 v[10:11], v[22:23], v[34:35], v[10:11] op_sel:[0,1,0]
	v_mov_b32_e32 v22, v33
	v_pk_fma_f32 v[12:13], v[24:25], v[32:33], v[12:13] op_sel_hi:[1,0,1]
	s_delay_alu instid0(VALU_DEP_3) | instskip(NEXT) | instid1(VALU_DEP_2)
	v_pk_fma_f32 v[10:11], v[24:25], v[36:37], v[10:11] op_sel_hi:[1,0,1]
	v_pk_fma_f32 v[12:13], v[26:27], v[22:23], v[12:13] op_sel_hi:[1,0,1]
	s_delay_alu instid0(VALU_DEP_2)
	v_pk_fma_f32 v[10:11], v[26:27], v[28:29], v[10:11] op_sel_hi:[1,0,1]
	s_cbranch_vccnz .LBB373_5
.LBB373_6:                              ;   in Loop: Header=BB373_3 Depth=1
	s_mul_u64 s[16:17], s[22:23], s[2:3]
	s_and_not1_b32 vcc_lo, exec_lo, s1
	s_lshl_b64 s[16:17], s[16:17], 1
	s_delay_alu instid0(SALU_CYCLE_1) | instskip(NEXT) | instid1(SALU_CYCLE_1)
	s_add_nc_u64 s[16:17], s[10:11], s[16:17]
	v_lshl_add_u64 v[14:15], v[2:3], 1, s[16:17]
	s_delay_alu instid0(VALU_DEP_1)
	v_add_nc_u64_e32 v[16:17], v[14:15], v[6:7]
	v_lshl_add_u64 v[14:15], s[14:15], 1, v[14:15]
	s_cbranch_vccnz .LBB373_8
; %bb.7:                                ;   in Loop: Header=BB373_3 Depth=1
	s_delay_alu instid0(VALU_DEP_1)
	v_add_nc_u64_e32 v[22:23], v[14:15], v[6:7]
	v_fma_mixlo_f16 v24, s30, v13, 0
	v_fma_mixlo_f16 v26, s30, v11, 0
	;; [unrolled: 1-line block ×4, first 2 shown]
	s_clause 0x3
	global_store_b16 v[16:17], v24, off
	global_store_b16 v[16:17], v25, off offset:32
	global_store_b16 v[22:23], v26, off
	global_store_b16 v[22:23], v27, off offset:32
	s_cbranch_execnz .LBB373_2
	s_branch .LBB373_9
.LBB373_8:                              ;   in Loop: Header=BB373_3 Depth=1
.LBB373_9:                              ;   in Loop: Header=BB373_3 Depth=1
	s_mul_u64 s[16:17], s[8:9], s[2:3]
	s_wait_xcnt 0x0
	v_lshl_add_u64 v[22:23], s[16:17], 1, v[8:9]
	s_delay_alu instid0(VALU_DEP_1) | instskip(SKIP_1) | instid1(VALU_DEP_1)
	v_add_nc_u64_e32 v[24:25], v[22:23], v[6:7]
	v_lshl_add_u64 v[22:23], s[4:5], 1, v[22:23]
	v_add_nc_u64_e32 v[22:23], v[22:23], v[6:7]
	global_load_u16 v26, v[24:25], off
	s_wait_loadcnt 0x0
	v_cvt_f32_f16_e32 v26, v26
	s_delay_alu instid0(VALU_DEP_1) | instskip(NEXT) | instid1(VALU_DEP_1)
	v_mul_f32_e32 v26, s33, v26
	v_fma_mixlo_f16 v13, s30, v13, v26
	global_store_b16 v[16:17], v13, off
	global_load_u16 v13, v[24:25], off offset:32
	s_wait_loadcnt 0x0
	v_cvt_f32_f16_e32 v13, v13
	s_delay_alu instid0(VALU_DEP_1) | instskip(NEXT) | instid1(VALU_DEP_1)
	v_mul_f32_e32 v13, s33, v13
	v_fma_mixlo_f16 v12, s30, v12, v13
	global_store_b16 v[16:17], v12, off offset:32
	global_load_u16 v12, v[22:23], off
	s_wait_loadcnt 0x0
	v_cvt_f32_f16_e32 v12, v12
	s_delay_alu instid0(VALU_DEP_1) | instskip(SKIP_1) | instid1(VALU_DEP_2)
	v_mul_f32_e32 v16, s33, v12
	v_add_nc_u64_e32 v[12:13], v[14:15], v[6:7]
	v_fma_mixlo_f16 v11, s30, v11, v16
	global_store_b16 v[12:13], v11, off
	global_load_u16 v11, v[22:23], off offset:32
	s_wait_loadcnt 0x0
	v_cvt_f32_f16_e32 v11, v11
	s_delay_alu instid0(VALU_DEP_1) | instskip(NEXT) | instid1(VALU_DEP_1)
	v_mul_f32_e32 v11, s33, v11
	v_fma_mixlo_f16 v10, s30, v10, v11
	global_store_b16 v[12:13], v10, off offset:32
	s_branch .LBB373_2
.LBB373_10:
	s_endpgm
	.section	.rodata,"a",@progbits
	.p2align	6, 0x0
	.amdhsa_kernel _ZN12_GLOBAL__N_127rocblas_gemm_batched_kernelIfLi16ELi16ELi32ELi32ELi8ELi32ELi8ELi8ELi32ELc84ELc78EKDF16_S1_DF16_EEvlllT_PT11_llS4_llS2_PT12_llPT13_lli
		.amdhsa_group_segment_fixed_size 2048
		.amdhsa_private_segment_fixed_size 0
		.amdhsa_kernarg_size 140
		.amdhsa_user_sgpr_count 2
		.amdhsa_user_sgpr_dispatch_ptr 0
		.amdhsa_user_sgpr_queue_ptr 0
		.amdhsa_user_sgpr_kernarg_segment_ptr 1
		.amdhsa_user_sgpr_dispatch_id 0
		.amdhsa_user_sgpr_kernarg_preload_length 0
		.amdhsa_user_sgpr_kernarg_preload_offset 0
		.amdhsa_user_sgpr_private_segment_size 0
		.amdhsa_wavefront_size32 1
		.amdhsa_uses_dynamic_stack 0
		.amdhsa_enable_private_segment 0
		.amdhsa_system_sgpr_workgroup_id_x 1
		.amdhsa_system_sgpr_workgroup_id_y 1
		.amdhsa_system_sgpr_workgroup_id_z 1
		.amdhsa_system_sgpr_workgroup_info 0
		.amdhsa_system_vgpr_workitem_id 1
		.amdhsa_next_free_vgpr 56
		.amdhsa_next_free_sgpr 38
		.amdhsa_named_barrier_count 0
		.amdhsa_reserve_vcc 1
		.amdhsa_float_round_mode_32 0
		.amdhsa_float_round_mode_16_64 0
		.amdhsa_float_denorm_mode_32 3
		.amdhsa_float_denorm_mode_16_64 3
		.amdhsa_fp16_overflow 0
		.amdhsa_memory_ordered 1
		.amdhsa_forward_progress 1
		.amdhsa_inst_pref_size 12
		.amdhsa_round_robin_scheduling 0
		.amdhsa_exception_fp_ieee_invalid_op 0
		.amdhsa_exception_fp_denorm_src 0
		.amdhsa_exception_fp_ieee_div_zero 0
		.amdhsa_exception_fp_ieee_overflow 0
		.amdhsa_exception_fp_ieee_underflow 0
		.amdhsa_exception_fp_ieee_inexact 0
		.amdhsa_exception_int_div_zero 0
	.end_amdhsa_kernel
	.section	.text._ZN12_GLOBAL__N_127rocblas_gemm_batched_kernelIfLi16ELi16ELi32ELi32ELi8ELi32ELi8ELi8ELi32ELc84ELc78EKDF16_S1_DF16_EEvlllT_PT11_llS4_llS2_PT12_llPT13_lli,"axG",@progbits,_ZN12_GLOBAL__N_127rocblas_gemm_batched_kernelIfLi16ELi16ELi32ELi32ELi8ELi32ELi8ELi8ELi32ELc84ELc78EKDF16_S1_DF16_EEvlllT_PT11_llS4_llS2_PT12_llPT13_lli,comdat
.Lfunc_end373:
	.size	_ZN12_GLOBAL__N_127rocblas_gemm_batched_kernelIfLi16ELi16ELi32ELi32ELi8ELi32ELi8ELi8ELi32ELc84ELc78EKDF16_S1_DF16_EEvlllT_PT11_llS4_llS2_PT12_llPT13_lli, .Lfunc_end373-_ZN12_GLOBAL__N_127rocblas_gemm_batched_kernelIfLi16ELi16ELi32ELi32ELi8ELi32ELi8ELi8ELi32ELc84ELc78EKDF16_S1_DF16_EEvlllT_PT11_llS4_llS2_PT12_llPT13_lli
                                        ; -- End function
	.set _ZN12_GLOBAL__N_127rocblas_gemm_batched_kernelIfLi16ELi16ELi32ELi32ELi8ELi32ELi8ELi8ELi32ELc84ELc78EKDF16_S1_DF16_EEvlllT_PT11_llS4_llS2_PT12_llPT13_lli.num_vgpr, 56
	.set _ZN12_GLOBAL__N_127rocblas_gemm_batched_kernelIfLi16ELi16ELi32ELi32ELi8ELi32ELi8ELi8ELi32ELc84ELc78EKDF16_S1_DF16_EEvlllT_PT11_llS4_llS2_PT12_llPT13_lli.num_agpr, 0
	.set _ZN12_GLOBAL__N_127rocblas_gemm_batched_kernelIfLi16ELi16ELi32ELi32ELi8ELi32ELi8ELi8ELi32ELc84ELc78EKDF16_S1_DF16_EEvlllT_PT11_llS4_llS2_PT12_llPT13_lli.numbered_sgpr, 38
	.set _ZN12_GLOBAL__N_127rocblas_gemm_batched_kernelIfLi16ELi16ELi32ELi32ELi8ELi32ELi8ELi8ELi32ELc84ELc78EKDF16_S1_DF16_EEvlllT_PT11_llS4_llS2_PT12_llPT13_lli.num_named_barrier, 0
	.set _ZN12_GLOBAL__N_127rocblas_gemm_batched_kernelIfLi16ELi16ELi32ELi32ELi8ELi32ELi8ELi8ELi32ELc84ELc78EKDF16_S1_DF16_EEvlllT_PT11_llS4_llS2_PT12_llPT13_lli.private_seg_size, 0
	.set _ZN12_GLOBAL__N_127rocblas_gemm_batched_kernelIfLi16ELi16ELi32ELi32ELi8ELi32ELi8ELi8ELi32ELc84ELc78EKDF16_S1_DF16_EEvlllT_PT11_llS4_llS2_PT12_llPT13_lli.uses_vcc, 1
	.set _ZN12_GLOBAL__N_127rocblas_gemm_batched_kernelIfLi16ELi16ELi32ELi32ELi8ELi32ELi8ELi8ELi32ELc84ELc78EKDF16_S1_DF16_EEvlllT_PT11_llS4_llS2_PT12_llPT13_lli.uses_flat_scratch, 0
	.set _ZN12_GLOBAL__N_127rocblas_gemm_batched_kernelIfLi16ELi16ELi32ELi32ELi8ELi32ELi8ELi8ELi32ELc84ELc78EKDF16_S1_DF16_EEvlllT_PT11_llS4_llS2_PT12_llPT13_lli.has_dyn_sized_stack, 0
	.set _ZN12_GLOBAL__N_127rocblas_gemm_batched_kernelIfLi16ELi16ELi32ELi32ELi8ELi32ELi8ELi8ELi32ELc84ELc78EKDF16_S1_DF16_EEvlllT_PT11_llS4_llS2_PT12_llPT13_lli.has_recursion, 0
	.set _ZN12_GLOBAL__N_127rocblas_gemm_batched_kernelIfLi16ELi16ELi32ELi32ELi8ELi32ELi8ELi8ELi32ELc84ELc78EKDF16_S1_DF16_EEvlllT_PT11_llS4_llS2_PT12_llPT13_lli.has_indirect_call, 0
	.section	.AMDGPU.csdata,"",@progbits
; Kernel info:
; codeLenInByte = 1416
; TotalNumSgprs: 40
; NumVgprs: 56
; ScratchSize: 0
; MemoryBound: 0
; FloatMode: 240
; IeeeMode: 1
; LDSByteSize: 2048 bytes/workgroup (compile time only)
; SGPRBlocks: 0
; VGPRBlocks: 3
; NumSGPRsForWavesPerEU: 40
; NumVGPRsForWavesPerEU: 56
; NamedBarCnt: 0
; Occupancy: 16
; WaveLimiterHint : 0
; COMPUTE_PGM_RSRC2:SCRATCH_EN: 0
; COMPUTE_PGM_RSRC2:USER_SGPR: 2
; COMPUTE_PGM_RSRC2:TRAP_HANDLER: 0
; COMPUTE_PGM_RSRC2:TGID_X_EN: 1
; COMPUTE_PGM_RSRC2:TGID_Y_EN: 1
; COMPUTE_PGM_RSRC2:TGID_Z_EN: 1
; COMPUTE_PGM_RSRC2:TIDIG_COMP_CNT: 1
	.section	.text._ZN12_GLOBAL__N_127rocblas_gemm_batched_kernelIfLi16ELi16ELi32ELi32ELi8ELi32ELi8ELi8ELi32ELc78ELc84EKDF16_S1_DF16_EEvlllT_PT11_llS4_llS2_PT12_llPT13_lli,"axG",@progbits,_ZN12_GLOBAL__N_127rocblas_gemm_batched_kernelIfLi16ELi16ELi32ELi32ELi8ELi32ELi8ELi8ELi32ELc78ELc84EKDF16_S1_DF16_EEvlllT_PT11_llS4_llS2_PT12_llPT13_lli,comdat
	.globl	_ZN12_GLOBAL__N_127rocblas_gemm_batched_kernelIfLi16ELi16ELi32ELi32ELi8ELi32ELi8ELi8ELi32ELc78ELc84EKDF16_S1_DF16_EEvlllT_PT11_llS4_llS2_PT12_llPT13_lli ; -- Begin function _ZN12_GLOBAL__N_127rocblas_gemm_batched_kernelIfLi16ELi16ELi32ELi32ELi8ELi32ELi8ELi8ELi32ELc78ELc84EKDF16_S1_DF16_EEvlllT_PT11_llS4_llS2_PT12_llPT13_lli
	.p2align	8
	.type	_ZN12_GLOBAL__N_127rocblas_gemm_batched_kernelIfLi16ELi16ELi32ELi32ELi8ELi32ELi8ELi8ELi32ELc78ELc84EKDF16_S1_DF16_EEvlllT_PT11_llS4_llS2_PT12_llPT13_lli,@function
_ZN12_GLOBAL__N_127rocblas_gemm_batched_kernelIfLi16ELi16ELi32ELi32ELi8ELi32ELi8ELi8ELi32ELc78ELc84EKDF16_S1_DF16_EEvlllT_PT11_llS4_llS2_PT12_llPT13_lli: ; @_ZN12_GLOBAL__N_127rocblas_gemm_batched_kernelIfLi16ELi16ELi32ELi32ELi8ELi32ELi8ELi8ELi32ELc78ELc84EKDF16_S1_DF16_EEvlllT_PT11_llS4_llS2_PT12_llPT13_lli
; %bb.0:
	s_load_b32 s31, s[0:1], 0x88
	s_bfe_u32 s2, ttmp6, 0x40014
	s_lshr_b32 s3, ttmp7, 16
	s_add_co_i32 s2, s2, 1
	s_bfe_u32 s4, ttmp6, 0x40008
	s_mul_i32 s2, s3, s2
	s_getreg_b32 s20, hwreg(HW_REG_IB_STS2, 6, 4)
	s_add_co_i32 s4, s4, s2
	s_cmp_eq_u32 s20, 0
	s_cselect_b32 s2, s3, s4
	s_mov_b32 s3, 0
	s_wait_kmcnt 0x0
	s_cmp_ge_i32 s2, s31
	s_cbranch_scc1 .LBB374_10
; %bb.1:
	s_bfe_u32 s21, ttmp6, 0x4000c
	s_bfe_u32 s23, ttmp6, 0x40010
	s_clause 0x2
	s_load_b256 s[12:19], s[0:1], 0x20
	s_load_b128 s[24:27], s[0:1], 0x40
	s_load_b256 s[4:11], s[0:1], 0x58
	s_add_co_i32 s21, s21, 1
	s_and_b32 s28, ttmp7, 0xffff
	s_add_co_i32 s23, s23, 1
	s_and_b32 s22, ttmp6, 15
	s_mul_i32 s21, ttmp9, s21
	s_mul_i32 s23, s28, s23
	s_bfe_u32 s29, ttmp6, 0x40004
	s_add_co_i32 s22, s22, s21
	s_add_co_i32 s29, s29, s23
	s_cmp_eq_u32 s20, 0
	v_bfe_u32 v2, v0, 10, 10
	v_dual_mov_b32 v3, 0 :: v_dual_bitop2_b32 v17, 7, v0 bitop3:0x40
	s_cselect_b32 s20, s28, s29
	s_cselect_b32 s28, ttmp9, s22
	s_lshl_b32 s34, s20, 5
	s_load_b128 s[20:23], s[0:1], 0x78
	s_mov_b32 s35, s3
	v_and_b32_e32 v4, 0x3ff, v0
	v_add_nc_u64_e32 v[6:7], s[34:35], v[2:3]
	v_mov_b32_e32 v9, v3
	s_ashr_i32 s29, s28, 31
	s_load_b32 s33, s[0:1], 0x50
	v_lshl_add_u32 v1, v2, 4, v4
	s_lshl_b64 s[36:37], s[28:29], 5
	s_load_b96 s[28:30], s[0:1], 0x10
	s_wait_kmcnt 0x0
	v_mul_u64_e32 v[10:11], s[6:7], v[6:7]
	v_dual_lshlrev_b32 v20, 2, v4 :: v_dual_lshrrev_b32 v8, 3, v1
	v_dual_lshrrev_b32 v18, 5, v1 :: v_dual_bitop2_b32 v16, 31, v1 bitop3:0x40
	v_mov_b32_e32 v5, v3
	v_lshl_add_u32 v21, v2, 5, 0x400
	s_delay_alu instid0(VALU_DEP_4) | instskip(NEXT) | instid1(VALU_DEP_4)
	v_mad_nc_u64_u32 v[12:13], s24, v17, v[8:9]
	v_mad_nc_u64_u32 v[14:15], s14, v18, s[36:37]
	v_mul_u64_e32 v[0:1], s[20:21], v[6:7]
	v_dual_lshlrev_b32 v6, 2, v17 :: v_dual_lshlrev_b32 v7, 2, v16
	s_delay_alu instid0(VALU_DEP_1)
	v_lshl_or_b32 v6, v8, 5, v6
	s_cmp_eq_f32 s33, 0
	v_mad_u32 v13, s25, v17, v13
	v_mad_u32 v15, s15, v18, v15
	v_mov_b32_e32 v17, v3
	v_cmp_gt_i64_e64 s0, s[28:29], 0
	v_lshl_or_b32 v18, v18, 7, v7
	v_add_nc_u32_e32 v19, 0x400, v6
	v_add_nc_u64_e32 v[6:7], s[36:37], v[4:5]
	s_cselect_b32 s1, -1, 0
	s_lshl_b64 s[20:21], s[20:21], 4
	s_lshl_b64 s[6:7], s[6:7], 4
	s_lshl_b64 s[16:17], s[16:17], 1
	v_add_nc_u64_e32 v[4:5], s[34:35], v[12:13]
	v_add_nc_u64_e32 v[8:9], v[14:15], v[16:17]
	v_lshlrev_b64_e32 v[6:7], 1, v[6:7]
	v_lshl_add_u64 v[2:3], v[10:11], 1, s[4:5]
	v_cndmask_b32_e64 v10, 0, 1, s0
	s_lshl_b64 s[4:5], s[26:27], 1
	s_lshl_b64 s[14:15], s[14:15], 4
	v_lshl_add_u64 v[4:5], v[4:5], 1, s[18:19]
	v_lshl_add_u64 v[8:9], v[8:9], 1, s[12:13]
	v_cmp_ne_u32_e64 s0, 1, v10
	s_lshl_b64 s[12:13], s[24:25], 4
	s_branch .LBB374_3
.LBB374_2:                              ;   in Loop: Header=BB374_3 Depth=1
	s_add_co_i32 s2, s2, 0x10000
	s_delay_alu instid0(SALU_CYCLE_1)
	s_cmp_lt_i32 s2, s31
	s_cbranch_scc0 .LBB374_10
.LBB374_3:                              ; =>This Loop Header: Depth=1
                                        ;     Child Loop BB374_5 Depth 2
	s_wait_xcnt 0x0
	v_dual_mov_b32 v13, 0 :: v_dual_mov_b32 v12, 0
	v_dual_mov_b32 v11, 0 :: v_dual_mov_b32 v10, 0
	s_and_b32 vcc_lo, exec_lo, s0
	s_cbranch_vccnz .LBB374_6
; %bb.4:                                ;   in Loop: Header=BB374_3 Depth=1
	v_mad_nc_u64_u32 v[14:15], s4, s2, v[4:5]
	v_mad_nc_u64_u32 v[16:17], s16, s2, v[8:9]
	v_mov_b32_e32 v10, 0
	s_mov_b64 s[18:19], 0
	s_delay_alu instid0(VALU_DEP_1)
	v_dual_mov_b32 v11, v10 :: v_dual_mov_b32 v12, v10
	v_mov_b32_e32 v13, v10
	v_mad_u32 v15, s5, s2, v15
	v_mad_u32 v17, s17, s2, v17
.LBB374_5:                              ;   Parent Loop BB374_3 Depth=1
                                        ; =>  This Inner Loop Header: Depth=2
	global_load_u16 v22, v[16:17], off
	global_load_u16 v23, v[14:15], off
	s_add_nc_u64 s[18:19], s[18:19], 8
	s_wait_xcnt 0x0
	v_add_nc_u64_e32 v[14:15], s[12:13], v[14:15]
	v_cmp_lt_i64_e64 s24, s[18:19], s[28:29]
	v_add_nc_u64_e32 v[16:17], s[14:15], v[16:17]
	s_and_b32 vcc_lo, exec_lo, s24
	s_wait_loadcnt 0x1
	v_cvt_f32_f16_e32 v22, v22
	s_wait_loadcnt 0x0
	v_cvt_f32_f16_e32 v23, v23
	ds_store_b32 v18, v22
	ds_store_b32 v19, v23
	s_wait_dscnt 0x0
	s_barrier_signal -1
	s_barrier_wait -1
	ds_load_2addr_b32 v[38:39], v20 offset1:16
	ds_load_2addr_b32 v[40:41], v20 offset0:32 offset1:48
	ds_load_b128 v[22:25], v21
	ds_load_2addr_b32 v[42:43], v20 offset0:64 offset1:80
	ds_load_b128 v[26:29], v21 offset:512
	ds_load_2addr_b32 v[44:45], v20 offset0:96 offset1:112
	ds_load_b128 v[30:33], v21 offset:16
	;; [unrolled: 2-line block ×3, first 2 shown]
	ds_load_2addr_b32 v[48:49], v20 offset0:160 offset1:176
	ds_load_2addr_b32 v[50:51], v20 offset0:192 offset1:208
	ds_load_2addr_b32 v[52:53], v20 offset0:224 offset1:240
	s_wait_dscnt 0x0
	s_barrier_signal -1
	s_barrier_wait -1
	v_dual_mov_b32 v54, v39 :: v_dual_mov_b32 v55, v38
	v_dual_mov_b32 v38, v41 :: v_dual_mov_b32 v39, v40
	;; [unrolled: 1-line block ×3, first 2 shown]
	s_delay_alu instid0(VALU_DEP_3) | instskip(SKIP_3) | instid1(VALU_DEP_4)
	v_pk_fma_f32 v[12:13], v[54:55], v[22:23], v[12:13] op_sel_hi:[1,0,1]
	v_pk_fma_f32 v[10:11], v[54:55], v[26:27], v[10:11] op_sel_hi:[1,0,1]
	v_dual_mov_b32 v42, v45 :: v_dual_mov_b32 v43, v44
	v_mov_b32_e32 v44, v25
	v_pk_fma_f32 v[12:13], v[38:39], v[22:23], v[12:13] op_sel:[0,1,0]
	s_delay_alu instid0(VALU_DEP_4) | instskip(SKIP_2) | instid1(VALU_DEP_4)
	v_pk_fma_f32 v[10:11], v[38:39], v[26:27], v[10:11] op_sel:[0,1,0]
	v_dual_mov_b32 v22, v29 :: v_dual_mov_b32 v26, v53
	v_mov_b32_e32 v27, v52
	v_pk_fma_f32 v[12:13], v[40:41], v[24:25], v[12:13] op_sel_hi:[1,0,1]
	s_delay_alu instid0(VALU_DEP_4) | instskip(SKIP_2) | instid1(VALU_DEP_4)
	v_pk_fma_f32 v[10:11], v[40:41], v[28:29], v[10:11] op_sel_hi:[1,0,1]
	v_dual_mov_b32 v24, v47 :: v_dual_mov_b32 v25, v46
	v_mov_b32_e32 v28, v37
	v_pk_fma_f32 v[12:13], v[42:43], v[44:45], v[12:13] op_sel_hi:[1,0,1]
	s_delay_alu instid0(VALU_DEP_4) | instskip(SKIP_1) | instid1(VALU_DEP_3)
	v_pk_fma_f32 v[10:11], v[42:43], v[22:23], v[10:11] op_sel_hi:[1,0,1]
	v_dual_mov_b32 v22, v49 :: v_dual_mov_b32 v23, v48
	v_pk_fma_f32 v[12:13], v[24:25], v[30:31], v[12:13] op_sel_hi:[1,0,1]
	s_delay_alu instid0(VALU_DEP_3) | instskip(SKIP_1) | instid1(VALU_DEP_3)
	v_pk_fma_f32 v[10:11], v[24:25], v[34:35], v[10:11] op_sel_hi:[1,0,1]
	v_dual_mov_b32 v24, v51 :: v_dual_mov_b32 v25, v50
	v_pk_fma_f32 v[12:13], v[22:23], v[30:31], v[12:13] op_sel:[0,1,0]
	s_delay_alu instid0(VALU_DEP_3) | instskip(SKIP_1) | instid1(VALU_DEP_3)
	v_pk_fma_f32 v[10:11], v[22:23], v[34:35], v[10:11] op_sel:[0,1,0]
	v_mov_b32_e32 v22, v33
	v_pk_fma_f32 v[12:13], v[24:25], v[32:33], v[12:13] op_sel_hi:[1,0,1]
	s_delay_alu instid0(VALU_DEP_3) | instskip(NEXT) | instid1(VALU_DEP_2)
	v_pk_fma_f32 v[10:11], v[24:25], v[36:37], v[10:11] op_sel_hi:[1,0,1]
	v_pk_fma_f32 v[12:13], v[26:27], v[22:23], v[12:13] op_sel_hi:[1,0,1]
	s_delay_alu instid0(VALU_DEP_2)
	v_pk_fma_f32 v[10:11], v[26:27], v[28:29], v[10:11] op_sel_hi:[1,0,1]
	s_cbranch_vccnz .LBB374_5
.LBB374_6:                              ;   in Loop: Header=BB374_3 Depth=1
	s_mul_u64 s[18:19], s[22:23], s[2:3]
	s_and_not1_b32 vcc_lo, exec_lo, s1
	s_lshl_b64 s[18:19], s[18:19], 1
	s_delay_alu instid0(SALU_CYCLE_1) | instskip(NEXT) | instid1(SALU_CYCLE_1)
	s_add_nc_u64 s[18:19], s[10:11], s[18:19]
	v_lshl_add_u64 v[14:15], v[0:1], 1, s[18:19]
	s_delay_alu instid0(VALU_DEP_1)
	v_add_nc_u64_e32 v[16:17], v[14:15], v[6:7]
	v_lshl_add_u64 v[14:15], s[20:21], 1, v[14:15]
	s_cbranch_vccnz .LBB374_8
; %bb.7:                                ;   in Loop: Header=BB374_3 Depth=1
	s_delay_alu instid0(VALU_DEP_1)
	v_add_nc_u64_e32 v[22:23], v[14:15], v[6:7]
	v_fma_mixlo_f16 v24, s30, v13, 0
	v_fma_mixlo_f16 v26, s30, v11, 0
	v_fma_mixlo_f16 v25, s30, v12, 0
	v_fma_mixlo_f16 v27, s30, v10, 0
	s_clause 0x3
	global_store_b16 v[16:17], v24, off
	global_store_b16 v[16:17], v25, off offset:32
	global_store_b16 v[22:23], v26, off
	global_store_b16 v[22:23], v27, off offset:32
	s_cbranch_execnz .LBB374_2
	s_branch .LBB374_9
.LBB374_8:                              ;   in Loop: Header=BB374_3 Depth=1
.LBB374_9:                              ;   in Loop: Header=BB374_3 Depth=1
	s_mul_u64 s[18:19], s[8:9], s[2:3]
	s_wait_xcnt 0x0
	v_lshl_add_u64 v[22:23], s[18:19], 1, v[2:3]
	s_delay_alu instid0(VALU_DEP_1) | instskip(SKIP_1) | instid1(VALU_DEP_1)
	v_add_nc_u64_e32 v[24:25], v[22:23], v[6:7]
	v_lshl_add_u64 v[22:23], s[6:7], 1, v[22:23]
	v_add_nc_u64_e32 v[22:23], v[22:23], v[6:7]
	global_load_u16 v26, v[24:25], off
	s_wait_loadcnt 0x0
	v_cvt_f32_f16_e32 v26, v26
	s_delay_alu instid0(VALU_DEP_1) | instskip(NEXT) | instid1(VALU_DEP_1)
	v_mul_f32_e32 v26, s33, v26
	v_fma_mixlo_f16 v13, s30, v13, v26
	global_store_b16 v[16:17], v13, off
	global_load_u16 v13, v[24:25], off offset:32
	s_wait_loadcnt 0x0
	v_cvt_f32_f16_e32 v13, v13
	s_delay_alu instid0(VALU_DEP_1) | instskip(NEXT) | instid1(VALU_DEP_1)
	v_mul_f32_e32 v13, s33, v13
	v_fma_mixlo_f16 v12, s30, v12, v13
	global_store_b16 v[16:17], v12, off offset:32
	global_load_u16 v12, v[22:23], off
	s_wait_loadcnt 0x0
	v_cvt_f32_f16_e32 v12, v12
	s_delay_alu instid0(VALU_DEP_1) | instskip(SKIP_1) | instid1(VALU_DEP_2)
	v_mul_f32_e32 v16, s33, v12
	v_add_nc_u64_e32 v[12:13], v[14:15], v[6:7]
	v_fma_mixlo_f16 v11, s30, v11, v16
	global_store_b16 v[12:13], v11, off
	global_load_u16 v11, v[22:23], off offset:32
	s_wait_loadcnt 0x0
	v_cvt_f32_f16_e32 v11, v11
	s_delay_alu instid0(VALU_DEP_1) | instskip(NEXT) | instid1(VALU_DEP_1)
	v_mul_f32_e32 v11, s33, v11
	v_fma_mixlo_f16 v10, s30, v10, v11
	global_store_b16 v[12:13], v10, off offset:32
	s_branch .LBB374_2
.LBB374_10:
	s_endpgm
	.section	.rodata,"a",@progbits
	.p2align	6, 0x0
	.amdhsa_kernel _ZN12_GLOBAL__N_127rocblas_gemm_batched_kernelIfLi16ELi16ELi32ELi32ELi8ELi32ELi8ELi8ELi32ELc78ELc84EKDF16_S1_DF16_EEvlllT_PT11_llS4_llS2_PT12_llPT13_lli
		.amdhsa_group_segment_fixed_size 2048
		.amdhsa_private_segment_fixed_size 0
		.amdhsa_kernarg_size 140
		.amdhsa_user_sgpr_count 2
		.amdhsa_user_sgpr_dispatch_ptr 0
		.amdhsa_user_sgpr_queue_ptr 0
		.amdhsa_user_sgpr_kernarg_segment_ptr 1
		.amdhsa_user_sgpr_dispatch_id 0
		.amdhsa_user_sgpr_kernarg_preload_length 0
		.amdhsa_user_sgpr_kernarg_preload_offset 0
		.amdhsa_user_sgpr_private_segment_size 0
		.amdhsa_wavefront_size32 1
		.amdhsa_uses_dynamic_stack 0
		.amdhsa_enable_private_segment 0
		.amdhsa_system_sgpr_workgroup_id_x 1
		.amdhsa_system_sgpr_workgroup_id_y 1
		.amdhsa_system_sgpr_workgroup_id_z 1
		.amdhsa_system_sgpr_workgroup_info 0
		.amdhsa_system_vgpr_workitem_id 1
		.amdhsa_next_free_vgpr 56
		.amdhsa_next_free_sgpr 38
		.amdhsa_named_barrier_count 0
		.amdhsa_reserve_vcc 1
		.amdhsa_float_round_mode_32 0
		.amdhsa_float_round_mode_16_64 0
		.amdhsa_float_denorm_mode_32 3
		.amdhsa_float_denorm_mode_16_64 3
		.amdhsa_fp16_overflow 0
		.amdhsa_memory_ordered 1
		.amdhsa_forward_progress 1
		.amdhsa_inst_pref_size 12
		.amdhsa_round_robin_scheduling 0
		.amdhsa_exception_fp_ieee_invalid_op 0
		.amdhsa_exception_fp_denorm_src 0
		.amdhsa_exception_fp_ieee_div_zero 0
		.amdhsa_exception_fp_ieee_overflow 0
		.amdhsa_exception_fp_ieee_underflow 0
		.amdhsa_exception_fp_ieee_inexact 0
		.amdhsa_exception_int_div_zero 0
	.end_amdhsa_kernel
	.section	.text._ZN12_GLOBAL__N_127rocblas_gemm_batched_kernelIfLi16ELi16ELi32ELi32ELi8ELi32ELi8ELi8ELi32ELc78ELc84EKDF16_S1_DF16_EEvlllT_PT11_llS4_llS2_PT12_llPT13_lli,"axG",@progbits,_ZN12_GLOBAL__N_127rocblas_gemm_batched_kernelIfLi16ELi16ELi32ELi32ELi8ELi32ELi8ELi8ELi32ELc78ELc84EKDF16_S1_DF16_EEvlllT_PT11_llS4_llS2_PT12_llPT13_lli,comdat
.Lfunc_end374:
	.size	_ZN12_GLOBAL__N_127rocblas_gemm_batched_kernelIfLi16ELi16ELi32ELi32ELi8ELi32ELi8ELi8ELi32ELc78ELc84EKDF16_S1_DF16_EEvlllT_PT11_llS4_llS2_PT12_llPT13_lli, .Lfunc_end374-_ZN12_GLOBAL__N_127rocblas_gemm_batched_kernelIfLi16ELi16ELi32ELi32ELi8ELi32ELi8ELi8ELi32ELc78ELc84EKDF16_S1_DF16_EEvlllT_PT11_llS4_llS2_PT12_llPT13_lli
                                        ; -- End function
	.set _ZN12_GLOBAL__N_127rocblas_gemm_batched_kernelIfLi16ELi16ELi32ELi32ELi8ELi32ELi8ELi8ELi32ELc78ELc84EKDF16_S1_DF16_EEvlllT_PT11_llS4_llS2_PT12_llPT13_lli.num_vgpr, 56
	.set _ZN12_GLOBAL__N_127rocblas_gemm_batched_kernelIfLi16ELi16ELi32ELi32ELi8ELi32ELi8ELi8ELi32ELc78ELc84EKDF16_S1_DF16_EEvlllT_PT11_llS4_llS2_PT12_llPT13_lli.num_agpr, 0
	.set _ZN12_GLOBAL__N_127rocblas_gemm_batched_kernelIfLi16ELi16ELi32ELi32ELi8ELi32ELi8ELi8ELi32ELc78ELc84EKDF16_S1_DF16_EEvlllT_PT11_llS4_llS2_PT12_llPT13_lli.numbered_sgpr, 38
	.set _ZN12_GLOBAL__N_127rocblas_gemm_batched_kernelIfLi16ELi16ELi32ELi32ELi8ELi32ELi8ELi8ELi32ELc78ELc84EKDF16_S1_DF16_EEvlllT_PT11_llS4_llS2_PT12_llPT13_lli.num_named_barrier, 0
	.set _ZN12_GLOBAL__N_127rocblas_gemm_batched_kernelIfLi16ELi16ELi32ELi32ELi8ELi32ELi8ELi8ELi32ELc78ELc84EKDF16_S1_DF16_EEvlllT_PT11_llS4_llS2_PT12_llPT13_lli.private_seg_size, 0
	.set _ZN12_GLOBAL__N_127rocblas_gemm_batched_kernelIfLi16ELi16ELi32ELi32ELi8ELi32ELi8ELi8ELi32ELc78ELc84EKDF16_S1_DF16_EEvlllT_PT11_llS4_llS2_PT12_llPT13_lli.uses_vcc, 1
	.set _ZN12_GLOBAL__N_127rocblas_gemm_batched_kernelIfLi16ELi16ELi32ELi32ELi8ELi32ELi8ELi8ELi32ELc78ELc84EKDF16_S1_DF16_EEvlllT_PT11_llS4_llS2_PT12_llPT13_lli.uses_flat_scratch, 0
	.set _ZN12_GLOBAL__N_127rocblas_gemm_batched_kernelIfLi16ELi16ELi32ELi32ELi8ELi32ELi8ELi8ELi32ELc78ELc84EKDF16_S1_DF16_EEvlllT_PT11_llS4_llS2_PT12_llPT13_lli.has_dyn_sized_stack, 0
	.set _ZN12_GLOBAL__N_127rocblas_gemm_batched_kernelIfLi16ELi16ELi32ELi32ELi8ELi32ELi8ELi8ELi32ELc78ELc84EKDF16_S1_DF16_EEvlllT_PT11_llS4_llS2_PT12_llPT13_lli.has_recursion, 0
	.set _ZN12_GLOBAL__N_127rocblas_gemm_batched_kernelIfLi16ELi16ELi32ELi32ELi8ELi32ELi8ELi8ELi32ELc78ELc84EKDF16_S1_DF16_EEvlllT_PT11_llS4_llS2_PT12_llPT13_lli.has_indirect_call, 0
	.section	.AMDGPU.csdata,"",@progbits
; Kernel info:
; codeLenInByte = 1428
; TotalNumSgprs: 40
; NumVgprs: 56
; ScratchSize: 0
; MemoryBound: 0
; FloatMode: 240
; IeeeMode: 1
; LDSByteSize: 2048 bytes/workgroup (compile time only)
; SGPRBlocks: 0
; VGPRBlocks: 3
; NumSGPRsForWavesPerEU: 40
; NumVGPRsForWavesPerEU: 56
; NamedBarCnt: 0
; Occupancy: 16
; WaveLimiterHint : 0
; COMPUTE_PGM_RSRC2:SCRATCH_EN: 0
; COMPUTE_PGM_RSRC2:USER_SGPR: 2
; COMPUTE_PGM_RSRC2:TRAP_HANDLER: 0
; COMPUTE_PGM_RSRC2:TGID_X_EN: 1
; COMPUTE_PGM_RSRC2:TGID_Y_EN: 1
; COMPUTE_PGM_RSRC2:TGID_Z_EN: 1
; COMPUTE_PGM_RSRC2:TIDIG_COMP_CNT: 1
	.section	.text._ZN12_GLOBAL__N_127rocblas_gemm_batched_kernelIfLi16ELi16ELi32ELi32ELi8ELi32ELi8ELi8ELi32ELc84ELc84EKDF16_S1_DF16_EEvlllT_PT11_llS4_llS2_PT12_llPT13_lli,"axG",@progbits,_ZN12_GLOBAL__N_127rocblas_gemm_batched_kernelIfLi16ELi16ELi32ELi32ELi8ELi32ELi8ELi8ELi32ELc84ELc84EKDF16_S1_DF16_EEvlllT_PT11_llS4_llS2_PT12_llPT13_lli,comdat
	.globl	_ZN12_GLOBAL__N_127rocblas_gemm_batched_kernelIfLi16ELi16ELi32ELi32ELi8ELi32ELi8ELi8ELi32ELc84ELc84EKDF16_S1_DF16_EEvlllT_PT11_llS4_llS2_PT12_llPT13_lli ; -- Begin function _ZN12_GLOBAL__N_127rocblas_gemm_batched_kernelIfLi16ELi16ELi32ELi32ELi8ELi32ELi8ELi8ELi32ELc84ELc84EKDF16_S1_DF16_EEvlllT_PT11_llS4_llS2_PT12_llPT13_lli
	.p2align	8
	.type	_ZN12_GLOBAL__N_127rocblas_gemm_batched_kernelIfLi16ELi16ELi32ELi32ELi8ELi32ELi8ELi8ELi32ELc84ELc84EKDF16_S1_DF16_EEvlllT_PT11_llS4_llS2_PT12_llPT13_lli,@function
_ZN12_GLOBAL__N_127rocblas_gemm_batched_kernelIfLi16ELi16ELi32ELi32ELi8ELi32ELi8ELi8ELi32ELc84ELc84EKDF16_S1_DF16_EEvlllT_PT11_llS4_llS2_PT12_llPT13_lli: ; @_ZN12_GLOBAL__N_127rocblas_gemm_batched_kernelIfLi16ELi16ELi32ELi32ELi8ELi32ELi8ELi8ELi32ELc84ELc84EKDF16_S1_DF16_EEvlllT_PT11_llS4_llS2_PT12_llPT13_lli
; %bb.0:
	s_load_b32 s31, s[0:1], 0x88
	s_bfe_u32 s2, ttmp6, 0x40014
	s_lshr_b32 s3, ttmp7, 16
	s_add_co_i32 s2, s2, 1
	s_bfe_u32 s4, ttmp6, 0x40008
	s_mul_i32 s2, s3, s2
	s_getreg_b32 s28, hwreg(HW_REG_IB_STS2, 6, 4)
	s_add_co_i32 s4, s4, s2
	s_cmp_eq_u32 s28, 0
	s_cselect_b32 s2, s3, s4
	s_mov_b32 s3, 0
	s_wait_kmcnt 0x0
	s_cmp_ge_i32 s2, s31
	s_cbranch_scc1 .LBB375_10
; %bb.1:
	v_bfe_u32 v2, v0, 10, 10
	v_and_b32_e32 v4, 0x3ff, v0
	s_bfe_u32 s29, ttmp6, 0x4000c
	s_bfe_u32 s33, ttmp6, 0x40010
	s_add_co_i32 s29, s29, 1
	s_and_b32 s34, ttmp7, 0xffff
	s_add_co_i32 s33, s33, 1
	s_clause 0x3
	s_load_b256 s[12:19], s[0:1], 0x20
	s_load_b128 s[24:27], s[0:1], 0x40
	s_load_b128 s[20:23], s[0:1], 0x78
	s_load_b256 s[4:11], s[0:1], 0x58
	s_and_b32 s30, ttmp6, 15
	s_mul_i32 s29, ttmp9, s29
	s_mul_i32 s33, s34, s33
	s_bfe_u32 s35, ttmp6, 0x40004
	v_lshl_add_u32 v5, v2, 4, v4
	s_add_co_i32 s30, s30, s29
	s_add_co_i32 s35, s35, s33
	s_cmp_eq_u32 s28, 0
	s_delay_alu instid0(VALU_DEP_1)
	v_dual_mov_b32 v3, 0 :: v_dual_bitop2_b32 v16, 31, v5 bitop3:0x40
	s_cselect_b32 s28, ttmp9, s30
	s_cselect_b32 s30, s34, s35
	s_ashr_i32 s29, s28, 31
	s_lshl_b32 s36, s30, 5
	s_lshl_b64 s[34:35], s[28:29], 5
	s_mov_b32 s37, s3
	v_dual_mov_b32 v7, s35 :: v_dual_bitop2_b32 v6, s34, v16 bitop3:0x54
	v_add_nc_u64_e32 v[8:9], s[36:37], v[2:3]
	v_dual_lshrrev_b32 v10, 3, v5 :: v_dual_bitop2_b32 v17, 7, v0 bitop3:0x40
	v_mov_b32_e32 v11, v3
	s_wait_kmcnt 0x0
	v_mul_u64_e32 v[6:7], s[14:15], v[6:7]
	s_clause 0x1
	s_load_b32 s33, s[0:1], 0x50
	s_load_b96 s[28:30], s[0:1], 0x10
	v_mul_u64_e32 v[12:13], s[6:7], v[8:9]
	v_mul_u64_e32 v[0:1], s[20:21], v[8:9]
	v_lshrrev_b32_e32 v8, 5, v5
	v_mad_nc_u64_u32 v[14:15], s24, v17, v[10:11]
	v_dual_lshlrev_b32 v11, 2, v17 :: v_dual_lshlrev_b32 v9, 2, v16
	v_dual_mov_b32 v5, v3 :: v_dual_lshlrev_b32 v20, 2, v4
	v_lshl_add_u32 v21, v2, 5, 0x400
	s_delay_alu instid0(VALU_DEP_3)
	v_lshl_or_b32 v10, v10, 5, v11
	v_lshlrev_b32_e32 v2, 1, v8
	v_lshl_or_b32 v18, v8, 7, v9
	v_add_nc_u64_e32 v[8:9], s[34:35], v[4:5]
	v_mad_u32 v15, s25, v17, v15
	v_add_nc_u32_e32 v19, 0x400, v10
	s_wait_kmcnt 0x0
	s_cmp_eq_f32 s33, 0
	v_cmp_gt_i64_e64 s0, s[28:29], 0
	s_cselect_b32 s1, -1, 0
	s_lshl_b64 s[14:15], s[20:21], 4
	s_lshl_b64 s[6:7], s[6:7], 4
	v_add_nc_u64_e32 v[10:11], s[36:37], v[14:15]
	v_cndmask_b32_e64 v14, 0, 1, s0
	s_lshl_b64 s[16:17], s[16:17], 1
	v_lshl_add_u64 v[4:5], v[6:7], 1, v[2:3]
	v_lshlrev_b64_e32 v[6:7], 1, v[8:9]
	s_delay_alu instid0(VALU_DEP_3)
	v_cmp_ne_u32_e64 s0, 1, v14
	v_lshl_add_u64 v[2:3], v[12:13], 1, s[4:5]
	v_lshl_add_u64 v[8:9], v[10:11], 1, s[18:19]
	v_add_nc_u64_e32 v[4:5], s[12:13], v[4:5]
	s_lshl_b64 s[4:5], s[26:27], 1
	s_lshl_b64 s[12:13], s[24:25], 4
	s_branch .LBB375_3
.LBB375_2:                              ;   in Loop: Header=BB375_3 Depth=1
	s_add_co_i32 s2, s2, 0x10000
	s_delay_alu instid0(SALU_CYCLE_1)
	s_cmp_lt_i32 s2, s31
	s_cbranch_scc0 .LBB375_10
.LBB375_3:                              ; =>This Loop Header: Depth=1
                                        ;     Child Loop BB375_5 Depth 2
	s_wait_xcnt 0x0
	v_dual_mov_b32 v13, 0 :: v_dual_mov_b32 v12, 0
	v_dual_mov_b32 v11, 0 :: v_dual_mov_b32 v10, 0
	s_and_b32 vcc_lo, exec_lo, s0
	s_cbranch_vccnz .LBB375_6
; %bb.4:                                ;   in Loop: Header=BB375_3 Depth=1
	v_mad_nc_u64_u32 v[14:15], s4, s2, v[8:9]
	v_mad_nc_u64_u32 v[16:17], s16, s2, v[4:5]
	v_mov_b32_e32 v10, 0
	s_mov_b64 s[18:19], 0
	s_delay_alu instid0(VALU_DEP_1)
	v_dual_mov_b32 v11, v10 :: v_dual_mov_b32 v12, v10
	v_mov_b32_e32 v13, v10
	v_mad_u32 v15, s5, s2, v15
	v_mad_u32 v17, s17, s2, v17
.LBB375_5:                              ;   Parent Loop BB375_3 Depth=1
                                        ; =>  This Inner Loop Header: Depth=2
	global_load_u16 v22, v[16:17], off
	global_load_u16 v23, v[14:15], off
	s_add_nc_u64 s[18:19], s[18:19], 8
	s_wait_xcnt 0x0
	v_add_nc_u64_e32 v[14:15], s[12:13], v[14:15]
	v_cmp_lt_i64_e64 s20, s[18:19], s[28:29]
	v_add_nc_u64_e32 v[16:17], 16, v[16:17]
	s_and_b32 vcc_lo, exec_lo, s20
	s_wait_loadcnt 0x1
	v_cvt_f32_f16_e32 v22, v22
	s_wait_loadcnt 0x0
	v_cvt_f32_f16_e32 v23, v23
	ds_store_b32 v18, v22
	ds_store_b32 v19, v23
	s_wait_dscnt 0x0
	s_barrier_signal -1
	s_barrier_wait -1
	ds_load_2addr_b32 v[38:39], v20 offset1:16
	ds_load_2addr_b32 v[40:41], v20 offset0:32 offset1:48
	ds_load_b128 v[22:25], v21
	ds_load_2addr_b32 v[42:43], v20 offset0:64 offset1:80
	ds_load_b128 v[26:29], v21 offset:512
	ds_load_2addr_b32 v[44:45], v20 offset0:96 offset1:112
	ds_load_b128 v[30:33], v21 offset:16
	;; [unrolled: 2-line block ×3, first 2 shown]
	ds_load_2addr_b32 v[48:49], v20 offset0:160 offset1:176
	ds_load_2addr_b32 v[50:51], v20 offset0:192 offset1:208
	;; [unrolled: 1-line block ×3, first 2 shown]
	s_wait_dscnt 0x0
	s_barrier_signal -1
	s_barrier_wait -1
	v_dual_mov_b32 v54, v39 :: v_dual_mov_b32 v55, v38
	v_dual_mov_b32 v38, v41 :: v_dual_mov_b32 v39, v40
	v_dual_mov_b32 v40, v43 :: v_dual_mov_b32 v41, v42
	s_delay_alu instid0(VALU_DEP_3) | instskip(SKIP_3) | instid1(VALU_DEP_4)
	v_pk_fma_f32 v[12:13], v[54:55], v[22:23], v[12:13] op_sel_hi:[1,0,1]
	v_pk_fma_f32 v[10:11], v[54:55], v[26:27], v[10:11] op_sel_hi:[1,0,1]
	v_dual_mov_b32 v42, v45 :: v_dual_mov_b32 v43, v44
	v_mov_b32_e32 v44, v25
	v_pk_fma_f32 v[12:13], v[38:39], v[22:23], v[12:13] op_sel:[0,1,0]
	s_delay_alu instid0(VALU_DEP_4) | instskip(SKIP_2) | instid1(VALU_DEP_4)
	v_pk_fma_f32 v[10:11], v[38:39], v[26:27], v[10:11] op_sel:[0,1,0]
	v_dual_mov_b32 v22, v29 :: v_dual_mov_b32 v26, v53
	v_mov_b32_e32 v27, v52
	v_pk_fma_f32 v[12:13], v[40:41], v[24:25], v[12:13] op_sel_hi:[1,0,1]
	s_delay_alu instid0(VALU_DEP_4) | instskip(SKIP_2) | instid1(VALU_DEP_4)
	v_pk_fma_f32 v[10:11], v[40:41], v[28:29], v[10:11] op_sel_hi:[1,0,1]
	v_dual_mov_b32 v24, v47 :: v_dual_mov_b32 v25, v46
	v_mov_b32_e32 v28, v37
	v_pk_fma_f32 v[12:13], v[42:43], v[44:45], v[12:13] op_sel_hi:[1,0,1]
	s_delay_alu instid0(VALU_DEP_4) | instskip(SKIP_1) | instid1(VALU_DEP_3)
	v_pk_fma_f32 v[10:11], v[42:43], v[22:23], v[10:11] op_sel_hi:[1,0,1]
	v_dual_mov_b32 v22, v49 :: v_dual_mov_b32 v23, v48
	v_pk_fma_f32 v[12:13], v[24:25], v[30:31], v[12:13] op_sel_hi:[1,0,1]
	s_delay_alu instid0(VALU_DEP_3) | instskip(SKIP_1) | instid1(VALU_DEP_3)
	v_pk_fma_f32 v[10:11], v[24:25], v[34:35], v[10:11] op_sel_hi:[1,0,1]
	v_dual_mov_b32 v24, v51 :: v_dual_mov_b32 v25, v50
	v_pk_fma_f32 v[12:13], v[22:23], v[30:31], v[12:13] op_sel:[0,1,0]
	s_delay_alu instid0(VALU_DEP_3) | instskip(SKIP_1) | instid1(VALU_DEP_3)
	v_pk_fma_f32 v[10:11], v[22:23], v[34:35], v[10:11] op_sel:[0,1,0]
	v_mov_b32_e32 v22, v33
	v_pk_fma_f32 v[12:13], v[24:25], v[32:33], v[12:13] op_sel_hi:[1,0,1]
	s_delay_alu instid0(VALU_DEP_3) | instskip(NEXT) | instid1(VALU_DEP_2)
	v_pk_fma_f32 v[10:11], v[24:25], v[36:37], v[10:11] op_sel_hi:[1,0,1]
	v_pk_fma_f32 v[12:13], v[26:27], v[22:23], v[12:13] op_sel_hi:[1,0,1]
	s_delay_alu instid0(VALU_DEP_2)
	v_pk_fma_f32 v[10:11], v[26:27], v[28:29], v[10:11] op_sel_hi:[1,0,1]
	s_cbranch_vccnz .LBB375_5
.LBB375_6:                              ;   in Loop: Header=BB375_3 Depth=1
	s_mul_u64 s[18:19], s[22:23], s[2:3]
	s_and_not1_b32 vcc_lo, exec_lo, s1
	s_lshl_b64 s[18:19], s[18:19], 1
	s_delay_alu instid0(SALU_CYCLE_1) | instskip(NEXT) | instid1(SALU_CYCLE_1)
	s_add_nc_u64 s[18:19], s[10:11], s[18:19]
	v_lshl_add_u64 v[14:15], v[0:1], 1, s[18:19]
	s_delay_alu instid0(VALU_DEP_1)
	v_add_nc_u64_e32 v[16:17], v[14:15], v[6:7]
	v_lshl_add_u64 v[14:15], s[14:15], 1, v[14:15]
	s_cbranch_vccnz .LBB375_8
; %bb.7:                                ;   in Loop: Header=BB375_3 Depth=1
	s_delay_alu instid0(VALU_DEP_1)
	v_add_nc_u64_e32 v[22:23], v[14:15], v[6:7]
	v_fma_mixlo_f16 v24, s30, v13, 0
	v_fma_mixlo_f16 v26, s30, v11, 0
	;; [unrolled: 1-line block ×4, first 2 shown]
	s_clause 0x3
	global_store_b16 v[16:17], v24, off
	global_store_b16 v[16:17], v25, off offset:32
	global_store_b16 v[22:23], v26, off
	global_store_b16 v[22:23], v27, off offset:32
	s_cbranch_execnz .LBB375_2
	s_branch .LBB375_9
.LBB375_8:                              ;   in Loop: Header=BB375_3 Depth=1
.LBB375_9:                              ;   in Loop: Header=BB375_3 Depth=1
	s_mul_u64 s[18:19], s[8:9], s[2:3]
	s_wait_xcnt 0x0
	v_lshl_add_u64 v[22:23], s[18:19], 1, v[2:3]
	s_delay_alu instid0(VALU_DEP_1) | instskip(SKIP_1) | instid1(VALU_DEP_1)
	v_add_nc_u64_e32 v[24:25], v[22:23], v[6:7]
	v_lshl_add_u64 v[22:23], s[6:7], 1, v[22:23]
	v_add_nc_u64_e32 v[22:23], v[22:23], v[6:7]
	global_load_u16 v26, v[24:25], off
	s_wait_loadcnt 0x0
	v_cvt_f32_f16_e32 v26, v26
	s_delay_alu instid0(VALU_DEP_1) | instskip(NEXT) | instid1(VALU_DEP_1)
	v_mul_f32_e32 v26, s33, v26
	v_fma_mixlo_f16 v13, s30, v13, v26
	global_store_b16 v[16:17], v13, off
	global_load_u16 v13, v[24:25], off offset:32
	s_wait_loadcnt 0x0
	v_cvt_f32_f16_e32 v13, v13
	s_delay_alu instid0(VALU_DEP_1) | instskip(NEXT) | instid1(VALU_DEP_1)
	v_mul_f32_e32 v13, s33, v13
	v_fma_mixlo_f16 v12, s30, v12, v13
	global_store_b16 v[16:17], v12, off offset:32
	global_load_u16 v12, v[22:23], off
	s_wait_loadcnt 0x0
	v_cvt_f32_f16_e32 v12, v12
	s_delay_alu instid0(VALU_DEP_1) | instskip(SKIP_1) | instid1(VALU_DEP_2)
	v_mul_f32_e32 v16, s33, v12
	v_add_nc_u64_e32 v[12:13], v[14:15], v[6:7]
	v_fma_mixlo_f16 v11, s30, v11, v16
	global_store_b16 v[12:13], v11, off
	global_load_u16 v11, v[22:23], off offset:32
	s_wait_loadcnt 0x0
	v_cvt_f32_f16_e32 v11, v11
	s_delay_alu instid0(VALU_DEP_1) | instskip(NEXT) | instid1(VALU_DEP_1)
	v_mul_f32_e32 v11, s33, v11
	v_fma_mixlo_f16 v10, s30, v10, v11
	global_store_b16 v[12:13], v10, off offset:32
	s_branch .LBB375_2
.LBB375_10:
	s_endpgm
	.section	.rodata,"a",@progbits
	.p2align	6, 0x0
	.amdhsa_kernel _ZN12_GLOBAL__N_127rocblas_gemm_batched_kernelIfLi16ELi16ELi32ELi32ELi8ELi32ELi8ELi8ELi32ELc84ELc84EKDF16_S1_DF16_EEvlllT_PT11_llS4_llS2_PT12_llPT13_lli
		.amdhsa_group_segment_fixed_size 2048
		.amdhsa_private_segment_fixed_size 0
		.amdhsa_kernarg_size 140
		.amdhsa_user_sgpr_count 2
		.amdhsa_user_sgpr_dispatch_ptr 0
		.amdhsa_user_sgpr_queue_ptr 0
		.amdhsa_user_sgpr_kernarg_segment_ptr 1
		.amdhsa_user_sgpr_dispatch_id 0
		.amdhsa_user_sgpr_kernarg_preload_length 0
		.amdhsa_user_sgpr_kernarg_preload_offset 0
		.amdhsa_user_sgpr_private_segment_size 0
		.amdhsa_wavefront_size32 1
		.amdhsa_uses_dynamic_stack 0
		.amdhsa_enable_private_segment 0
		.amdhsa_system_sgpr_workgroup_id_x 1
		.amdhsa_system_sgpr_workgroup_id_y 1
		.amdhsa_system_sgpr_workgroup_id_z 1
		.amdhsa_system_sgpr_workgroup_info 0
		.amdhsa_system_vgpr_workitem_id 1
		.amdhsa_next_free_vgpr 56
		.amdhsa_next_free_sgpr 38
		.amdhsa_named_barrier_count 0
		.amdhsa_reserve_vcc 1
		.amdhsa_float_round_mode_32 0
		.amdhsa_float_round_mode_16_64 0
		.amdhsa_float_denorm_mode_32 3
		.amdhsa_float_denorm_mode_16_64 3
		.amdhsa_fp16_overflow 0
		.amdhsa_memory_ordered 1
		.amdhsa_forward_progress 1
		.amdhsa_inst_pref_size 12
		.amdhsa_round_robin_scheduling 0
		.amdhsa_exception_fp_ieee_invalid_op 0
		.amdhsa_exception_fp_denorm_src 0
		.amdhsa_exception_fp_ieee_div_zero 0
		.amdhsa_exception_fp_ieee_overflow 0
		.amdhsa_exception_fp_ieee_underflow 0
		.amdhsa_exception_fp_ieee_inexact 0
		.amdhsa_exception_int_div_zero 0
	.end_amdhsa_kernel
	.section	.text._ZN12_GLOBAL__N_127rocblas_gemm_batched_kernelIfLi16ELi16ELi32ELi32ELi8ELi32ELi8ELi8ELi32ELc84ELc84EKDF16_S1_DF16_EEvlllT_PT11_llS4_llS2_PT12_llPT13_lli,"axG",@progbits,_ZN12_GLOBAL__N_127rocblas_gemm_batched_kernelIfLi16ELi16ELi32ELi32ELi8ELi32ELi8ELi8ELi32ELc84ELc84EKDF16_S1_DF16_EEvlllT_PT11_llS4_llS2_PT12_llPT13_lli,comdat
.Lfunc_end375:
	.size	_ZN12_GLOBAL__N_127rocblas_gemm_batched_kernelIfLi16ELi16ELi32ELi32ELi8ELi32ELi8ELi8ELi32ELc84ELc84EKDF16_S1_DF16_EEvlllT_PT11_llS4_llS2_PT12_llPT13_lli, .Lfunc_end375-_ZN12_GLOBAL__N_127rocblas_gemm_batched_kernelIfLi16ELi16ELi32ELi32ELi8ELi32ELi8ELi8ELi32ELc84ELc84EKDF16_S1_DF16_EEvlllT_PT11_llS4_llS2_PT12_llPT13_lli
                                        ; -- End function
	.set _ZN12_GLOBAL__N_127rocblas_gemm_batched_kernelIfLi16ELi16ELi32ELi32ELi8ELi32ELi8ELi8ELi32ELc84ELc84EKDF16_S1_DF16_EEvlllT_PT11_llS4_llS2_PT12_llPT13_lli.num_vgpr, 56
	.set _ZN12_GLOBAL__N_127rocblas_gemm_batched_kernelIfLi16ELi16ELi32ELi32ELi8ELi32ELi8ELi8ELi32ELc84ELc84EKDF16_S1_DF16_EEvlllT_PT11_llS4_llS2_PT12_llPT13_lli.num_agpr, 0
	.set _ZN12_GLOBAL__N_127rocblas_gemm_batched_kernelIfLi16ELi16ELi32ELi32ELi8ELi32ELi8ELi8ELi32ELc84ELc84EKDF16_S1_DF16_EEvlllT_PT11_llS4_llS2_PT12_llPT13_lli.numbered_sgpr, 38
	.set _ZN12_GLOBAL__N_127rocblas_gemm_batched_kernelIfLi16ELi16ELi32ELi32ELi8ELi32ELi8ELi8ELi32ELc84ELc84EKDF16_S1_DF16_EEvlllT_PT11_llS4_llS2_PT12_llPT13_lli.num_named_barrier, 0
	.set _ZN12_GLOBAL__N_127rocblas_gemm_batched_kernelIfLi16ELi16ELi32ELi32ELi8ELi32ELi8ELi8ELi32ELc84ELc84EKDF16_S1_DF16_EEvlllT_PT11_llS4_llS2_PT12_llPT13_lli.private_seg_size, 0
	.set _ZN12_GLOBAL__N_127rocblas_gemm_batched_kernelIfLi16ELi16ELi32ELi32ELi8ELi32ELi8ELi8ELi32ELc84ELc84EKDF16_S1_DF16_EEvlllT_PT11_llS4_llS2_PT12_llPT13_lli.uses_vcc, 1
	.set _ZN12_GLOBAL__N_127rocblas_gemm_batched_kernelIfLi16ELi16ELi32ELi32ELi8ELi32ELi8ELi8ELi32ELc84ELc84EKDF16_S1_DF16_EEvlllT_PT11_llS4_llS2_PT12_llPT13_lli.uses_flat_scratch, 0
	.set _ZN12_GLOBAL__N_127rocblas_gemm_batched_kernelIfLi16ELi16ELi32ELi32ELi8ELi32ELi8ELi8ELi32ELc84ELc84EKDF16_S1_DF16_EEvlllT_PT11_llS4_llS2_PT12_llPT13_lli.has_dyn_sized_stack, 0
	.set _ZN12_GLOBAL__N_127rocblas_gemm_batched_kernelIfLi16ELi16ELi32ELi32ELi8ELi32ELi8ELi8ELi32ELc84ELc84EKDF16_S1_DF16_EEvlllT_PT11_llS4_llS2_PT12_llPT13_lli.has_recursion, 0
	.set _ZN12_GLOBAL__N_127rocblas_gemm_batched_kernelIfLi16ELi16ELi32ELi32ELi8ELi32ELi8ELi8ELi32ELc84ELc84EKDF16_S1_DF16_EEvlllT_PT11_llS4_llS2_PT12_llPT13_lli.has_indirect_call, 0
	.section	.AMDGPU.csdata,"",@progbits
; Kernel info:
; codeLenInByte = 1432
; TotalNumSgprs: 40
; NumVgprs: 56
; ScratchSize: 0
; MemoryBound: 0
; FloatMode: 240
; IeeeMode: 1
; LDSByteSize: 2048 bytes/workgroup (compile time only)
; SGPRBlocks: 0
; VGPRBlocks: 3
; NumSGPRsForWavesPerEU: 40
; NumVGPRsForWavesPerEU: 56
; NamedBarCnt: 0
; Occupancy: 16
; WaveLimiterHint : 0
; COMPUTE_PGM_RSRC2:SCRATCH_EN: 0
; COMPUTE_PGM_RSRC2:USER_SGPR: 2
; COMPUTE_PGM_RSRC2:TRAP_HANDLER: 0
; COMPUTE_PGM_RSRC2:TGID_X_EN: 1
; COMPUTE_PGM_RSRC2:TGID_Y_EN: 1
; COMPUTE_PGM_RSRC2:TGID_Z_EN: 1
; COMPUTE_PGM_RSRC2:TIDIG_COMP_CNT: 1
	.section	.text._ZN12_GLOBAL__N_127rocblas_gemm_batched_kernelIfLi16ELi16ELi32ELi32ELi8ELi32ELi8ELi8ELi32ELc67ELc67EKDF16_S1_DF16_EEvlllT_PT11_llS4_llS2_PT12_llPT13_lli,"axG",@progbits,_ZN12_GLOBAL__N_127rocblas_gemm_batched_kernelIfLi16ELi16ELi32ELi32ELi8ELi32ELi8ELi8ELi32ELc67ELc67EKDF16_S1_DF16_EEvlllT_PT11_llS4_llS2_PT12_llPT13_lli,comdat
	.globl	_ZN12_GLOBAL__N_127rocblas_gemm_batched_kernelIfLi16ELi16ELi32ELi32ELi8ELi32ELi8ELi8ELi32ELc67ELc67EKDF16_S1_DF16_EEvlllT_PT11_llS4_llS2_PT12_llPT13_lli ; -- Begin function _ZN12_GLOBAL__N_127rocblas_gemm_batched_kernelIfLi16ELi16ELi32ELi32ELi8ELi32ELi8ELi8ELi32ELc67ELc67EKDF16_S1_DF16_EEvlllT_PT11_llS4_llS2_PT12_llPT13_lli
	.p2align	8
	.type	_ZN12_GLOBAL__N_127rocblas_gemm_batched_kernelIfLi16ELi16ELi32ELi32ELi8ELi32ELi8ELi8ELi32ELc67ELc67EKDF16_S1_DF16_EEvlllT_PT11_llS4_llS2_PT12_llPT13_lli,@function
_ZN12_GLOBAL__N_127rocblas_gemm_batched_kernelIfLi16ELi16ELi32ELi32ELi8ELi32ELi8ELi8ELi32ELc67ELc67EKDF16_S1_DF16_EEvlllT_PT11_llS4_llS2_PT12_llPT13_lli: ; @_ZN12_GLOBAL__N_127rocblas_gemm_batched_kernelIfLi16ELi16ELi32ELi32ELi8ELi32ELi8ELi8ELi32ELc67ELc67EKDF16_S1_DF16_EEvlllT_PT11_llS4_llS2_PT12_llPT13_lli
; %bb.0:
	s_load_b32 s31, s[0:1], 0x88
	s_bfe_u32 s2, ttmp6, 0x40014
	s_lshr_b32 s3, ttmp7, 16
	s_add_co_i32 s2, s2, 1
	s_bfe_u32 s4, ttmp6, 0x40008
	s_mul_i32 s2, s3, s2
	s_getreg_b32 s28, hwreg(HW_REG_IB_STS2, 6, 4)
	s_add_co_i32 s4, s4, s2
	s_cmp_eq_u32 s28, 0
	s_cselect_b32 s2, s3, s4
	s_mov_b32 s3, 0
	s_wait_kmcnt 0x0
	s_cmp_ge_i32 s2, s31
	s_cbranch_scc1 .LBB376_10
; %bb.1:
	v_bfe_u32 v2, v0, 10, 10
	v_and_b32_e32 v4, 0x3ff, v0
	s_bfe_u32 s29, ttmp6, 0x4000c
	s_bfe_u32 s33, ttmp6, 0x40010
	s_add_co_i32 s29, s29, 1
	s_and_b32 s34, ttmp7, 0xffff
	s_add_co_i32 s33, s33, 1
	s_clause 0x3
	s_load_b256 s[12:19], s[0:1], 0x20
	s_load_b128 s[24:27], s[0:1], 0x40
	s_load_b128 s[20:23], s[0:1], 0x78
	s_load_b256 s[4:11], s[0:1], 0x58
	s_and_b32 s30, ttmp6, 15
	s_mul_i32 s29, ttmp9, s29
	s_mul_i32 s33, s34, s33
	s_bfe_u32 s35, ttmp6, 0x40004
	v_lshl_add_u32 v5, v2, 4, v4
	s_add_co_i32 s30, s30, s29
	s_add_co_i32 s35, s35, s33
	s_cmp_eq_u32 s28, 0
	s_delay_alu instid0(VALU_DEP_1)
	v_dual_mov_b32 v3, 0 :: v_dual_bitop2_b32 v16, 31, v5 bitop3:0x40
	s_cselect_b32 s28, ttmp9, s30
	s_cselect_b32 s30, s34, s35
	s_ashr_i32 s29, s28, 31
	s_lshl_b32 s36, s30, 5
	s_lshl_b64 s[34:35], s[28:29], 5
	s_mov_b32 s37, s3
	v_dual_mov_b32 v7, s35 :: v_dual_bitop2_b32 v6, s34, v16 bitop3:0x54
	v_add_nc_u64_e32 v[8:9], s[36:37], v[2:3]
	v_dual_lshrrev_b32 v10, 3, v5 :: v_dual_bitop2_b32 v17, 7, v0 bitop3:0x40
	v_mov_b32_e32 v11, v3
	s_wait_kmcnt 0x0
	v_mul_u64_e32 v[6:7], s[14:15], v[6:7]
	s_clause 0x1
	s_load_b32 s33, s[0:1], 0x50
	s_load_b96 s[28:30], s[0:1], 0x10
	v_mul_u64_e32 v[12:13], s[6:7], v[8:9]
	v_mul_u64_e32 v[0:1], s[20:21], v[8:9]
	v_lshrrev_b32_e32 v8, 5, v5
	v_mad_nc_u64_u32 v[14:15], s24, v17, v[10:11]
	v_dual_lshlrev_b32 v11, 2, v17 :: v_dual_lshlrev_b32 v9, 2, v16
	v_dual_mov_b32 v5, v3 :: v_dual_lshlrev_b32 v20, 2, v4
	v_lshl_add_u32 v21, v2, 5, 0x400
	s_delay_alu instid0(VALU_DEP_3)
	v_lshl_or_b32 v10, v10, 5, v11
	v_lshlrev_b32_e32 v2, 1, v8
	v_lshl_or_b32 v18, v8, 7, v9
	v_add_nc_u64_e32 v[8:9], s[34:35], v[4:5]
	v_mad_u32 v15, s25, v17, v15
	v_add_nc_u32_e32 v19, 0x400, v10
	s_wait_kmcnt 0x0
	s_cmp_eq_f32 s33, 0
	v_cmp_gt_i64_e64 s0, s[28:29], 0
	s_cselect_b32 s1, -1, 0
	s_lshl_b64 s[14:15], s[20:21], 4
	s_lshl_b64 s[6:7], s[6:7], 4
	v_add_nc_u64_e32 v[10:11], s[36:37], v[14:15]
	v_cndmask_b32_e64 v14, 0, 1, s0
	s_lshl_b64 s[16:17], s[16:17], 1
	v_lshl_add_u64 v[4:5], v[6:7], 1, v[2:3]
	v_lshlrev_b64_e32 v[6:7], 1, v[8:9]
	s_delay_alu instid0(VALU_DEP_3)
	v_cmp_ne_u32_e64 s0, 1, v14
	v_lshl_add_u64 v[2:3], v[12:13], 1, s[4:5]
	v_lshl_add_u64 v[8:9], v[10:11], 1, s[18:19]
	v_add_nc_u64_e32 v[4:5], s[12:13], v[4:5]
	s_lshl_b64 s[4:5], s[26:27], 1
	s_lshl_b64 s[12:13], s[24:25], 4
	s_branch .LBB376_3
.LBB376_2:                              ;   in Loop: Header=BB376_3 Depth=1
	s_add_co_i32 s2, s2, 0x10000
	s_delay_alu instid0(SALU_CYCLE_1)
	s_cmp_lt_i32 s2, s31
	s_cbranch_scc0 .LBB376_10
.LBB376_3:                              ; =>This Loop Header: Depth=1
                                        ;     Child Loop BB376_5 Depth 2
	s_wait_xcnt 0x0
	v_dual_mov_b32 v13, 0 :: v_dual_mov_b32 v12, 0
	v_dual_mov_b32 v11, 0 :: v_dual_mov_b32 v10, 0
	s_and_b32 vcc_lo, exec_lo, s0
	s_cbranch_vccnz .LBB376_6
; %bb.4:                                ;   in Loop: Header=BB376_3 Depth=1
	v_mad_nc_u64_u32 v[14:15], s4, s2, v[8:9]
	v_mad_nc_u64_u32 v[16:17], s16, s2, v[4:5]
	v_mov_b32_e32 v10, 0
	s_mov_b64 s[18:19], 0
	s_delay_alu instid0(VALU_DEP_1)
	v_dual_mov_b32 v11, v10 :: v_dual_mov_b32 v12, v10
	v_mov_b32_e32 v13, v10
	v_mad_u32 v15, s5, s2, v15
	v_mad_u32 v17, s17, s2, v17
.LBB376_5:                              ;   Parent Loop BB376_3 Depth=1
                                        ; =>  This Inner Loop Header: Depth=2
	global_load_u16 v22, v[16:17], off
	global_load_u16 v23, v[14:15], off
	s_add_nc_u64 s[18:19], s[18:19], 8
	s_wait_xcnt 0x0
	v_add_nc_u64_e32 v[14:15], s[12:13], v[14:15]
	v_cmp_lt_i64_e64 s20, s[18:19], s[28:29]
	v_add_nc_u64_e32 v[16:17], 16, v[16:17]
	s_and_b32 vcc_lo, exec_lo, s20
	s_wait_loadcnt 0x1
	v_cvt_f32_f16_e32 v22, v22
	s_wait_loadcnt 0x0
	v_cvt_f32_f16_e32 v23, v23
	ds_store_b32 v18, v22
	ds_store_b32 v19, v23
	s_wait_dscnt 0x0
	s_barrier_signal -1
	s_barrier_wait -1
	ds_load_2addr_b32 v[38:39], v20 offset1:16
	ds_load_2addr_b32 v[40:41], v20 offset0:32 offset1:48
	ds_load_b128 v[22:25], v21
	ds_load_2addr_b32 v[42:43], v20 offset0:64 offset1:80
	ds_load_b128 v[26:29], v21 offset:512
	ds_load_2addr_b32 v[44:45], v20 offset0:96 offset1:112
	ds_load_b128 v[30:33], v21 offset:16
	;; [unrolled: 2-line block ×3, first 2 shown]
	ds_load_2addr_b32 v[48:49], v20 offset0:160 offset1:176
	ds_load_2addr_b32 v[50:51], v20 offset0:192 offset1:208
	;; [unrolled: 1-line block ×3, first 2 shown]
	s_wait_dscnt 0x0
	s_barrier_signal -1
	s_barrier_wait -1
	v_dual_mov_b32 v54, v39 :: v_dual_mov_b32 v55, v38
	v_dual_mov_b32 v38, v41 :: v_dual_mov_b32 v39, v40
	;; [unrolled: 1-line block ×3, first 2 shown]
	s_delay_alu instid0(VALU_DEP_3) | instskip(SKIP_3) | instid1(VALU_DEP_4)
	v_pk_fma_f32 v[12:13], v[54:55], v[22:23], v[12:13] op_sel_hi:[1,0,1]
	v_pk_fma_f32 v[10:11], v[54:55], v[26:27], v[10:11] op_sel_hi:[1,0,1]
	v_dual_mov_b32 v42, v45 :: v_dual_mov_b32 v43, v44
	v_mov_b32_e32 v44, v25
	v_pk_fma_f32 v[12:13], v[38:39], v[22:23], v[12:13] op_sel:[0,1,0]
	s_delay_alu instid0(VALU_DEP_4) | instskip(SKIP_2) | instid1(VALU_DEP_4)
	v_pk_fma_f32 v[10:11], v[38:39], v[26:27], v[10:11] op_sel:[0,1,0]
	v_dual_mov_b32 v22, v29 :: v_dual_mov_b32 v26, v53
	v_mov_b32_e32 v27, v52
	v_pk_fma_f32 v[12:13], v[40:41], v[24:25], v[12:13] op_sel_hi:[1,0,1]
	s_delay_alu instid0(VALU_DEP_4) | instskip(SKIP_2) | instid1(VALU_DEP_4)
	v_pk_fma_f32 v[10:11], v[40:41], v[28:29], v[10:11] op_sel_hi:[1,0,1]
	v_dual_mov_b32 v24, v47 :: v_dual_mov_b32 v25, v46
	v_mov_b32_e32 v28, v37
	v_pk_fma_f32 v[12:13], v[42:43], v[44:45], v[12:13] op_sel_hi:[1,0,1]
	s_delay_alu instid0(VALU_DEP_4) | instskip(SKIP_1) | instid1(VALU_DEP_3)
	v_pk_fma_f32 v[10:11], v[42:43], v[22:23], v[10:11] op_sel_hi:[1,0,1]
	v_dual_mov_b32 v22, v49 :: v_dual_mov_b32 v23, v48
	v_pk_fma_f32 v[12:13], v[24:25], v[30:31], v[12:13] op_sel_hi:[1,0,1]
	s_delay_alu instid0(VALU_DEP_3) | instskip(SKIP_1) | instid1(VALU_DEP_3)
	v_pk_fma_f32 v[10:11], v[24:25], v[34:35], v[10:11] op_sel_hi:[1,0,1]
	v_dual_mov_b32 v24, v51 :: v_dual_mov_b32 v25, v50
	v_pk_fma_f32 v[12:13], v[22:23], v[30:31], v[12:13] op_sel:[0,1,0]
	s_delay_alu instid0(VALU_DEP_3) | instskip(SKIP_1) | instid1(VALU_DEP_3)
	v_pk_fma_f32 v[10:11], v[22:23], v[34:35], v[10:11] op_sel:[0,1,0]
	v_mov_b32_e32 v22, v33
	v_pk_fma_f32 v[12:13], v[24:25], v[32:33], v[12:13] op_sel_hi:[1,0,1]
	s_delay_alu instid0(VALU_DEP_3) | instskip(NEXT) | instid1(VALU_DEP_2)
	v_pk_fma_f32 v[10:11], v[24:25], v[36:37], v[10:11] op_sel_hi:[1,0,1]
	v_pk_fma_f32 v[12:13], v[26:27], v[22:23], v[12:13] op_sel_hi:[1,0,1]
	s_delay_alu instid0(VALU_DEP_2)
	v_pk_fma_f32 v[10:11], v[26:27], v[28:29], v[10:11] op_sel_hi:[1,0,1]
	s_cbranch_vccnz .LBB376_5
.LBB376_6:                              ;   in Loop: Header=BB376_3 Depth=1
	s_mul_u64 s[18:19], s[22:23], s[2:3]
	s_and_not1_b32 vcc_lo, exec_lo, s1
	s_lshl_b64 s[18:19], s[18:19], 1
	s_delay_alu instid0(SALU_CYCLE_1) | instskip(NEXT) | instid1(SALU_CYCLE_1)
	s_add_nc_u64 s[18:19], s[10:11], s[18:19]
	v_lshl_add_u64 v[14:15], v[0:1], 1, s[18:19]
	s_delay_alu instid0(VALU_DEP_1)
	v_add_nc_u64_e32 v[16:17], v[14:15], v[6:7]
	v_lshl_add_u64 v[14:15], s[14:15], 1, v[14:15]
	s_cbranch_vccnz .LBB376_8
; %bb.7:                                ;   in Loop: Header=BB376_3 Depth=1
	s_delay_alu instid0(VALU_DEP_1)
	v_add_nc_u64_e32 v[22:23], v[14:15], v[6:7]
	v_fma_mixlo_f16 v24, s30, v13, 0
	v_fma_mixlo_f16 v26, s30, v11, 0
	;; [unrolled: 1-line block ×4, first 2 shown]
	s_clause 0x3
	global_store_b16 v[16:17], v24, off
	global_store_b16 v[16:17], v25, off offset:32
	global_store_b16 v[22:23], v26, off
	global_store_b16 v[22:23], v27, off offset:32
	s_cbranch_execnz .LBB376_2
	s_branch .LBB376_9
.LBB376_8:                              ;   in Loop: Header=BB376_3 Depth=1
.LBB376_9:                              ;   in Loop: Header=BB376_3 Depth=1
	s_mul_u64 s[18:19], s[8:9], s[2:3]
	s_wait_xcnt 0x0
	v_lshl_add_u64 v[22:23], s[18:19], 1, v[2:3]
	s_delay_alu instid0(VALU_DEP_1) | instskip(SKIP_1) | instid1(VALU_DEP_1)
	v_add_nc_u64_e32 v[24:25], v[22:23], v[6:7]
	v_lshl_add_u64 v[22:23], s[6:7], 1, v[22:23]
	v_add_nc_u64_e32 v[22:23], v[22:23], v[6:7]
	global_load_u16 v26, v[24:25], off
	s_wait_loadcnt 0x0
	v_cvt_f32_f16_e32 v26, v26
	s_delay_alu instid0(VALU_DEP_1) | instskip(NEXT) | instid1(VALU_DEP_1)
	v_mul_f32_e32 v26, s33, v26
	v_fma_mixlo_f16 v13, s30, v13, v26
	global_store_b16 v[16:17], v13, off
	global_load_u16 v13, v[24:25], off offset:32
	s_wait_loadcnt 0x0
	v_cvt_f32_f16_e32 v13, v13
	s_delay_alu instid0(VALU_DEP_1) | instskip(NEXT) | instid1(VALU_DEP_1)
	v_mul_f32_e32 v13, s33, v13
	v_fma_mixlo_f16 v12, s30, v12, v13
	global_store_b16 v[16:17], v12, off offset:32
	global_load_u16 v12, v[22:23], off
	s_wait_loadcnt 0x0
	v_cvt_f32_f16_e32 v12, v12
	s_delay_alu instid0(VALU_DEP_1) | instskip(SKIP_1) | instid1(VALU_DEP_2)
	v_mul_f32_e32 v16, s33, v12
	v_add_nc_u64_e32 v[12:13], v[14:15], v[6:7]
	v_fma_mixlo_f16 v11, s30, v11, v16
	global_store_b16 v[12:13], v11, off
	global_load_u16 v11, v[22:23], off offset:32
	s_wait_loadcnt 0x0
	v_cvt_f32_f16_e32 v11, v11
	s_delay_alu instid0(VALU_DEP_1) | instskip(NEXT) | instid1(VALU_DEP_1)
	v_mul_f32_e32 v11, s33, v11
	v_fma_mixlo_f16 v10, s30, v10, v11
	global_store_b16 v[12:13], v10, off offset:32
	s_branch .LBB376_2
.LBB376_10:
	s_endpgm
	.section	.rodata,"a",@progbits
	.p2align	6, 0x0
	.amdhsa_kernel _ZN12_GLOBAL__N_127rocblas_gemm_batched_kernelIfLi16ELi16ELi32ELi32ELi8ELi32ELi8ELi8ELi32ELc67ELc67EKDF16_S1_DF16_EEvlllT_PT11_llS4_llS2_PT12_llPT13_lli
		.amdhsa_group_segment_fixed_size 2048
		.amdhsa_private_segment_fixed_size 0
		.amdhsa_kernarg_size 140
		.amdhsa_user_sgpr_count 2
		.amdhsa_user_sgpr_dispatch_ptr 0
		.amdhsa_user_sgpr_queue_ptr 0
		.amdhsa_user_sgpr_kernarg_segment_ptr 1
		.amdhsa_user_sgpr_dispatch_id 0
		.amdhsa_user_sgpr_kernarg_preload_length 0
		.amdhsa_user_sgpr_kernarg_preload_offset 0
		.amdhsa_user_sgpr_private_segment_size 0
		.amdhsa_wavefront_size32 1
		.amdhsa_uses_dynamic_stack 0
		.amdhsa_enable_private_segment 0
		.amdhsa_system_sgpr_workgroup_id_x 1
		.amdhsa_system_sgpr_workgroup_id_y 1
		.amdhsa_system_sgpr_workgroup_id_z 1
		.amdhsa_system_sgpr_workgroup_info 0
		.amdhsa_system_vgpr_workitem_id 1
		.amdhsa_next_free_vgpr 56
		.amdhsa_next_free_sgpr 38
		.amdhsa_named_barrier_count 0
		.amdhsa_reserve_vcc 1
		.amdhsa_float_round_mode_32 0
		.amdhsa_float_round_mode_16_64 0
		.amdhsa_float_denorm_mode_32 3
		.amdhsa_float_denorm_mode_16_64 3
		.amdhsa_fp16_overflow 0
		.amdhsa_memory_ordered 1
		.amdhsa_forward_progress 1
		.amdhsa_inst_pref_size 12
		.amdhsa_round_robin_scheduling 0
		.amdhsa_exception_fp_ieee_invalid_op 0
		.amdhsa_exception_fp_denorm_src 0
		.amdhsa_exception_fp_ieee_div_zero 0
		.amdhsa_exception_fp_ieee_overflow 0
		.amdhsa_exception_fp_ieee_underflow 0
		.amdhsa_exception_fp_ieee_inexact 0
		.amdhsa_exception_int_div_zero 0
	.end_amdhsa_kernel
	.section	.text._ZN12_GLOBAL__N_127rocblas_gemm_batched_kernelIfLi16ELi16ELi32ELi32ELi8ELi32ELi8ELi8ELi32ELc67ELc67EKDF16_S1_DF16_EEvlllT_PT11_llS4_llS2_PT12_llPT13_lli,"axG",@progbits,_ZN12_GLOBAL__N_127rocblas_gemm_batched_kernelIfLi16ELi16ELi32ELi32ELi8ELi32ELi8ELi8ELi32ELc67ELc67EKDF16_S1_DF16_EEvlllT_PT11_llS4_llS2_PT12_llPT13_lli,comdat
.Lfunc_end376:
	.size	_ZN12_GLOBAL__N_127rocblas_gemm_batched_kernelIfLi16ELi16ELi32ELi32ELi8ELi32ELi8ELi8ELi32ELc67ELc67EKDF16_S1_DF16_EEvlllT_PT11_llS4_llS2_PT12_llPT13_lli, .Lfunc_end376-_ZN12_GLOBAL__N_127rocblas_gemm_batched_kernelIfLi16ELi16ELi32ELi32ELi8ELi32ELi8ELi8ELi32ELc67ELc67EKDF16_S1_DF16_EEvlllT_PT11_llS4_llS2_PT12_llPT13_lli
                                        ; -- End function
	.set _ZN12_GLOBAL__N_127rocblas_gemm_batched_kernelIfLi16ELi16ELi32ELi32ELi8ELi32ELi8ELi8ELi32ELc67ELc67EKDF16_S1_DF16_EEvlllT_PT11_llS4_llS2_PT12_llPT13_lli.num_vgpr, 56
	.set _ZN12_GLOBAL__N_127rocblas_gemm_batched_kernelIfLi16ELi16ELi32ELi32ELi8ELi32ELi8ELi8ELi32ELc67ELc67EKDF16_S1_DF16_EEvlllT_PT11_llS4_llS2_PT12_llPT13_lli.num_agpr, 0
	.set _ZN12_GLOBAL__N_127rocblas_gemm_batched_kernelIfLi16ELi16ELi32ELi32ELi8ELi32ELi8ELi8ELi32ELc67ELc67EKDF16_S1_DF16_EEvlllT_PT11_llS4_llS2_PT12_llPT13_lli.numbered_sgpr, 38
	.set _ZN12_GLOBAL__N_127rocblas_gemm_batched_kernelIfLi16ELi16ELi32ELi32ELi8ELi32ELi8ELi8ELi32ELc67ELc67EKDF16_S1_DF16_EEvlllT_PT11_llS4_llS2_PT12_llPT13_lli.num_named_barrier, 0
	.set _ZN12_GLOBAL__N_127rocblas_gemm_batched_kernelIfLi16ELi16ELi32ELi32ELi8ELi32ELi8ELi8ELi32ELc67ELc67EKDF16_S1_DF16_EEvlllT_PT11_llS4_llS2_PT12_llPT13_lli.private_seg_size, 0
	.set _ZN12_GLOBAL__N_127rocblas_gemm_batched_kernelIfLi16ELi16ELi32ELi32ELi8ELi32ELi8ELi8ELi32ELc67ELc67EKDF16_S1_DF16_EEvlllT_PT11_llS4_llS2_PT12_llPT13_lli.uses_vcc, 1
	.set _ZN12_GLOBAL__N_127rocblas_gemm_batched_kernelIfLi16ELi16ELi32ELi32ELi8ELi32ELi8ELi8ELi32ELc67ELc67EKDF16_S1_DF16_EEvlllT_PT11_llS4_llS2_PT12_llPT13_lli.uses_flat_scratch, 0
	.set _ZN12_GLOBAL__N_127rocblas_gemm_batched_kernelIfLi16ELi16ELi32ELi32ELi8ELi32ELi8ELi8ELi32ELc67ELc67EKDF16_S1_DF16_EEvlllT_PT11_llS4_llS2_PT12_llPT13_lli.has_dyn_sized_stack, 0
	.set _ZN12_GLOBAL__N_127rocblas_gemm_batched_kernelIfLi16ELi16ELi32ELi32ELi8ELi32ELi8ELi8ELi32ELc67ELc67EKDF16_S1_DF16_EEvlllT_PT11_llS4_llS2_PT12_llPT13_lli.has_recursion, 0
	.set _ZN12_GLOBAL__N_127rocblas_gemm_batched_kernelIfLi16ELi16ELi32ELi32ELi8ELi32ELi8ELi8ELi32ELc67ELc67EKDF16_S1_DF16_EEvlllT_PT11_llS4_llS2_PT12_llPT13_lli.has_indirect_call, 0
	.section	.AMDGPU.csdata,"",@progbits
; Kernel info:
; codeLenInByte = 1432
; TotalNumSgprs: 40
; NumVgprs: 56
; ScratchSize: 0
; MemoryBound: 0
; FloatMode: 240
; IeeeMode: 1
; LDSByteSize: 2048 bytes/workgroup (compile time only)
; SGPRBlocks: 0
; VGPRBlocks: 3
; NumSGPRsForWavesPerEU: 40
; NumVGPRsForWavesPerEU: 56
; NamedBarCnt: 0
; Occupancy: 16
; WaveLimiterHint : 0
; COMPUTE_PGM_RSRC2:SCRATCH_EN: 0
; COMPUTE_PGM_RSRC2:USER_SGPR: 2
; COMPUTE_PGM_RSRC2:TRAP_HANDLER: 0
; COMPUTE_PGM_RSRC2:TGID_X_EN: 1
; COMPUTE_PGM_RSRC2:TGID_Y_EN: 1
; COMPUTE_PGM_RSRC2:TGID_Z_EN: 1
; COMPUTE_PGM_RSRC2:TIDIG_COMP_CNT: 1
	.section	.text._ZN12_GLOBAL__N_127rocblas_gemm_batched_kernelIfLi16ELi16ELi32ELi32ELi8ELi32ELi8ELi8ELi32ELc67ELc78EKDF16_S1_DF16_EEvlllT_PT11_llS4_llS2_PT12_llPT13_lli,"axG",@progbits,_ZN12_GLOBAL__N_127rocblas_gemm_batched_kernelIfLi16ELi16ELi32ELi32ELi8ELi32ELi8ELi8ELi32ELc67ELc78EKDF16_S1_DF16_EEvlllT_PT11_llS4_llS2_PT12_llPT13_lli,comdat
	.globl	_ZN12_GLOBAL__N_127rocblas_gemm_batched_kernelIfLi16ELi16ELi32ELi32ELi8ELi32ELi8ELi8ELi32ELc67ELc78EKDF16_S1_DF16_EEvlllT_PT11_llS4_llS2_PT12_llPT13_lli ; -- Begin function _ZN12_GLOBAL__N_127rocblas_gemm_batched_kernelIfLi16ELi16ELi32ELi32ELi8ELi32ELi8ELi8ELi32ELc67ELc78EKDF16_S1_DF16_EEvlllT_PT11_llS4_llS2_PT12_llPT13_lli
	.p2align	8
	.type	_ZN12_GLOBAL__N_127rocblas_gemm_batched_kernelIfLi16ELi16ELi32ELi32ELi8ELi32ELi8ELi8ELi32ELc67ELc78EKDF16_S1_DF16_EEvlllT_PT11_llS4_llS2_PT12_llPT13_lli,@function
_ZN12_GLOBAL__N_127rocblas_gemm_batched_kernelIfLi16ELi16ELi32ELi32ELi8ELi32ELi8ELi8ELi32ELc67ELc78EKDF16_S1_DF16_EEvlllT_PT11_llS4_llS2_PT12_llPT13_lli: ; @_ZN12_GLOBAL__N_127rocblas_gemm_batched_kernelIfLi16ELi16ELi32ELi32ELi8ELi32ELi8ELi8ELi32ELc67ELc78EKDF16_S1_DF16_EEvlllT_PT11_llS4_llS2_PT12_llPT13_lli
; %bb.0:
	s_load_b32 s31, s[0:1], 0x88
	s_bfe_u32 s2, ttmp6, 0x40014
	s_lshr_b32 s3, ttmp7, 16
	s_add_co_i32 s2, s2, 1
	s_bfe_u32 s5, ttmp6, 0x40008
	s_mul_i32 s2, s3, s2
	s_getreg_b32 s4, hwreg(HW_REG_IB_STS2, 6, 4)
	s_add_co_i32 s5, s5, s2
	s_cmp_eq_u32 s4, 0
	s_cselect_b32 s2, s3, s5
	s_mov_b32 s3, 0
	s_wait_kmcnt 0x0
	s_cmp_ge_i32 s2, s31
	s_cbranch_scc1 .LBB377_10
; %bb.1:
	s_bfe_u32 s6, ttmp6, 0x4000c
	s_bfe_u32 s7, ttmp6, 0x40010
	s_add_co_i32 s6, s6, 1
	s_and_b32 s8, ttmp7, 0xffff
	s_add_co_i32 s7, s7, 1
	v_bfe_u32 v4, v0, 10, 10
	v_and_b32_e32 v6, 0x3ff, v0
	s_and_b32 s5, ttmp6, 15
	s_mul_i32 s6, ttmp9, s6
	s_mul_i32 s7, s8, s7
	s_bfe_u32 s9, ttmp6, 0x40004
	s_clause 0x1
	s_load_b256 s[12:19], s[0:1], 0x20
	s_load_b128 s[24:27], s[0:1], 0x40
	s_add_co_i32 s5, s5, s6
	s_add_co_i32 s9, s9, s7
	s_cmp_eq_u32 s4, 0
	v_lshl_add_u32 v1, v4, 4, v6
	v_mov_b32_e32 v5, 0
	s_cselect_b32 s28, ttmp9, s5
	s_cselect_b32 s4, s8, s9
	s_ashr_i32 s29, s28, 31
	v_lshrrev_b32_e32 v8, 3, v1
	s_lshl_b64 s[36:37], s[28:29], 5
	v_mov_b32_e32 v9, v5
	s_lshl_b32 s34, s4, 5
	s_mov_b32 s35, s3
	s_clause 0x3
	s_load_b32 s33, s[0:1], 0x50
	s_load_b256 s[4:11], s[0:1], 0x58
	s_load_b128 s[20:23], s[0:1], 0x78
	s_load_b96 s[28:30], s[0:1], 0x10
	v_add_nc_u64_e32 v[2:3], s[34:35], v[8:9]
	v_dual_mov_b32 v7, v5 :: v_dual_bitop2_b32 v9, 31, v1 bitop3:0x40
	v_dual_lshrrev_b32 v17, 5, v1 :: v_dual_bitop2_b32 v0, 7, v0 bitop3:0x40
	v_lshl_add_u32 v18, v4, 5, 0x400
	v_lshlrev_b32_e32 v19, 2, v6
	s_wait_kmcnt 0x0
	v_mul_u64_e32 v[10:11], s[24:25], v[2:3]
	v_dual_lshlrev_b32 v16, 2, v0 :: v_dual_bitop2_b32 v2, s36, v9 bitop3:0x54
	v_mov_b32_e32 v3, s37
	v_add_nc_u64_e32 v[6:7], s[36:37], v[6:7]
	v_lshlrev_b32_e32 v9, 2, v9
	s_delay_alu instid0(VALU_DEP_4) | instskip(NEXT) | instid1(VALU_DEP_4)
	v_lshl_or_b32 v8, v8, 5, v16
	v_mul_u64_e32 v[12:13], s[14:15], v[2:3]
	v_add_nc_u64_e32 v[2:3], s[34:35], v[4:5]
	v_lshlrev_b32_e32 v4, 1, v0
	v_lshlrev_b64_e32 v[6:7], 1, v[6:7]
	v_cmp_gt_i64_e64 s0, s[28:29], 0
	s_cmp_eq_f32 s33, 0
	v_lshl_or_b32 v20, v17, 7, v9
	v_add_nc_u32_e32 v21, 0x400, v8
	v_mul_u64_e32 v[14:15], s[6:7], v[2:3]
	v_mul_u64_e32 v[2:3], s[20:21], v[2:3]
	s_cselect_b32 s1, -1, 0
	s_lshl_b64 s[14:15], s[20:21], 4
	v_lshl_add_u64 v[0:1], v[10:11], 1, v[4:5]
	v_lshlrev_b32_e32 v4, 1, v17
	v_cndmask_b32_e64 v10, 0, 1, s0
	s_delay_alu instid0(VALU_DEP_3) | instskip(NEXT) | instid1(VALU_DEP_2)
	v_add_nc_u64_e32 v[0:1], s[18:19], v[0:1]
	v_cmp_ne_u32_e64 s0, 1, v10
	s_delay_alu instid0(VALU_DEP_4) | instskip(NEXT) | instid1(VALU_DEP_1)
	v_lshl_add_u64 v[4:5], v[12:13], 1, v[4:5]
	v_add_nc_u64_e32 v[4:5], s[12:13], v[4:5]
	s_lshl_b64 s[12:13], s[16:17], 1
	v_lshl_add_u64 v[8:9], v[14:15], 1, s[4:5]
	s_lshl_b64 s[4:5], s[6:7], 4
	s_lshl_b64 s[6:7], s[26:27], 1
	s_branch .LBB377_3
.LBB377_2:                              ;   in Loop: Header=BB377_3 Depth=1
	s_add_co_i32 s2, s2, 0x10000
	s_delay_alu instid0(SALU_CYCLE_1)
	s_cmp_lt_i32 s2, s31
	s_cbranch_scc0 .LBB377_10
.LBB377_3:                              ; =>This Loop Header: Depth=1
                                        ;     Child Loop BB377_5 Depth 2
	s_wait_xcnt 0x0
	v_dual_mov_b32 v13, 0 :: v_dual_mov_b32 v12, 0
	v_dual_mov_b32 v11, 0 :: v_dual_mov_b32 v10, 0
	s_and_b32 vcc_lo, exec_lo, s0
	s_cbranch_vccnz .LBB377_6
; %bb.4:                                ;   in Loop: Header=BB377_3 Depth=1
	v_mad_nc_u64_u32 v[14:15], s6, s2, v[0:1]
	v_mad_nc_u64_u32 v[16:17], s12, s2, v[4:5]
	v_mov_b32_e32 v10, 0
	s_mov_b64 s[16:17], 0
	s_delay_alu instid0(VALU_DEP_1)
	v_dual_mov_b32 v11, v10 :: v_dual_mov_b32 v12, v10
	v_mov_b32_e32 v13, v10
	v_mad_u32 v15, s7, s2, v15
	v_mad_u32 v17, s13, s2, v17
.LBB377_5:                              ;   Parent Loop BB377_3 Depth=1
                                        ; =>  This Inner Loop Header: Depth=2
	global_load_u16 v22, v[16:17], off
	global_load_u16 v23, v[14:15], off
	s_add_nc_u64 s[16:17], s[16:17], 8
	s_wait_xcnt 0x0
	v_add_nc_u64_e32 v[14:15], 16, v[14:15]
	v_cmp_lt_i64_e64 s18, s[16:17], s[28:29]
	v_add_nc_u64_e32 v[16:17], 16, v[16:17]
	s_and_b32 vcc_lo, exec_lo, s18
	s_wait_loadcnt 0x1
	v_cvt_f32_f16_e32 v22, v22
	s_wait_loadcnt 0x0
	v_cvt_f32_f16_e32 v23, v23
	ds_store_b32 v20, v22
	ds_store_b32 v21, v23
	s_wait_dscnt 0x0
	s_barrier_signal -1
	s_barrier_wait -1
	ds_load_2addr_b32 v[38:39], v19 offset1:16
	ds_load_2addr_b32 v[40:41], v19 offset0:32 offset1:48
	ds_load_b128 v[22:25], v18
	ds_load_2addr_b32 v[42:43], v19 offset0:64 offset1:80
	ds_load_b128 v[26:29], v18 offset:512
	ds_load_2addr_b32 v[44:45], v19 offset0:96 offset1:112
	ds_load_b128 v[30:33], v18 offset:16
	;; [unrolled: 2-line block ×3, first 2 shown]
	ds_load_2addr_b32 v[48:49], v19 offset0:160 offset1:176
	ds_load_2addr_b32 v[50:51], v19 offset0:192 offset1:208
	;; [unrolled: 1-line block ×3, first 2 shown]
	s_wait_dscnt 0x0
	s_barrier_signal -1
	s_barrier_wait -1
	v_dual_mov_b32 v54, v39 :: v_dual_mov_b32 v55, v38
	v_dual_mov_b32 v38, v41 :: v_dual_mov_b32 v39, v40
	;; [unrolled: 1-line block ×3, first 2 shown]
	s_delay_alu instid0(VALU_DEP_3) | instskip(SKIP_3) | instid1(VALU_DEP_4)
	v_pk_fma_f32 v[12:13], v[54:55], v[22:23], v[12:13] op_sel_hi:[1,0,1]
	v_pk_fma_f32 v[10:11], v[54:55], v[26:27], v[10:11] op_sel_hi:[1,0,1]
	v_dual_mov_b32 v42, v45 :: v_dual_mov_b32 v43, v44
	v_mov_b32_e32 v44, v25
	v_pk_fma_f32 v[12:13], v[38:39], v[22:23], v[12:13] op_sel:[0,1,0]
	s_delay_alu instid0(VALU_DEP_4) | instskip(SKIP_2) | instid1(VALU_DEP_4)
	v_pk_fma_f32 v[10:11], v[38:39], v[26:27], v[10:11] op_sel:[0,1,0]
	v_dual_mov_b32 v22, v29 :: v_dual_mov_b32 v26, v53
	v_mov_b32_e32 v27, v52
	v_pk_fma_f32 v[12:13], v[40:41], v[24:25], v[12:13] op_sel_hi:[1,0,1]
	s_delay_alu instid0(VALU_DEP_4) | instskip(SKIP_2) | instid1(VALU_DEP_4)
	v_pk_fma_f32 v[10:11], v[40:41], v[28:29], v[10:11] op_sel_hi:[1,0,1]
	v_dual_mov_b32 v24, v47 :: v_dual_mov_b32 v25, v46
	v_mov_b32_e32 v28, v37
	v_pk_fma_f32 v[12:13], v[42:43], v[44:45], v[12:13] op_sel_hi:[1,0,1]
	s_delay_alu instid0(VALU_DEP_4) | instskip(SKIP_1) | instid1(VALU_DEP_3)
	v_pk_fma_f32 v[10:11], v[42:43], v[22:23], v[10:11] op_sel_hi:[1,0,1]
	v_dual_mov_b32 v22, v49 :: v_dual_mov_b32 v23, v48
	v_pk_fma_f32 v[12:13], v[24:25], v[30:31], v[12:13] op_sel_hi:[1,0,1]
	s_delay_alu instid0(VALU_DEP_3) | instskip(SKIP_1) | instid1(VALU_DEP_3)
	v_pk_fma_f32 v[10:11], v[24:25], v[34:35], v[10:11] op_sel_hi:[1,0,1]
	v_dual_mov_b32 v24, v51 :: v_dual_mov_b32 v25, v50
	v_pk_fma_f32 v[12:13], v[22:23], v[30:31], v[12:13] op_sel:[0,1,0]
	s_delay_alu instid0(VALU_DEP_3) | instskip(SKIP_1) | instid1(VALU_DEP_3)
	v_pk_fma_f32 v[10:11], v[22:23], v[34:35], v[10:11] op_sel:[0,1,0]
	v_mov_b32_e32 v22, v33
	v_pk_fma_f32 v[12:13], v[24:25], v[32:33], v[12:13] op_sel_hi:[1,0,1]
	s_delay_alu instid0(VALU_DEP_3) | instskip(NEXT) | instid1(VALU_DEP_2)
	v_pk_fma_f32 v[10:11], v[24:25], v[36:37], v[10:11] op_sel_hi:[1,0,1]
	v_pk_fma_f32 v[12:13], v[26:27], v[22:23], v[12:13] op_sel_hi:[1,0,1]
	s_delay_alu instid0(VALU_DEP_2)
	v_pk_fma_f32 v[10:11], v[26:27], v[28:29], v[10:11] op_sel_hi:[1,0,1]
	s_cbranch_vccnz .LBB377_5
.LBB377_6:                              ;   in Loop: Header=BB377_3 Depth=1
	s_mul_u64 s[16:17], s[22:23], s[2:3]
	s_and_not1_b32 vcc_lo, exec_lo, s1
	s_lshl_b64 s[16:17], s[16:17], 1
	s_delay_alu instid0(SALU_CYCLE_1) | instskip(NEXT) | instid1(SALU_CYCLE_1)
	s_add_nc_u64 s[16:17], s[10:11], s[16:17]
	v_lshl_add_u64 v[14:15], v[2:3], 1, s[16:17]
	s_delay_alu instid0(VALU_DEP_1)
	v_add_nc_u64_e32 v[16:17], v[14:15], v[6:7]
	v_lshl_add_u64 v[14:15], s[14:15], 1, v[14:15]
	s_cbranch_vccnz .LBB377_8
; %bb.7:                                ;   in Loop: Header=BB377_3 Depth=1
	s_delay_alu instid0(VALU_DEP_1)
	v_add_nc_u64_e32 v[22:23], v[14:15], v[6:7]
	v_fma_mixlo_f16 v24, s30, v13, 0
	v_fma_mixlo_f16 v26, s30, v11, 0
	;; [unrolled: 1-line block ×4, first 2 shown]
	s_clause 0x3
	global_store_b16 v[16:17], v24, off
	global_store_b16 v[16:17], v25, off offset:32
	global_store_b16 v[22:23], v26, off
	global_store_b16 v[22:23], v27, off offset:32
	s_cbranch_execnz .LBB377_2
	s_branch .LBB377_9
.LBB377_8:                              ;   in Loop: Header=BB377_3 Depth=1
.LBB377_9:                              ;   in Loop: Header=BB377_3 Depth=1
	s_mul_u64 s[16:17], s[8:9], s[2:3]
	s_wait_xcnt 0x0
	v_lshl_add_u64 v[22:23], s[16:17], 1, v[8:9]
	s_delay_alu instid0(VALU_DEP_1) | instskip(SKIP_1) | instid1(VALU_DEP_1)
	v_add_nc_u64_e32 v[24:25], v[22:23], v[6:7]
	v_lshl_add_u64 v[22:23], s[4:5], 1, v[22:23]
	v_add_nc_u64_e32 v[22:23], v[22:23], v[6:7]
	global_load_u16 v26, v[24:25], off
	s_wait_loadcnt 0x0
	v_cvt_f32_f16_e32 v26, v26
	s_delay_alu instid0(VALU_DEP_1) | instskip(NEXT) | instid1(VALU_DEP_1)
	v_mul_f32_e32 v26, s33, v26
	v_fma_mixlo_f16 v13, s30, v13, v26
	global_store_b16 v[16:17], v13, off
	global_load_u16 v13, v[24:25], off offset:32
	s_wait_loadcnt 0x0
	v_cvt_f32_f16_e32 v13, v13
	s_delay_alu instid0(VALU_DEP_1) | instskip(NEXT) | instid1(VALU_DEP_1)
	v_mul_f32_e32 v13, s33, v13
	v_fma_mixlo_f16 v12, s30, v12, v13
	global_store_b16 v[16:17], v12, off offset:32
	global_load_u16 v12, v[22:23], off
	s_wait_loadcnt 0x0
	v_cvt_f32_f16_e32 v12, v12
	s_delay_alu instid0(VALU_DEP_1) | instskip(SKIP_1) | instid1(VALU_DEP_2)
	v_mul_f32_e32 v16, s33, v12
	v_add_nc_u64_e32 v[12:13], v[14:15], v[6:7]
	v_fma_mixlo_f16 v11, s30, v11, v16
	global_store_b16 v[12:13], v11, off
	global_load_u16 v11, v[22:23], off offset:32
	s_wait_loadcnt 0x0
	v_cvt_f32_f16_e32 v11, v11
	s_delay_alu instid0(VALU_DEP_1) | instskip(NEXT) | instid1(VALU_DEP_1)
	v_mul_f32_e32 v11, s33, v11
	v_fma_mixlo_f16 v10, s30, v10, v11
	global_store_b16 v[12:13], v10, off offset:32
	s_branch .LBB377_2
.LBB377_10:
	s_endpgm
	.section	.rodata,"a",@progbits
	.p2align	6, 0x0
	.amdhsa_kernel _ZN12_GLOBAL__N_127rocblas_gemm_batched_kernelIfLi16ELi16ELi32ELi32ELi8ELi32ELi8ELi8ELi32ELc67ELc78EKDF16_S1_DF16_EEvlllT_PT11_llS4_llS2_PT12_llPT13_lli
		.amdhsa_group_segment_fixed_size 2048
		.amdhsa_private_segment_fixed_size 0
		.amdhsa_kernarg_size 140
		.amdhsa_user_sgpr_count 2
		.amdhsa_user_sgpr_dispatch_ptr 0
		.amdhsa_user_sgpr_queue_ptr 0
		.amdhsa_user_sgpr_kernarg_segment_ptr 1
		.amdhsa_user_sgpr_dispatch_id 0
		.amdhsa_user_sgpr_kernarg_preload_length 0
		.amdhsa_user_sgpr_kernarg_preload_offset 0
		.amdhsa_user_sgpr_private_segment_size 0
		.amdhsa_wavefront_size32 1
		.amdhsa_uses_dynamic_stack 0
		.amdhsa_enable_private_segment 0
		.amdhsa_system_sgpr_workgroup_id_x 1
		.amdhsa_system_sgpr_workgroup_id_y 1
		.amdhsa_system_sgpr_workgroup_id_z 1
		.amdhsa_system_sgpr_workgroup_info 0
		.amdhsa_system_vgpr_workitem_id 1
		.amdhsa_next_free_vgpr 56
		.amdhsa_next_free_sgpr 38
		.amdhsa_named_barrier_count 0
		.amdhsa_reserve_vcc 1
		.amdhsa_float_round_mode_32 0
		.amdhsa_float_round_mode_16_64 0
		.amdhsa_float_denorm_mode_32 3
		.amdhsa_float_denorm_mode_16_64 3
		.amdhsa_fp16_overflow 0
		.amdhsa_memory_ordered 1
		.amdhsa_forward_progress 1
		.amdhsa_inst_pref_size 12
		.amdhsa_round_robin_scheduling 0
		.amdhsa_exception_fp_ieee_invalid_op 0
		.amdhsa_exception_fp_denorm_src 0
		.amdhsa_exception_fp_ieee_div_zero 0
		.amdhsa_exception_fp_ieee_overflow 0
		.amdhsa_exception_fp_ieee_underflow 0
		.amdhsa_exception_fp_ieee_inexact 0
		.amdhsa_exception_int_div_zero 0
	.end_amdhsa_kernel
	.section	.text._ZN12_GLOBAL__N_127rocblas_gemm_batched_kernelIfLi16ELi16ELi32ELi32ELi8ELi32ELi8ELi8ELi32ELc67ELc78EKDF16_S1_DF16_EEvlllT_PT11_llS4_llS2_PT12_llPT13_lli,"axG",@progbits,_ZN12_GLOBAL__N_127rocblas_gemm_batched_kernelIfLi16ELi16ELi32ELi32ELi8ELi32ELi8ELi8ELi32ELc67ELc78EKDF16_S1_DF16_EEvlllT_PT11_llS4_llS2_PT12_llPT13_lli,comdat
.Lfunc_end377:
	.size	_ZN12_GLOBAL__N_127rocblas_gemm_batched_kernelIfLi16ELi16ELi32ELi32ELi8ELi32ELi8ELi8ELi32ELc67ELc78EKDF16_S1_DF16_EEvlllT_PT11_llS4_llS2_PT12_llPT13_lli, .Lfunc_end377-_ZN12_GLOBAL__N_127rocblas_gemm_batched_kernelIfLi16ELi16ELi32ELi32ELi8ELi32ELi8ELi8ELi32ELc67ELc78EKDF16_S1_DF16_EEvlllT_PT11_llS4_llS2_PT12_llPT13_lli
                                        ; -- End function
	.set _ZN12_GLOBAL__N_127rocblas_gemm_batched_kernelIfLi16ELi16ELi32ELi32ELi8ELi32ELi8ELi8ELi32ELc67ELc78EKDF16_S1_DF16_EEvlllT_PT11_llS4_llS2_PT12_llPT13_lli.num_vgpr, 56
	.set _ZN12_GLOBAL__N_127rocblas_gemm_batched_kernelIfLi16ELi16ELi32ELi32ELi8ELi32ELi8ELi8ELi32ELc67ELc78EKDF16_S1_DF16_EEvlllT_PT11_llS4_llS2_PT12_llPT13_lli.num_agpr, 0
	.set _ZN12_GLOBAL__N_127rocblas_gemm_batched_kernelIfLi16ELi16ELi32ELi32ELi8ELi32ELi8ELi8ELi32ELc67ELc78EKDF16_S1_DF16_EEvlllT_PT11_llS4_llS2_PT12_llPT13_lli.numbered_sgpr, 38
	.set _ZN12_GLOBAL__N_127rocblas_gemm_batched_kernelIfLi16ELi16ELi32ELi32ELi8ELi32ELi8ELi8ELi32ELc67ELc78EKDF16_S1_DF16_EEvlllT_PT11_llS4_llS2_PT12_llPT13_lli.num_named_barrier, 0
	.set _ZN12_GLOBAL__N_127rocblas_gemm_batched_kernelIfLi16ELi16ELi32ELi32ELi8ELi32ELi8ELi8ELi32ELc67ELc78EKDF16_S1_DF16_EEvlllT_PT11_llS4_llS2_PT12_llPT13_lli.private_seg_size, 0
	.set _ZN12_GLOBAL__N_127rocblas_gemm_batched_kernelIfLi16ELi16ELi32ELi32ELi8ELi32ELi8ELi8ELi32ELc67ELc78EKDF16_S1_DF16_EEvlllT_PT11_llS4_llS2_PT12_llPT13_lli.uses_vcc, 1
	.set _ZN12_GLOBAL__N_127rocblas_gemm_batched_kernelIfLi16ELi16ELi32ELi32ELi8ELi32ELi8ELi8ELi32ELc67ELc78EKDF16_S1_DF16_EEvlllT_PT11_llS4_llS2_PT12_llPT13_lli.uses_flat_scratch, 0
	.set _ZN12_GLOBAL__N_127rocblas_gemm_batched_kernelIfLi16ELi16ELi32ELi32ELi8ELi32ELi8ELi8ELi32ELc67ELc78EKDF16_S1_DF16_EEvlllT_PT11_llS4_llS2_PT12_llPT13_lli.has_dyn_sized_stack, 0
	.set _ZN12_GLOBAL__N_127rocblas_gemm_batched_kernelIfLi16ELi16ELi32ELi32ELi8ELi32ELi8ELi8ELi32ELc67ELc78EKDF16_S1_DF16_EEvlllT_PT11_llS4_llS2_PT12_llPT13_lli.has_recursion, 0
	.set _ZN12_GLOBAL__N_127rocblas_gemm_batched_kernelIfLi16ELi16ELi32ELi32ELi8ELi32ELi8ELi8ELi32ELc67ELc78EKDF16_S1_DF16_EEvlllT_PT11_llS4_llS2_PT12_llPT13_lli.has_indirect_call, 0
	.section	.AMDGPU.csdata,"",@progbits
; Kernel info:
; codeLenInByte = 1416
; TotalNumSgprs: 40
; NumVgprs: 56
; ScratchSize: 0
; MemoryBound: 0
; FloatMode: 240
; IeeeMode: 1
; LDSByteSize: 2048 bytes/workgroup (compile time only)
; SGPRBlocks: 0
; VGPRBlocks: 3
; NumSGPRsForWavesPerEU: 40
; NumVGPRsForWavesPerEU: 56
; NamedBarCnt: 0
; Occupancy: 16
; WaveLimiterHint : 0
; COMPUTE_PGM_RSRC2:SCRATCH_EN: 0
; COMPUTE_PGM_RSRC2:USER_SGPR: 2
; COMPUTE_PGM_RSRC2:TRAP_HANDLER: 0
; COMPUTE_PGM_RSRC2:TGID_X_EN: 1
; COMPUTE_PGM_RSRC2:TGID_Y_EN: 1
; COMPUTE_PGM_RSRC2:TGID_Z_EN: 1
; COMPUTE_PGM_RSRC2:TIDIG_COMP_CNT: 1
	.section	.text._ZN12_GLOBAL__N_127rocblas_gemm_batched_kernelIfLi16ELi16ELi32ELi32ELi8ELi32ELi8ELi8ELi32ELc67ELc84EKDF16_S1_DF16_EEvlllT_PT11_llS4_llS2_PT12_llPT13_lli,"axG",@progbits,_ZN12_GLOBAL__N_127rocblas_gemm_batched_kernelIfLi16ELi16ELi32ELi32ELi8ELi32ELi8ELi8ELi32ELc67ELc84EKDF16_S1_DF16_EEvlllT_PT11_llS4_llS2_PT12_llPT13_lli,comdat
	.globl	_ZN12_GLOBAL__N_127rocblas_gemm_batched_kernelIfLi16ELi16ELi32ELi32ELi8ELi32ELi8ELi8ELi32ELc67ELc84EKDF16_S1_DF16_EEvlllT_PT11_llS4_llS2_PT12_llPT13_lli ; -- Begin function _ZN12_GLOBAL__N_127rocblas_gemm_batched_kernelIfLi16ELi16ELi32ELi32ELi8ELi32ELi8ELi8ELi32ELc67ELc84EKDF16_S1_DF16_EEvlllT_PT11_llS4_llS2_PT12_llPT13_lli
	.p2align	8
	.type	_ZN12_GLOBAL__N_127rocblas_gemm_batched_kernelIfLi16ELi16ELi32ELi32ELi8ELi32ELi8ELi8ELi32ELc67ELc84EKDF16_S1_DF16_EEvlllT_PT11_llS4_llS2_PT12_llPT13_lli,@function
_ZN12_GLOBAL__N_127rocblas_gemm_batched_kernelIfLi16ELi16ELi32ELi32ELi8ELi32ELi8ELi8ELi32ELc67ELc84EKDF16_S1_DF16_EEvlllT_PT11_llS4_llS2_PT12_llPT13_lli: ; @_ZN12_GLOBAL__N_127rocblas_gemm_batched_kernelIfLi16ELi16ELi32ELi32ELi8ELi32ELi8ELi8ELi32ELc67ELc84EKDF16_S1_DF16_EEvlllT_PT11_llS4_llS2_PT12_llPT13_lli
; %bb.0:
	s_load_b32 s31, s[0:1], 0x88
	s_bfe_u32 s2, ttmp6, 0x40014
	s_lshr_b32 s3, ttmp7, 16
	s_add_co_i32 s2, s2, 1
	s_bfe_u32 s4, ttmp6, 0x40008
	s_mul_i32 s2, s3, s2
	s_getreg_b32 s28, hwreg(HW_REG_IB_STS2, 6, 4)
	s_add_co_i32 s4, s4, s2
	s_cmp_eq_u32 s28, 0
	s_cselect_b32 s2, s3, s4
	s_mov_b32 s3, 0
	s_wait_kmcnt 0x0
	s_cmp_ge_i32 s2, s31
	s_cbranch_scc1 .LBB378_10
; %bb.1:
	v_bfe_u32 v2, v0, 10, 10
	v_and_b32_e32 v4, 0x3ff, v0
	s_bfe_u32 s29, ttmp6, 0x4000c
	s_bfe_u32 s33, ttmp6, 0x40010
	s_add_co_i32 s29, s29, 1
	s_and_b32 s34, ttmp7, 0xffff
	s_add_co_i32 s33, s33, 1
	s_clause 0x3
	s_load_b256 s[12:19], s[0:1], 0x20
	s_load_b128 s[24:27], s[0:1], 0x40
	s_load_b128 s[20:23], s[0:1], 0x78
	s_load_b256 s[4:11], s[0:1], 0x58
	s_and_b32 s30, ttmp6, 15
	s_mul_i32 s29, ttmp9, s29
	s_mul_i32 s33, s34, s33
	s_bfe_u32 s35, ttmp6, 0x40004
	v_lshl_add_u32 v5, v2, 4, v4
	s_add_co_i32 s30, s30, s29
	s_add_co_i32 s35, s35, s33
	s_cmp_eq_u32 s28, 0
	s_delay_alu instid0(VALU_DEP_1)
	v_dual_mov_b32 v3, 0 :: v_dual_bitop2_b32 v16, 31, v5 bitop3:0x40
	s_cselect_b32 s28, ttmp9, s30
	s_cselect_b32 s30, s34, s35
	s_ashr_i32 s29, s28, 31
	s_lshl_b32 s36, s30, 5
	s_lshl_b64 s[34:35], s[28:29], 5
	s_mov_b32 s37, s3
	v_dual_mov_b32 v7, s35 :: v_dual_bitop2_b32 v6, s34, v16 bitop3:0x54
	v_add_nc_u64_e32 v[8:9], s[36:37], v[2:3]
	v_dual_lshrrev_b32 v10, 3, v5 :: v_dual_bitop2_b32 v17, 7, v0 bitop3:0x40
	v_mov_b32_e32 v11, v3
	s_wait_kmcnt 0x0
	v_mul_u64_e32 v[6:7], s[14:15], v[6:7]
	s_clause 0x1
	s_load_b32 s33, s[0:1], 0x50
	s_load_b96 s[28:30], s[0:1], 0x10
	v_mul_u64_e32 v[12:13], s[6:7], v[8:9]
	v_mul_u64_e32 v[0:1], s[20:21], v[8:9]
	v_lshrrev_b32_e32 v8, 5, v5
	v_mad_nc_u64_u32 v[14:15], s24, v17, v[10:11]
	v_dual_lshlrev_b32 v11, 2, v17 :: v_dual_lshlrev_b32 v9, 2, v16
	v_dual_mov_b32 v5, v3 :: v_dual_lshlrev_b32 v20, 2, v4
	v_lshl_add_u32 v21, v2, 5, 0x400
	s_delay_alu instid0(VALU_DEP_3)
	v_lshl_or_b32 v10, v10, 5, v11
	v_lshlrev_b32_e32 v2, 1, v8
	v_lshl_or_b32 v18, v8, 7, v9
	v_add_nc_u64_e32 v[8:9], s[34:35], v[4:5]
	v_mad_u32 v15, s25, v17, v15
	v_add_nc_u32_e32 v19, 0x400, v10
	s_wait_kmcnt 0x0
	s_cmp_eq_f32 s33, 0
	v_cmp_gt_i64_e64 s0, s[28:29], 0
	s_cselect_b32 s1, -1, 0
	s_lshl_b64 s[14:15], s[20:21], 4
	s_lshl_b64 s[6:7], s[6:7], 4
	v_add_nc_u64_e32 v[10:11], s[36:37], v[14:15]
	v_cndmask_b32_e64 v14, 0, 1, s0
	s_lshl_b64 s[16:17], s[16:17], 1
	v_lshl_add_u64 v[4:5], v[6:7], 1, v[2:3]
	v_lshlrev_b64_e32 v[6:7], 1, v[8:9]
	s_delay_alu instid0(VALU_DEP_3)
	v_cmp_ne_u32_e64 s0, 1, v14
	v_lshl_add_u64 v[2:3], v[12:13], 1, s[4:5]
	v_lshl_add_u64 v[8:9], v[10:11], 1, s[18:19]
	v_add_nc_u64_e32 v[4:5], s[12:13], v[4:5]
	s_lshl_b64 s[4:5], s[26:27], 1
	s_lshl_b64 s[12:13], s[24:25], 4
	s_branch .LBB378_3
.LBB378_2:                              ;   in Loop: Header=BB378_3 Depth=1
	s_add_co_i32 s2, s2, 0x10000
	s_delay_alu instid0(SALU_CYCLE_1)
	s_cmp_lt_i32 s2, s31
	s_cbranch_scc0 .LBB378_10
.LBB378_3:                              ; =>This Loop Header: Depth=1
                                        ;     Child Loop BB378_5 Depth 2
	s_wait_xcnt 0x0
	v_dual_mov_b32 v13, 0 :: v_dual_mov_b32 v12, 0
	v_dual_mov_b32 v11, 0 :: v_dual_mov_b32 v10, 0
	s_and_b32 vcc_lo, exec_lo, s0
	s_cbranch_vccnz .LBB378_6
; %bb.4:                                ;   in Loop: Header=BB378_3 Depth=1
	v_mad_nc_u64_u32 v[14:15], s4, s2, v[8:9]
	v_mad_nc_u64_u32 v[16:17], s16, s2, v[4:5]
	v_mov_b32_e32 v10, 0
	s_mov_b64 s[18:19], 0
	s_delay_alu instid0(VALU_DEP_1)
	v_dual_mov_b32 v11, v10 :: v_dual_mov_b32 v12, v10
	v_mov_b32_e32 v13, v10
	v_mad_u32 v15, s5, s2, v15
	v_mad_u32 v17, s17, s2, v17
.LBB378_5:                              ;   Parent Loop BB378_3 Depth=1
                                        ; =>  This Inner Loop Header: Depth=2
	global_load_u16 v22, v[16:17], off
	global_load_u16 v23, v[14:15], off
	s_add_nc_u64 s[18:19], s[18:19], 8
	s_wait_xcnt 0x0
	v_add_nc_u64_e32 v[14:15], s[12:13], v[14:15]
	v_cmp_lt_i64_e64 s20, s[18:19], s[28:29]
	v_add_nc_u64_e32 v[16:17], 16, v[16:17]
	s_and_b32 vcc_lo, exec_lo, s20
	s_wait_loadcnt 0x1
	v_cvt_f32_f16_e32 v22, v22
	s_wait_loadcnt 0x0
	v_cvt_f32_f16_e32 v23, v23
	ds_store_b32 v18, v22
	ds_store_b32 v19, v23
	s_wait_dscnt 0x0
	s_barrier_signal -1
	s_barrier_wait -1
	ds_load_2addr_b32 v[38:39], v20 offset1:16
	ds_load_2addr_b32 v[40:41], v20 offset0:32 offset1:48
	ds_load_b128 v[22:25], v21
	ds_load_2addr_b32 v[42:43], v20 offset0:64 offset1:80
	ds_load_b128 v[26:29], v21 offset:512
	ds_load_2addr_b32 v[44:45], v20 offset0:96 offset1:112
	ds_load_b128 v[30:33], v21 offset:16
	;; [unrolled: 2-line block ×3, first 2 shown]
	ds_load_2addr_b32 v[48:49], v20 offset0:160 offset1:176
	ds_load_2addr_b32 v[50:51], v20 offset0:192 offset1:208
	;; [unrolled: 1-line block ×3, first 2 shown]
	s_wait_dscnt 0x0
	s_barrier_signal -1
	s_barrier_wait -1
	v_dual_mov_b32 v54, v39 :: v_dual_mov_b32 v55, v38
	v_dual_mov_b32 v38, v41 :: v_dual_mov_b32 v39, v40
	;; [unrolled: 1-line block ×3, first 2 shown]
	s_delay_alu instid0(VALU_DEP_3) | instskip(SKIP_3) | instid1(VALU_DEP_4)
	v_pk_fma_f32 v[12:13], v[54:55], v[22:23], v[12:13] op_sel_hi:[1,0,1]
	v_pk_fma_f32 v[10:11], v[54:55], v[26:27], v[10:11] op_sel_hi:[1,0,1]
	v_dual_mov_b32 v42, v45 :: v_dual_mov_b32 v43, v44
	v_mov_b32_e32 v44, v25
	v_pk_fma_f32 v[12:13], v[38:39], v[22:23], v[12:13] op_sel:[0,1,0]
	s_delay_alu instid0(VALU_DEP_4) | instskip(SKIP_2) | instid1(VALU_DEP_4)
	v_pk_fma_f32 v[10:11], v[38:39], v[26:27], v[10:11] op_sel:[0,1,0]
	v_dual_mov_b32 v22, v29 :: v_dual_mov_b32 v26, v53
	v_mov_b32_e32 v27, v52
	v_pk_fma_f32 v[12:13], v[40:41], v[24:25], v[12:13] op_sel_hi:[1,0,1]
	s_delay_alu instid0(VALU_DEP_4) | instskip(SKIP_2) | instid1(VALU_DEP_4)
	v_pk_fma_f32 v[10:11], v[40:41], v[28:29], v[10:11] op_sel_hi:[1,0,1]
	v_dual_mov_b32 v24, v47 :: v_dual_mov_b32 v25, v46
	v_mov_b32_e32 v28, v37
	v_pk_fma_f32 v[12:13], v[42:43], v[44:45], v[12:13] op_sel_hi:[1,0,1]
	s_delay_alu instid0(VALU_DEP_4) | instskip(SKIP_1) | instid1(VALU_DEP_3)
	v_pk_fma_f32 v[10:11], v[42:43], v[22:23], v[10:11] op_sel_hi:[1,0,1]
	v_dual_mov_b32 v22, v49 :: v_dual_mov_b32 v23, v48
	v_pk_fma_f32 v[12:13], v[24:25], v[30:31], v[12:13] op_sel_hi:[1,0,1]
	s_delay_alu instid0(VALU_DEP_3) | instskip(SKIP_1) | instid1(VALU_DEP_3)
	v_pk_fma_f32 v[10:11], v[24:25], v[34:35], v[10:11] op_sel_hi:[1,0,1]
	v_dual_mov_b32 v24, v51 :: v_dual_mov_b32 v25, v50
	v_pk_fma_f32 v[12:13], v[22:23], v[30:31], v[12:13] op_sel:[0,1,0]
	s_delay_alu instid0(VALU_DEP_3) | instskip(SKIP_1) | instid1(VALU_DEP_3)
	v_pk_fma_f32 v[10:11], v[22:23], v[34:35], v[10:11] op_sel:[0,1,0]
	v_mov_b32_e32 v22, v33
	v_pk_fma_f32 v[12:13], v[24:25], v[32:33], v[12:13] op_sel_hi:[1,0,1]
	s_delay_alu instid0(VALU_DEP_3) | instskip(NEXT) | instid1(VALU_DEP_2)
	v_pk_fma_f32 v[10:11], v[24:25], v[36:37], v[10:11] op_sel_hi:[1,0,1]
	v_pk_fma_f32 v[12:13], v[26:27], v[22:23], v[12:13] op_sel_hi:[1,0,1]
	s_delay_alu instid0(VALU_DEP_2)
	v_pk_fma_f32 v[10:11], v[26:27], v[28:29], v[10:11] op_sel_hi:[1,0,1]
	s_cbranch_vccnz .LBB378_5
.LBB378_6:                              ;   in Loop: Header=BB378_3 Depth=1
	s_mul_u64 s[18:19], s[22:23], s[2:3]
	s_and_not1_b32 vcc_lo, exec_lo, s1
	s_lshl_b64 s[18:19], s[18:19], 1
	s_delay_alu instid0(SALU_CYCLE_1) | instskip(NEXT) | instid1(SALU_CYCLE_1)
	s_add_nc_u64 s[18:19], s[10:11], s[18:19]
	v_lshl_add_u64 v[14:15], v[0:1], 1, s[18:19]
	s_delay_alu instid0(VALU_DEP_1)
	v_add_nc_u64_e32 v[16:17], v[14:15], v[6:7]
	v_lshl_add_u64 v[14:15], s[14:15], 1, v[14:15]
	s_cbranch_vccnz .LBB378_8
; %bb.7:                                ;   in Loop: Header=BB378_3 Depth=1
	s_delay_alu instid0(VALU_DEP_1)
	v_add_nc_u64_e32 v[22:23], v[14:15], v[6:7]
	v_fma_mixlo_f16 v24, s30, v13, 0
	v_fma_mixlo_f16 v26, s30, v11, 0
	v_fma_mixlo_f16 v25, s30, v12, 0
	v_fma_mixlo_f16 v27, s30, v10, 0
	s_clause 0x3
	global_store_b16 v[16:17], v24, off
	global_store_b16 v[16:17], v25, off offset:32
	global_store_b16 v[22:23], v26, off
	global_store_b16 v[22:23], v27, off offset:32
	s_cbranch_execnz .LBB378_2
	s_branch .LBB378_9
.LBB378_8:                              ;   in Loop: Header=BB378_3 Depth=1
.LBB378_9:                              ;   in Loop: Header=BB378_3 Depth=1
	s_mul_u64 s[18:19], s[8:9], s[2:3]
	s_wait_xcnt 0x0
	v_lshl_add_u64 v[22:23], s[18:19], 1, v[2:3]
	s_delay_alu instid0(VALU_DEP_1) | instskip(SKIP_1) | instid1(VALU_DEP_1)
	v_add_nc_u64_e32 v[24:25], v[22:23], v[6:7]
	v_lshl_add_u64 v[22:23], s[6:7], 1, v[22:23]
	v_add_nc_u64_e32 v[22:23], v[22:23], v[6:7]
	global_load_u16 v26, v[24:25], off
	s_wait_loadcnt 0x0
	v_cvt_f32_f16_e32 v26, v26
	s_delay_alu instid0(VALU_DEP_1) | instskip(NEXT) | instid1(VALU_DEP_1)
	v_mul_f32_e32 v26, s33, v26
	v_fma_mixlo_f16 v13, s30, v13, v26
	global_store_b16 v[16:17], v13, off
	global_load_u16 v13, v[24:25], off offset:32
	s_wait_loadcnt 0x0
	v_cvt_f32_f16_e32 v13, v13
	s_delay_alu instid0(VALU_DEP_1) | instskip(NEXT) | instid1(VALU_DEP_1)
	v_mul_f32_e32 v13, s33, v13
	v_fma_mixlo_f16 v12, s30, v12, v13
	global_store_b16 v[16:17], v12, off offset:32
	global_load_u16 v12, v[22:23], off
	s_wait_loadcnt 0x0
	v_cvt_f32_f16_e32 v12, v12
	s_delay_alu instid0(VALU_DEP_1) | instskip(SKIP_1) | instid1(VALU_DEP_2)
	v_mul_f32_e32 v16, s33, v12
	v_add_nc_u64_e32 v[12:13], v[14:15], v[6:7]
	v_fma_mixlo_f16 v11, s30, v11, v16
	global_store_b16 v[12:13], v11, off
	global_load_u16 v11, v[22:23], off offset:32
	s_wait_loadcnt 0x0
	v_cvt_f32_f16_e32 v11, v11
	s_delay_alu instid0(VALU_DEP_1) | instskip(NEXT) | instid1(VALU_DEP_1)
	v_mul_f32_e32 v11, s33, v11
	v_fma_mixlo_f16 v10, s30, v10, v11
	global_store_b16 v[12:13], v10, off offset:32
	s_branch .LBB378_2
.LBB378_10:
	s_endpgm
	.section	.rodata,"a",@progbits
	.p2align	6, 0x0
	.amdhsa_kernel _ZN12_GLOBAL__N_127rocblas_gemm_batched_kernelIfLi16ELi16ELi32ELi32ELi8ELi32ELi8ELi8ELi32ELc67ELc84EKDF16_S1_DF16_EEvlllT_PT11_llS4_llS2_PT12_llPT13_lli
		.amdhsa_group_segment_fixed_size 2048
		.amdhsa_private_segment_fixed_size 0
		.amdhsa_kernarg_size 140
		.amdhsa_user_sgpr_count 2
		.amdhsa_user_sgpr_dispatch_ptr 0
		.amdhsa_user_sgpr_queue_ptr 0
		.amdhsa_user_sgpr_kernarg_segment_ptr 1
		.amdhsa_user_sgpr_dispatch_id 0
		.amdhsa_user_sgpr_kernarg_preload_length 0
		.amdhsa_user_sgpr_kernarg_preload_offset 0
		.amdhsa_user_sgpr_private_segment_size 0
		.amdhsa_wavefront_size32 1
		.amdhsa_uses_dynamic_stack 0
		.amdhsa_enable_private_segment 0
		.amdhsa_system_sgpr_workgroup_id_x 1
		.amdhsa_system_sgpr_workgroup_id_y 1
		.amdhsa_system_sgpr_workgroup_id_z 1
		.amdhsa_system_sgpr_workgroup_info 0
		.amdhsa_system_vgpr_workitem_id 1
		.amdhsa_next_free_vgpr 56
		.amdhsa_next_free_sgpr 38
		.amdhsa_named_barrier_count 0
		.amdhsa_reserve_vcc 1
		.amdhsa_float_round_mode_32 0
		.amdhsa_float_round_mode_16_64 0
		.amdhsa_float_denorm_mode_32 3
		.amdhsa_float_denorm_mode_16_64 3
		.amdhsa_fp16_overflow 0
		.amdhsa_memory_ordered 1
		.amdhsa_forward_progress 1
		.amdhsa_inst_pref_size 12
		.amdhsa_round_robin_scheduling 0
		.amdhsa_exception_fp_ieee_invalid_op 0
		.amdhsa_exception_fp_denorm_src 0
		.amdhsa_exception_fp_ieee_div_zero 0
		.amdhsa_exception_fp_ieee_overflow 0
		.amdhsa_exception_fp_ieee_underflow 0
		.amdhsa_exception_fp_ieee_inexact 0
		.amdhsa_exception_int_div_zero 0
	.end_amdhsa_kernel
	.section	.text._ZN12_GLOBAL__N_127rocblas_gemm_batched_kernelIfLi16ELi16ELi32ELi32ELi8ELi32ELi8ELi8ELi32ELc67ELc84EKDF16_S1_DF16_EEvlllT_PT11_llS4_llS2_PT12_llPT13_lli,"axG",@progbits,_ZN12_GLOBAL__N_127rocblas_gemm_batched_kernelIfLi16ELi16ELi32ELi32ELi8ELi32ELi8ELi8ELi32ELc67ELc84EKDF16_S1_DF16_EEvlllT_PT11_llS4_llS2_PT12_llPT13_lli,comdat
.Lfunc_end378:
	.size	_ZN12_GLOBAL__N_127rocblas_gemm_batched_kernelIfLi16ELi16ELi32ELi32ELi8ELi32ELi8ELi8ELi32ELc67ELc84EKDF16_S1_DF16_EEvlllT_PT11_llS4_llS2_PT12_llPT13_lli, .Lfunc_end378-_ZN12_GLOBAL__N_127rocblas_gemm_batched_kernelIfLi16ELi16ELi32ELi32ELi8ELi32ELi8ELi8ELi32ELc67ELc84EKDF16_S1_DF16_EEvlllT_PT11_llS4_llS2_PT12_llPT13_lli
                                        ; -- End function
	.set _ZN12_GLOBAL__N_127rocblas_gemm_batched_kernelIfLi16ELi16ELi32ELi32ELi8ELi32ELi8ELi8ELi32ELc67ELc84EKDF16_S1_DF16_EEvlllT_PT11_llS4_llS2_PT12_llPT13_lli.num_vgpr, 56
	.set _ZN12_GLOBAL__N_127rocblas_gemm_batched_kernelIfLi16ELi16ELi32ELi32ELi8ELi32ELi8ELi8ELi32ELc67ELc84EKDF16_S1_DF16_EEvlllT_PT11_llS4_llS2_PT12_llPT13_lli.num_agpr, 0
	.set _ZN12_GLOBAL__N_127rocblas_gemm_batched_kernelIfLi16ELi16ELi32ELi32ELi8ELi32ELi8ELi8ELi32ELc67ELc84EKDF16_S1_DF16_EEvlllT_PT11_llS4_llS2_PT12_llPT13_lli.numbered_sgpr, 38
	.set _ZN12_GLOBAL__N_127rocblas_gemm_batched_kernelIfLi16ELi16ELi32ELi32ELi8ELi32ELi8ELi8ELi32ELc67ELc84EKDF16_S1_DF16_EEvlllT_PT11_llS4_llS2_PT12_llPT13_lli.num_named_barrier, 0
	.set _ZN12_GLOBAL__N_127rocblas_gemm_batched_kernelIfLi16ELi16ELi32ELi32ELi8ELi32ELi8ELi8ELi32ELc67ELc84EKDF16_S1_DF16_EEvlllT_PT11_llS4_llS2_PT12_llPT13_lli.private_seg_size, 0
	.set _ZN12_GLOBAL__N_127rocblas_gemm_batched_kernelIfLi16ELi16ELi32ELi32ELi8ELi32ELi8ELi8ELi32ELc67ELc84EKDF16_S1_DF16_EEvlllT_PT11_llS4_llS2_PT12_llPT13_lli.uses_vcc, 1
	.set _ZN12_GLOBAL__N_127rocblas_gemm_batched_kernelIfLi16ELi16ELi32ELi32ELi8ELi32ELi8ELi8ELi32ELc67ELc84EKDF16_S1_DF16_EEvlllT_PT11_llS4_llS2_PT12_llPT13_lli.uses_flat_scratch, 0
	.set _ZN12_GLOBAL__N_127rocblas_gemm_batched_kernelIfLi16ELi16ELi32ELi32ELi8ELi32ELi8ELi8ELi32ELc67ELc84EKDF16_S1_DF16_EEvlllT_PT11_llS4_llS2_PT12_llPT13_lli.has_dyn_sized_stack, 0
	.set _ZN12_GLOBAL__N_127rocblas_gemm_batched_kernelIfLi16ELi16ELi32ELi32ELi8ELi32ELi8ELi8ELi32ELc67ELc84EKDF16_S1_DF16_EEvlllT_PT11_llS4_llS2_PT12_llPT13_lli.has_recursion, 0
	.set _ZN12_GLOBAL__N_127rocblas_gemm_batched_kernelIfLi16ELi16ELi32ELi32ELi8ELi32ELi8ELi8ELi32ELc67ELc84EKDF16_S1_DF16_EEvlllT_PT11_llS4_llS2_PT12_llPT13_lli.has_indirect_call, 0
	.section	.AMDGPU.csdata,"",@progbits
; Kernel info:
; codeLenInByte = 1432
; TotalNumSgprs: 40
; NumVgprs: 56
; ScratchSize: 0
; MemoryBound: 0
; FloatMode: 240
; IeeeMode: 1
; LDSByteSize: 2048 bytes/workgroup (compile time only)
; SGPRBlocks: 0
; VGPRBlocks: 3
; NumSGPRsForWavesPerEU: 40
; NumVGPRsForWavesPerEU: 56
; NamedBarCnt: 0
; Occupancy: 16
; WaveLimiterHint : 0
; COMPUTE_PGM_RSRC2:SCRATCH_EN: 0
; COMPUTE_PGM_RSRC2:USER_SGPR: 2
; COMPUTE_PGM_RSRC2:TRAP_HANDLER: 0
; COMPUTE_PGM_RSRC2:TGID_X_EN: 1
; COMPUTE_PGM_RSRC2:TGID_Y_EN: 1
; COMPUTE_PGM_RSRC2:TGID_Z_EN: 1
; COMPUTE_PGM_RSRC2:TIDIG_COMP_CNT: 1
	.section	.text._ZN12_GLOBAL__N_127rocblas_gemm_batched_kernelIfLi16ELi16ELi32ELi32ELi8ELi32ELi8ELi8ELi32ELc78ELc67EKDF16_S1_DF16_EEvlllT_PT11_llS4_llS2_PT12_llPT13_lli,"axG",@progbits,_ZN12_GLOBAL__N_127rocblas_gemm_batched_kernelIfLi16ELi16ELi32ELi32ELi8ELi32ELi8ELi8ELi32ELc78ELc67EKDF16_S1_DF16_EEvlllT_PT11_llS4_llS2_PT12_llPT13_lli,comdat
	.globl	_ZN12_GLOBAL__N_127rocblas_gemm_batched_kernelIfLi16ELi16ELi32ELi32ELi8ELi32ELi8ELi8ELi32ELc78ELc67EKDF16_S1_DF16_EEvlllT_PT11_llS4_llS2_PT12_llPT13_lli ; -- Begin function _ZN12_GLOBAL__N_127rocblas_gemm_batched_kernelIfLi16ELi16ELi32ELi32ELi8ELi32ELi8ELi8ELi32ELc78ELc67EKDF16_S1_DF16_EEvlllT_PT11_llS4_llS2_PT12_llPT13_lli
	.p2align	8
	.type	_ZN12_GLOBAL__N_127rocblas_gemm_batched_kernelIfLi16ELi16ELi32ELi32ELi8ELi32ELi8ELi8ELi32ELc78ELc67EKDF16_S1_DF16_EEvlllT_PT11_llS4_llS2_PT12_llPT13_lli,@function
_ZN12_GLOBAL__N_127rocblas_gemm_batched_kernelIfLi16ELi16ELi32ELi32ELi8ELi32ELi8ELi8ELi32ELc78ELc67EKDF16_S1_DF16_EEvlllT_PT11_llS4_llS2_PT12_llPT13_lli: ; @_ZN12_GLOBAL__N_127rocblas_gemm_batched_kernelIfLi16ELi16ELi32ELi32ELi8ELi32ELi8ELi8ELi32ELc78ELc67EKDF16_S1_DF16_EEvlllT_PT11_llS4_llS2_PT12_llPT13_lli
; %bb.0:
	s_load_b32 s31, s[0:1], 0x88
	s_bfe_u32 s2, ttmp6, 0x40014
	s_lshr_b32 s3, ttmp7, 16
	s_add_co_i32 s2, s2, 1
	s_bfe_u32 s4, ttmp6, 0x40008
	s_mul_i32 s2, s3, s2
	s_getreg_b32 s20, hwreg(HW_REG_IB_STS2, 6, 4)
	s_add_co_i32 s4, s4, s2
	s_cmp_eq_u32 s20, 0
	s_cselect_b32 s2, s3, s4
	s_mov_b32 s3, 0
	s_wait_kmcnt 0x0
	s_cmp_ge_i32 s2, s31
	s_cbranch_scc1 .LBB379_10
; %bb.1:
	s_bfe_u32 s21, ttmp6, 0x4000c
	s_bfe_u32 s23, ttmp6, 0x40010
	s_clause 0x2
	s_load_b256 s[12:19], s[0:1], 0x20
	s_load_b128 s[24:27], s[0:1], 0x40
	s_load_b256 s[4:11], s[0:1], 0x58
	s_add_co_i32 s21, s21, 1
	s_and_b32 s28, ttmp7, 0xffff
	s_add_co_i32 s23, s23, 1
	s_and_b32 s22, ttmp6, 15
	s_mul_i32 s21, ttmp9, s21
	s_mul_i32 s23, s28, s23
	s_bfe_u32 s29, ttmp6, 0x40004
	s_add_co_i32 s22, s22, s21
	s_add_co_i32 s29, s29, s23
	s_cmp_eq_u32 s20, 0
	v_bfe_u32 v2, v0, 10, 10
	v_dual_mov_b32 v3, 0 :: v_dual_bitop2_b32 v17, 7, v0 bitop3:0x40
	s_cselect_b32 s20, s28, s29
	s_cselect_b32 s28, ttmp9, s22
	s_lshl_b32 s34, s20, 5
	s_load_b128 s[20:23], s[0:1], 0x78
	s_mov_b32 s35, s3
	v_and_b32_e32 v4, 0x3ff, v0
	v_add_nc_u64_e32 v[6:7], s[34:35], v[2:3]
	v_mov_b32_e32 v9, v3
	s_ashr_i32 s29, s28, 31
	s_load_b32 s33, s[0:1], 0x50
	v_lshl_add_u32 v1, v2, 4, v4
	s_lshl_b64 s[36:37], s[28:29], 5
	s_load_b96 s[28:30], s[0:1], 0x10
	s_wait_kmcnt 0x0
	v_mul_u64_e32 v[10:11], s[6:7], v[6:7]
	v_dual_lshlrev_b32 v20, 2, v4 :: v_dual_lshrrev_b32 v8, 3, v1
	v_dual_lshrrev_b32 v18, 5, v1 :: v_dual_bitop2_b32 v16, 31, v1 bitop3:0x40
	v_mov_b32_e32 v5, v3
	v_lshl_add_u32 v21, v2, 5, 0x400
	s_delay_alu instid0(VALU_DEP_4) | instskip(NEXT) | instid1(VALU_DEP_4)
	v_mad_nc_u64_u32 v[12:13], s24, v17, v[8:9]
	v_mad_nc_u64_u32 v[14:15], s14, v18, s[36:37]
	v_mul_u64_e32 v[0:1], s[20:21], v[6:7]
	v_dual_lshlrev_b32 v6, 2, v17 :: v_dual_lshlrev_b32 v7, 2, v16
	s_delay_alu instid0(VALU_DEP_1)
	v_lshl_or_b32 v6, v8, 5, v6
	s_cmp_eq_f32 s33, 0
	v_mad_u32 v13, s25, v17, v13
	v_mad_u32 v15, s15, v18, v15
	v_mov_b32_e32 v17, v3
	v_cmp_gt_i64_e64 s0, s[28:29], 0
	v_lshl_or_b32 v18, v18, 7, v7
	v_add_nc_u32_e32 v19, 0x400, v6
	v_add_nc_u64_e32 v[6:7], s[36:37], v[4:5]
	s_cselect_b32 s1, -1, 0
	s_lshl_b64 s[20:21], s[20:21], 4
	s_lshl_b64 s[6:7], s[6:7], 4
	;; [unrolled: 1-line block ×3, first 2 shown]
	v_add_nc_u64_e32 v[4:5], s[34:35], v[12:13]
	v_add_nc_u64_e32 v[8:9], v[14:15], v[16:17]
	v_lshlrev_b64_e32 v[6:7], 1, v[6:7]
	v_lshl_add_u64 v[2:3], v[10:11], 1, s[4:5]
	v_cndmask_b32_e64 v10, 0, 1, s0
	s_lshl_b64 s[4:5], s[26:27], 1
	s_lshl_b64 s[14:15], s[14:15], 4
	v_lshl_add_u64 v[4:5], v[4:5], 1, s[18:19]
	v_lshl_add_u64 v[8:9], v[8:9], 1, s[12:13]
	v_cmp_ne_u32_e64 s0, 1, v10
	s_lshl_b64 s[12:13], s[24:25], 4
	s_branch .LBB379_3
.LBB379_2:                              ;   in Loop: Header=BB379_3 Depth=1
	s_add_co_i32 s2, s2, 0x10000
	s_delay_alu instid0(SALU_CYCLE_1)
	s_cmp_lt_i32 s2, s31
	s_cbranch_scc0 .LBB379_10
.LBB379_3:                              ; =>This Loop Header: Depth=1
                                        ;     Child Loop BB379_5 Depth 2
	s_wait_xcnt 0x0
	v_dual_mov_b32 v13, 0 :: v_dual_mov_b32 v12, 0
	v_dual_mov_b32 v11, 0 :: v_dual_mov_b32 v10, 0
	s_and_b32 vcc_lo, exec_lo, s0
	s_cbranch_vccnz .LBB379_6
; %bb.4:                                ;   in Loop: Header=BB379_3 Depth=1
	v_mad_nc_u64_u32 v[14:15], s4, s2, v[4:5]
	v_mad_nc_u64_u32 v[16:17], s16, s2, v[8:9]
	v_mov_b32_e32 v10, 0
	s_mov_b64 s[18:19], 0
	s_delay_alu instid0(VALU_DEP_1)
	v_dual_mov_b32 v11, v10 :: v_dual_mov_b32 v12, v10
	v_mov_b32_e32 v13, v10
	v_mad_u32 v15, s5, s2, v15
	v_mad_u32 v17, s17, s2, v17
.LBB379_5:                              ;   Parent Loop BB379_3 Depth=1
                                        ; =>  This Inner Loop Header: Depth=2
	global_load_u16 v22, v[16:17], off
	global_load_u16 v23, v[14:15], off
	s_add_nc_u64 s[18:19], s[18:19], 8
	s_wait_xcnt 0x0
	v_add_nc_u64_e32 v[14:15], s[12:13], v[14:15]
	v_cmp_lt_i64_e64 s24, s[18:19], s[28:29]
	v_add_nc_u64_e32 v[16:17], s[14:15], v[16:17]
	s_and_b32 vcc_lo, exec_lo, s24
	s_wait_loadcnt 0x1
	v_cvt_f32_f16_e32 v22, v22
	s_wait_loadcnt 0x0
	v_cvt_f32_f16_e32 v23, v23
	ds_store_b32 v18, v22
	ds_store_b32 v19, v23
	s_wait_dscnt 0x0
	s_barrier_signal -1
	s_barrier_wait -1
	ds_load_2addr_b32 v[38:39], v20 offset1:16
	ds_load_2addr_b32 v[40:41], v20 offset0:32 offset1:48
	ds_load_b128 v[22:25], v21
	ds_load_2addr_b32 v[42:43], v20 offset0:64 offset1:80
	ds_load_b128 v[26:29], v21 offset:512
	ds_load_2addr_b32 v[44:45], v20 offset0:96 offset1:112
	ds_load_b128 v[30:33], v21 offset:16
	;; [unrolled: 2-line block ×3, first 2 shown]
	ds_load_2addr_b32 v[48:49], v20 offset0:160 offset1:176
	ds_load_2addr_b32 v[50:51], v20 offset0:192 offset1:208
	;; [unrolled: 1-line block ×3, first 2 shown]
	s_wait_dscnt 0x0
	s_barrier_signal -1
	s_barrier_wait -1
	v_dual_mov_b32 v54, v39 :: v_dual_mov_b32 v55, v38
	v_dual_mov_b32 v38, v41 :: v_dual_mov_b32 v39, v40
	;; [unrolled: 1-line block ×3, first 2 shown]
	s_delay_alu instid0(VALU_DEP_3) | instskip(SKIP_3) | instid1(VALU_DEP_4)
	v_pk_fma_f32 v[12:13], v[54:55], v[22:23], v[12:13] op_sel_hi:[1,0,1]
	v_pk_fma_f32 v[10:11], v[54:55], v[26:27], v[10:11] op_sel_hi:[1,0,1]
	v_dual_mov_b32 v42, v45 :: v_dual_mov_b32 v43, v44
	v_mov_b32_e32 v44, v25
	v_pk_fma_f32 v[12:13], v[38:39], v[22:23], v[12:13] op_sel:[0,1,0]
	s_delay_alu instid0(VALU_DEP_4) | instskip(SKIP_2) | instid1(VALU_DEP_4)
	v_pk_fma_f32 v[10:11], v[38:39], v[26:27], v[10:11] op_sel:[0,1,0]
	v_dual_mov_b32 v22, v29 :: v_dual_mov_b32 v26, v53
	v_mov_b32_e32 v27, v52
	v_pk_fma_f32 v[12:13], v[40:41], v[24:25], v[12:13] op_sel_hi:[1,0,1]
	s_delay_alu instid0(VALU_DEP_4) | instskip(SKIP_2) | instid1(VALU_DEP_4)
	v_pk_fma_f32 v[10:11], v[40:41], v[28:29], v[10:11] op_sel_hi:[1,0,1]
	v_dual_mov_b32 v24, v47 :: v_dual_mov_b32 v25, v46
	v_mov_b32_e32 v28, v37
	v_pk_fma_f32 v[12:13], v[42:43], v[44:45], v[12:13] op_sel_hi:[1,0,1]
	s_delay_alu instid0(VALU_DEP_4) | instskip(SKIP_1) | instid1(VALU_DEP_3)
	v_pk_fma_f32 v[10:11], v[42:43], v[22:23], v[10:11] op_sel_hi:[1,0,1]
	v_dual_mov_b32 v22, v49 :: v_dual_mov_b32 v23, v48
	v_pk_fma_f32 v[12:13], v[24:25], v[30:31], v[12:13] op_sel_hi:[1,0,1]
	s_delay_alu instid0(VALU_DEP_3) | instskip(SKIP_1) | instid1(VALU_DEP_3)
	v_pk_fma_f32 v[10:11], v[24:25], v[34:35], v[10:11] op_sel_hi:[1,0,1]
	v_dual_mov_b32 v24, v51 :: v_dual_mov_b32 v25, v50
	v_pk_fma_f32 v[12:13], v[22:23], v[30:31], v[12:13] op_sel:[0,1,0]
	s_delay_alu instid0(VALU_DEP_3) | instskip(SKIP_1) | instid1(VALU_DEP_3)
	v_pk_fma_f32 v[10:11], v[22:23], v[34:35], v[10:11] op_sel:[0,1,0]
	v_mov_b32_e32 v22, v33
	v_pk_fma_f32 v[12:13], v[24:25], v[32:33], v[12:13] op_sel_hi:[1,0,1]
	s_delay_alu instid0(VALU_DEP_3) | instskip(NEXT) | instid1(VALU_DEP_2)
	v_pk_fma_f32 v[10:11], v[24:25], v[36:37], v[10:11] op_sel_hi:[1,0,1]
	v_pk_fma_f32 v[12:13], v[26:27], v[22:23], v[12:13] op_sel_hi:[1,0,1]
	s_delay_alu instid0(VALU_DEP_2)
	v_pk_fma_f32 v[10:11], v[26:27], v[28:29], v[10:11] op_sel_hi:[1,0,1]
	s_cbranch_vccnz .LBB379_5
.LBB379_6:                              ;   in Loop: Header=BB379_3 Depth=1
	s_mul_u64 s[18:19], s[22:23], s[2:3]
	s_and_not1_b32 vcc_lo, exec_lo, s1
	s_lshl_b64 s[18:19], s[18:19], 1
	s_delay_alu instid0(SALU_CYCLE_1) | instskip(NEXT) | instid1(SALU_CYCLE_1)
	s_add_nc_u64 s[18:19], s[10:11], s[18:19]
	v_lshl_add_u64 v[14:15], v[0:1], 1, s[18:19]
	s_delay_alu instid0(VALU_DEP_1)
	v_add_nc_u64_e32 v[16:17], v[14:15], v[6:7]
	v_lshl_add_u64 v[14:15], s[20:21], 1, v[14:15]
	s_cbranch_vccnz .LBB379_8
; %bb.7:                                ;   in Loop: Header=BB379_3 Depth=1
	s_delay_alu instid0(VALU_DEP_1)
	v_add_nc_u64_e32 v[22:23], v[14:15], v[6:7]
	v_fma_mixlo_f16 v24, s30, v13, 0
	v_fma_mixlo_f16 v26, s30, v11, 0
	;; [unrolled: 1-line block ×4, first 2 shown]
	s_clause 0x3
	global_store_b16 v[16:17], v24, off
	global_store_b16 v[16:17], v25, off offset:32
	global_store_b16 v[22:23], v26, off
	global_store_b16 v[22:23], v27, off offset:32
	s_cbranch_execnz .LBB379_2
	s_branch .LBB379_9
.LBB379_8:                              ;   in Loop: Header=BB379_3 Depth=1
.LBB379_9:                              ;   in Loop: Header=BB379_3 Depth=1
	s_mul_u64 s[18:19], s[8:9], s[2:3]
	s_wait_xcnt 0x0
	v_lshl_add_u64 v[22:23], s[18:19], 1, v[2:3]
	s_delay_alu instid0(VALU_DEP_1) | instskip(SKIP_1) | instid1(VALU_DEP_1)
	v_add_nc_u64_e32 v[24:25], v[22:23], v[6:7]
	v_lshl_add_u64 v[22:23], s[6:7], 1, v[22:23]
	v_add_nc_u64_e32 v[22:23], v[22:23], v[6:7]
	global_load_u16 v26, v[24:25], off
	s_wait_loadcnt 0x0
	v_cvt_f32_f16_e32 v26, v26
	s_delay_alu instid0(VALU_DEP_1) | instskip(NEXT) | instid1(VALU_DEP_1)
	v_mul_f32_e32 v26, s33, v26
	v_fma_mixlo_f16 v13, s30, v13, v26
	global_store_b16 v[16:17], v13, off
	global_load_u16 v13, v[24:25], off offset:32
	s_wait_loadcnt 0x0
	v_cvt_f32_f16_e32 v13, v13
	s_delay_alu instid0(VALU_DEP_1) | instskip(NEXT) | instid1(VALU_DEP_1)
	v_mul_f32_e32 v13, s33, v13
	v_fma_mixlo_f16 v12, s30, v12, v13
	global_store_b16 v[16:17], v12, off offset:32
	global_load_u16 v12, v[22:23], off
	s_wait_loadcnt 0x0
	v_cvt_f32_f16_e32 v12, v12
	s_delay_alu instid0(VALU_DEP_1) | instskip(SKIP_1) | instid1(VALU_DEP_2)
	v_mul_f32_e32 v16, s33, v12
	v_add_nc_u64_e32 v[12:13], v[14:15], v[6:7]
	v_fma_mixlo_f16 v11, s30, v11, v16
	global_store_b16 v[12:13], v11, off
	global_load_u16 v11, v[22:23], off offset:32
	s_wait_loadcnt 0x0
	v_cvt_f32_f16_e32 v11, v11
	s_delay_alu instid0(VALU_DEP_1) | instskip(NEXT) | instid1(VALU_DEP_1)
	v_mul_f32_e32 v11, s33, v11
	v_fma_mixlo_f16 v10, s30, v10, v11
	global_store_b16 v[12:13], v10, off offset:32
	s_branch .LBB379_2
.LBB379_10:
	s_endpgm
	.section	.rodata,"a",@progbits
	.p2align	6, 0x0
	.amdhsa_kernel _ZN12_GLOBAL__N_127rocblas_gemm_batched_kernelIfLi16ELi16ELi32ELi32ELi8ELi32ELi8ELi8ELi32ELc78ELc67EKDF16_S1_DF16_EEvlllT_PT11_llS4_llS2_PT12_llPT13_lli
		.amdhsa_group_segment_fixed_size 2048
		.amdhsa_private_segment_fixed_size 0
		.amdhsa_kernarg_size 140
		.amdhsa_user_sgpr_count 2
		.amdhsa_user_sgpr_dispatch_ptr 0
		.amdhsa_user_sgpr_queue_ptr 0
		.amdhsa_user_sgpr_kernarg_segment_ptr 1
		.amdhsa_user_sgpr_dispatch_id 0
		.amdhsa_user_sgpr_kernarg_preload_length 0
		.amdhsa_user_sgpr_kernarg_preload_offset 0
		.amdhsa_user_sgpr_private_segment_size 0
		.amdhsa_wavefront_size32 1
		.amdhsa_uses_dynamic_stack 0
		.amdhsa_enable_private_segment 0
		.amdhsa_system_sgpr_workgroup_id_x 1
		.amdhsa_system_sgpr_workgroup_id_y 1
		.amdhsa_system_sgpr_workgroup_id_z 1
		.amdhsa_system_sgpr_workgroup_info 0
		.amdhsa_system_vgpr_workitem_id 1
		.amdhsa_next_free_vgpr 56
		.amdhsa_next_free_sgpr 38
		.amdhsa_named_barrier_count 0
		.amdhsa_reserve_vcc 1
		.amdhsa_float_round_mode_32 0
		.amdhsa_float_round_mode_16_64 0
		.amdhsa_float_denorm_mode_32 3
		.amdhsa_float_denorm_mode_16_64 3
		.amdhsa_fp16_overflow 0
		.amdhsa_memory_ordered 1
		.amdhsa_forward_progress 1
		.amdhsa_inst_pref_size 12
		.amdhsa_round_robin_scheduling 0
		.amdhsa_exception_fp_ieee_invalid_op 0
		.amdhsa_exception_fp_denorm_src 0
		.amdhsa_exception_fp_ieee_div_zero 0
		.amdhsa_exception_fp_ieee_overflow 0
		.amdhsa_exception_fp_ieee_underflow 0
		.amdhsa_exception_fp_ieee_inexact 0
		.amdhsa_exception_int_div_zero 0
	.end_amdhsa_kernel
	.section	.text._ZN12_GLOBAL__N_127rocblas_gemm_batched_kernelIfLi16ELi16ELi32ELi32ELi8ELi32ELi8ELi8ELi32ELc78ELc67EKDF16_S1_DF16_EEvlllT_PT11_llS4_llS2_PT12_llPT13_lli,"axG",@progbits,_ZN12_GLOBAL__N_127rocblas_gemm_batched_kernelIfLi16ELi16ELi32ELi32ELi8ELi32ELi8ELi8ELi32ELc78ELc67EKDF16_S1_DF16_EEvlllT_PT11_llS4_llS2_PT12_llPT13_lli,comdat
.Lfunc_end379:
	.size	_ZN12_GLOBAL__N_127rocblas_gemm_batched_kernelIfLi16ELi16ELi32ELi32ELi8ELi32ELi8ELi8ELi32ELc78ELc67EKDF16_S1_DF16_EEvlllT_PT11_llS4_llS2_PT12_llPT13_lli, .Lfunc_end379-_ZN12_GLOBAL__N_127rocblas_gemm_batched_kernelIfLi16ELi16ELi32ELi32ELi8ELi32ELi8ELi8ELi32ELc78ELc67EKDF16_S1_DF16_EEvlllT_PT11_llS4_llS2_PT12_llPT13_lli
                                        ; -- End function
	.set _ZN12_GLOBAL__N_127rocblas_gemm_batched_kernelIfLi16ELi16ELi32ELi32ELi8ELi32ELi8ELi8ELi32ELc78ELc67EKDF16_S1_DF16_EEvlllT_PT11_llS4_llS2_PT12_llPT13_lli.num_vgpr, 56
	.set _ZN12_GLOBAL__N_127rocblas_gemm_batched_kernelIfLi16ELi16ELi32ELi32ELi8ELi32ELi8ELi8ELi32ELc78ELc67EKDF16_S1_DF16_EEvlllT_PT11_llS4_llS2_PT12_llPT13_lli.num_agpr, 0
	.set _ZN12_GLOBAL__N_127rocblas_gemm_batched_kernelIfLi16ELi16ELi32ELi32ELi8ELi32ELi8ELi8ELi32ELc78ELc67EKDF16_S1_DF16_EEvlllT_PT11_llS4_llS2_PT12_llPT13_lli.numbered_sgpr, 38
	.set _ZN12_GLOBAL__N_127rocblas_gemm_batched_kernelIfLi16ELi16ELi32ELi32ELi8ELi32ELi8ELi8ELi32ELc78ELc67EKDF16_S1_DF16_EEvlllT_PT11_llS4_llS2_PT12_llPT13_lli.num_named_barrier, 0
	.set _ZN12_GLOBAL__N_127rocblas_gemm_batched_kernelIfLi16ELi16ELi32ELi32ELi8ELi32ELi8ELi8ELi32ELc78ELc67EKDF16_S1_DF16_EEvlllT_PT11_llS4_llS2_PT12_llPT13_lli.private_seg_size, 0
	.set _ZN12_GLOBAL__N_127rocblas_gemm_batched_kernelIfLi16ELi16ELi32ELi32ELi8ELi32ELi8ELi8ELi32ELc78ELc67EKDF16_S1_DF16_EEvlllT_PT11_llS4_llS2_PT12_llPT13_lli.uses_vcc, 1
	.set _ZN12_GLOBAL__N_127rocblas_gemm_batched_kernelIfLi16ELi16ELi32ELi32ELi8ELi32ELi8ELi8ELi32ELc78ELc67EKDF16_S1_DF16_EEvlllT_PT11_llS4_llS2_PT12_llPT13_lli.uses_flat_scratch, 0
	.set _ZN12_GLOBAL__N_127rocblas_gemm_batched_kernelIfLi16ELi16ELi32ELi32ELi8ELi32ELi8ELi8ELi32ELc78ELc67EKDF16_S1_DF16_EEvlllT_PT11_llS4_llS2_PT12_llPT13_lli.has_dyn_sized_stack, 0
	.set _ZN12_GLOBAL__N_127rocblas_gemm_batched_kernelIfLi16ELi16ELi32ELi32ELi8ELi32ELi8ELi8ELi32ELc78ELc67EKDF16_S1_DF16_EEvlllT_PT11_llS4_llS2_PT12_llPT13_lli.has_recursion, 0
	.set _ZN12_GLOBAL__N_127rocblas_gemm_batched_kernelIfLi16ELi16ELi32ELi32ELi8ELi32ELi8ELi8ELi32ELc78ELc67EKDF16_S1_DF16_EEvlllT_PT11_llS4_llS2_PT12_llPT13_lli.has_indirect_call, 0
	.section	.AMDGPU.csdata,"",@progbits
; Kernel info:
; codeLenInByte = 1428
; TotalNumSgprs: 40
; NumVgprs: 56
; ScratchSize: 0
; MemoryBound: 0
; FloatMode: 240
; IeeeMode: 1
; LDSByteSize: 2048 bytes/workgroup (compile time only)
; SGPRBlocks: 0
; VGPRBlocks: 3
; NumSGPRsForWavesPerEU: 40
; NumVGPRsForWavesPerEU: 56
; NamedBarCnt: 0
; Occupancy: 16
; WaveLimiterHint : 0
; COMPUTE_PGM_RSRC2:SCRATCH_EN: 0
; COMPUTE_PGM_RSRC2:USER_SGPR: 2
; COMPUTE_PGM_RSRC2:TRAP_HANDLER: 0
; COMPUTE_PGM_RSRC2:TGID_X_EN: 1
; COMPUTE_PGM_RSRC2:TGID_Y_EN: 1
; COMPUTE_PGM_RSRC2:TGID_Z_EN: 1
; COMPUTE_PGM_RSRC2:TIDIG_COMP_CNT: 1
	.section	.text._ZN12_GLOBAL__N_127rocblas_gemm_batched_kernelIfLi16ELi16ELi32ELi32ELi8ELi32ELi8ELi8ELi32ELc84ELc67EKDF16_S1_DF16_EEvlllT_PT11_llS4_llS2_PT12_llPT13_lli,"axG",@progbits,_ZN12_GLOBAL__N_127rocblas_gemm_batched_kernelIfLi16ELi16ELi32ELi32ELi8ELi32ELi8ELi8ELi32ELc84ELc67EKDF16_S1_DF16_EEvlllT_PT11_llS4_llS2_PT12_llPT13_lli,comdat
	.globl	_ZN12_GLOBAL__N_127rocblas_gemm_batched_kernelIfLi16ELi16ELi32ELi32ELi8ELi32ELi8ELi8ELi32ELc84ELc67EKDF16_S1_DF16_EEvlllT_PT11_llS4_llS2_PT12_llPT13_lli ; -- Begin function _ZN12_GLOBAL__N_127rocblas_gemm_batched_kernelIfLi16ELi16ELi32ELi32ELi8ELi32ELi8ELi8ELi32ELc84ELc67EKDF16_S1_DF16_EEvlllT_PT11_llS4_llS2_PT12_llPT13_lli
	.p2align	8
	.type	_ZN12_GLOBAL__N_127rocblas_gemm_batched_kernelIfLi16ELi16ELi32ELi32ELi8ELi32ELi8ELi8ELi32ELc84ELc67EKDF16_S1_DF16_EEvlllT_PT11_llS4_llS2_PT12_llPT13_lli,@function
_ZN12_GLOBAL__N_127rocblas_gemm_batched_kernelIfLi16ELi16ELi32ELi32ELi8ELi32ELi8ELi8ELi32ELc84ELc67EKDF16_S1_DF16_EEvlllT_PT11_llS4_llS2_PT12_llPT13_lli: ; @_ZN12_GLOBAL__N_127rocblas_gemm_batched_kernelIfLi16ELi16ELi32ELi32ELi8ELi32ELi8ELi8ELi32ELc84ELc67EKDF16_S1_DF16_EEvlllT_PT11_llS4_llS2_PT12_llPT13_lli
; %bb.0:
	s_load_b32 s31, s[0:1], 0x88
	s_bfe_u32 s2, ttmp6, 0x40014
	s_lshr_b32 s3, ttmp7, 16
	s_add_co_i32 s2, s2, 1
	s_bfe_u32 s4, ttmp6, 0x40008
	s_mul_i32 s2, s3, s2
	s_getreg_b32 s28, hwreg(HW_REG_IB_STS2, 6, 4)
	s_add_co_i32 s4, s4, s2
	s_cmp_eq_u32 s28, 0
	s_cselect_b32 s2, s3, s4
	s_mov_b32 s3, 0
	s_wait_kmcnt 0x0
	s_cmp_ge_i32 s2, s31
	s_cbranch_scc1 .LBB380_10
; %bb.1:
	v_bfe_u32 v2, v0, 10, 10
	v_and_b32_e32 v4, 0x3ff, v0
	s_bfe_u32 s29, ttmp6, 0x4000c
	s_bfe_u32 s33, ttmp6, 0x40010
	s_add_co_i32 s29, s29, 1
	s_and_b32 s34, ttmp7, 0xffff
	s_add_co_i32 s33, s33, 1
	s_clause 0x3
	s_load_b256 s[12:19], s[0:1], 0x20
	s_load_b128 s[24:27], s[0:1], 0x40
	s_load_b128 s[20:23], s[0:1], 0x78
	s_load_b256 s[4:11], s[0:1], 0x58
	s_and_b32 s30, ttmp6, 15
	s_mul_i32 s29, ttmp9, s29
	s_mul_i32 s33, s34, s33
	s_bfe_u32 s35, ttmp6, 0x40004
	v_lshl_add_u32 v5, v2, 4, v4
	s_add_co_i32 s30, s30, s29
	s_add_co_i32 s35, s35, s33
	s_cmp_eq_u32 s28, 0
	s_delay_alu instid0(VALU_DEP_1)
	v_dual_mov_b32 v3, 0 :: v_dual_bitop2_b32 v16, 31, v5 bitop3:0x40
	s_cselect_b32 s28, ttmp9, s30
	s_cselect_b32 s30, s34, s35
	s_ashr_i32 s29, s28, 31
	s_lshl_b32 s36, s30, 5
	s_lshl_b64 s[34:35], s[28:29], 5
	s_mov_b32 s37, s3
	v_dual_mov_b32 v7, s35 :: v_dual_bitop2_b32 v6, s34, v16 bitop3:0x54
	v_add_nc_u64_e32 v[8:9], s[36:37], v[2:3]
	v_dual_lshrrev_b32 v10, 3, v5 :: v_dual_bitop2_b32 v17, 7, v0 bitop3:0x40
	v_mov_b32_e32 v11, v3
	s_wait_kmcnt 0x0
	v_mul_u64_e32 v[6:7], s[14:15], v[6:7]
	s_clause 0x1
	s_load_b32 s33, s[0:1], 0x50
	s_load_b96 s[28:30], s[0:1], 0x10
	v_mul_u64_e32 v[12:13], s[6:7], v[8:9]
	v_mul_u64_e32 v[0:1], s[20:21], v[8:9]
	v_lshrrev_b32_e32 v8, 5, v5
	v_mad_nc_u64_u32 v[14:15], s24, v17, v[10:11]
	v_dual_lshlrev_b32 v11, 2, v17 :: v_dual_lshlrev_b32 v9, 2, v16
	v_dual_mov_b32 v5, v3 :: v_dual_lshlrev_b32 v20, 2, v4
	v_lshl_add_u32 v21, v2, 5, 0x400
	s_delay_alu instid0(VALU_DEP_3)
	v_lshl_or_b32 v10, v10, 5, v11
	v_lshlrev_b32_e32 v2, 1, v8
	v_lshl_or_b32 v18, v8, 7, v9
	v_add_nc_u64_e32 v[8:9], s[34:35], v[4:5]
	v_mad_u32 v15, s25, v17, v15
	v_add_nc_u32_e32 v19, 0x400, v10
	s_wait_kmcnt 0x0
	s_cmp_eq_f32 s33, 0
	v_cmp_gt_i64_e64 s0, s[28:29], 0
	s_cselect_b32 s1, -1, 0
	s_lshl_b64 s[14:15], s[20:21], 4
	s_lshl_b64 s[6:7], s[6:7], 4
	v_add_nc_u64_e32 v[10:11], s[36:37], v[14:15]
	v_cndmask_b32_e64 v14, 0, 1, s0
	s_lshl_b64 s[16:17], s[16:17], 1
	v_lshl_add_u64 v[4:5], v[6:7], 1, v[2:3]
	v_lshlrev_b64_e32 v[6:7], 1, v[8:9]
	s_delay_alu instid0(VALU_DEP_3)
	v_cmp_ne_u32_e64 s0, 1, v14
	v_lshl_add_u64 v[2:3], v[12:13], 1, s[4:5]
	v_lshl_add_u64 v[8:9], v[10:11], 1, s[18:19]
	v_add_nc_u64_e32 v[4:5], s[12:13], v[4:5]
	s_lshl_b64 s[4:5], s[26:27], 1
	s_lshl_b64 s[12:13], s[24:25], 4
	s_branch .LBB380_3
.LBB380_2:                              ;   in Loop: Header=BB380_3 Depth=1
	s_add_co_i32 s2, s2, 0x10000
	s_delay_alu instid0(SALU_CYCLE_1)
	s_cmp_lt_i32 s2, s31
	s_cbranch_scc0 .LBB380_10
.LBB380_3:                              ; =>This Loop Header: Depth=1
                                        ;     Child Loop BB380_5 Depth 2
	s_wait_xcnt 0x0
	v_dual_mov_b32 v13, 0 :: v_dual_mov_b32 v12, 0
	v_dual_mov_b32 v11, 0 :: v_dual_mov_b32 v10, 0
	s_and_b32 vcc_lo, exec_lo, s0
	s_cbranch_vccnz .LBB380_6
; %bb.4:                                ;   in Loop: Header=BB380_3 Depth=1
	v_mad_nc_u64_u32 v[14:15], s4, s2, v[8:9]
	v_mad_nc_u64_u32 v[16:17], s16, s2, v[4:5]
	v_mov_b32_e32 v10, 0
	s_mov_b64 s[18:19], 0
	s_delay_alu instid0(VALU_DEP_1)
	v_dual_mov_b32 v11, v10 :: v_dual_mov_b32 v12, v10
	v_mov_b32_e32 v13, v10
	v_mad_u32 v15, s5, s2, v15
	v_mad_u32 v17, s17, s2, v17
.LBB380_5:                              ;   Parent Loop BB380_3 Depth=1
                                        ; =>  This Inner Loop Header: Depth=2
	global_load_u16 v22, v[16:17], off
	global_load_u16 v23, v[14:15], off
	s_add_nc_u64 s[18:19], s[18:19], 8
	s_wait_xcnt 0x0
	v_add_nc_u64_e32 v[14:15], s[12:13], v[14:15]
	v_cmp_lt_i64_e64 s20, s[18:19], s[28:29]
	v_add_nc_u64_e32 v[16:17], 16, v[16:17]
	s_and_b32 vcc_lo, exec_lo, s20
	s_wait_loadcnt 0x1
	v_cvt_f32_f16_e32 v22, v22
	s_wait_loadcnt 0x0
	v_cvt_f32_f16_e32 v23, v23
	ds_store_b32 v18, v22
	ds_store_b32 v19, v23
	s_wait_dscnt 0x0
	s_barrier_signal -1
	s_barrier_wait -1
	ds_load_2addr_b32 v[38:39], v20 offset1:16
	ds_load_2addr_b32 v[40:41], v20 offset0:32 offset1:48
	ds_load_b128 v[22:25], v21
	ds_load_2addr_b32 v[42:43], v20 offset0:64 offset1:80
	ds_load_b128 v[26:29], v21 offset:512
	ds_load_2addr_b32 v[44:45], v20 offset0:96 offset1:112
	ds_load_b128 v[30:33], v21 offset:16
	;; [unrolled: 2-line block ×3, first 2 shown]
	ds_load_2addr_b32 v[48:49], v20 offset0:160 offset1:176
	ds_load_2addr_b32 v[50:51], v20 offset0:192 offset1:208
	;; [unrolled: 1-line block ×3, first 2 shown]
	s_wait_dscnt 0x0
	s_barrier_signal -1
	s_barrier_wait -1
	v_dual_mov_b32 v54, v39 :: v_dual_mov_b32 v55, v38
	v_dual_mov_b32 v38, v41 :: v_dual_mov_b32 v39, v40
	;; [unrolled: 1-line block ×3, first 2 shown]
	s_delay_alu instid0(VALU_DEP_3) | instskip(SKIP_3) | instid1(VALU_DEP_4)
	v_pk_fma_f32 v[12:13], v[54:55], v[22:23], v[12:13] op_sel_hi:[1,0,1]
	v_pk_fma_f32 v[10:11], v[54:55], v[26:27], v[10:11] op_sel_hi:[1,0,1]
	v_dual_mov_b32 v42, v45 :: v_dual_mov_b32 v43, v44
	v_mov_b32_e32 v44, v25
	v_pk_fma_f32 v[12:13], v[38:39], v[22:23], v[12:13] op_sel:[0,1,0]
	s_delay_alu instid0(VALU_DEP_4) | instskip(SKIP_2) | instid1(VALU_DEP_4)
	v_pk_fma_f32 v[10:11], v[38:39], v[26:27], v[10:11] op_sel:[0,1,0]
	v_dual_mov_b32 v22, v29 :: v_dual_mov_b32 v26, v53
	v_mov_b32_e32 v27, v52
	v_pk_fma_f32 v[12:13], v[40:41], v[24:25], v[12:13] op_sel_hi:[1,0,1]
	s_delay_alu instid0(VALU_DEP_4) | instskip(SKIP_2) | instid1(VALU_DEP_4)
	v_pk_fma_f32 v[10:11], v[40:41], v[28:29], v[10:11] op_sel_hi:[1,0,1]
	v_dual_mov_b32 v24, v47 :: v_dual_mov_b32 v25, v46
	v_mov_b32_e32 v28, v37
	v_pk_fma_f32 v[12:13], v[42:43], v[44:45], v[12:13] op_sel_hi:[1,0,1]
	s_delay_alu instid0(VALU_DEP_4) | instskip(SKIP_1) | instid1(VALU_DEP_3)
	v_pk_fma_f32 v[10:11], v[42:43], v[22:23], v[10:11] op_sel_hi:[1,0,1]
	v_dual_mov_b32 v22, v49 :: v_dual_mov_b32 v23, v48
	v_pk_fma_f32 v[12:13], v[24:25], v[30:31], v[12:13] op_sel_hi:[1,0,1]
	s_delay_alu instid0(VALU_DEP_3) | instskip(SKIP_1) | instid1(VALU_DEP_3)
	v_pk_fma_f32 v[10:11], v[24:25], v[34:35], v[10:11] op_sel_hi:[1,0,1]
	v_dual_mov_b32 v24, v51 :: v_dual_mov_b32 v25, v50
	v_pk_fma_f32 v[12:13], v[22:23], v[30:31], v[12:13] op_sel:[0,1,0]
	s_delay_alu instid0(VALU_DEP_3) | instskip(SKIP_1) | instid1(VALU_DEP_3)
	v_pk_fma_f32 v[10:11], v[22:23], v[34:35], v[10:11] op_sel:[0,1,0]
	v_mov_b32_e32 v22, v33
	v_pk_fma_f32 v[12:13], v[24:25], v[32:33], v[12:13] op_sel_hi:[1,0,1]
	s_delay_alu instid0(VALU_DEP_3) | instskip(NEXT) | instid1(VALU_DEP_2)
	v_pk_fma_f32 v[10:11], v[24:25], v[36:37], v[10:11] op_sel_hi:[1,0,1]
	v_pk_fma_f32 v[12:13], v[26:27], v[22:23], v[12:13] op_sel_hi:[1,0,1]
	s_delay_alu instid0(VALU_DEP_2)
	v_pk_fma_f32 v[10:11], v[26:27], v[28:29], v[10:11] op_sel_hi:[1,0,1]
	s_cbranch_vccnz .LBB380_5
.LBB380_6:                              ;   in Loop: Header=BB380_3 Depth=1
	s_mul_u64 s[18:19], s[22:23], s[2:3]
	s_and_not1_b32 vcc_lo, exec_lo, s1
	s_lshl_b64 s[18:19], s[18:19], 1
	s_delay_alu instid0(SALU_CYCLE_1) | instskip(NEXT) | instid1(SALU_CYCLE_1)
	s_add_nc_u64 s[18:19], s[10:11], s[18:19]
	v_lshl_add_u64 v[14:15], v[0:1], 1, s[18:19]
	s_delay_alu instid0(VALU_DEP_1)
	v_add_nc_u64_e32 v[16:17], v[14:15], v[6:7]
	v_lshl_add_u64 v[14:15], s[14:15], 1, v[14:15]
	s_cbranch_vccnz .LBB380_8
; %bb.7:                                ;   in Loop: Header=BB380_3 Depth=1
	s_delay_alu instid0(VALU_DEP_1)
	v_add_nc_u64_e32 v[22:23], v[14:15], v[6:7]
	v_fma_mixlo_f16 v24, s30, v13, 0
	v_fma_mixlo_f16 v26, s30, v11, 0
	;; [unrolled: 1-line block ×4, first 2 shown]
	s_clause 0x3
	global_store_b16 v[16:17], v24, off
	global_store_b16 v[16:17], v25, off offset:32
	global_store_b16 v[22:23], v26, off
	global_store_b16 v[22:23], v27, off offset:32
	s_cbranch_execnz .LBB380_2
	s_branch .LBB380_9
.LBB380_8:                              ;   in Loop: Header=BB380_3 Depth=1
.LBB380_9:                              ;   in Loop: Header=BB380_3 Depth=1
	s_mul_u64 s[18:19], s[8:9], s[2:3]
	s_wait_xcnt 0x0
	v_lshl_add_u64 v[22:23], s[18:19], 1, v[2:3]
	s_delay_alu instid0(VALU_DEP_1) | instskip(SKIP_1) | instid1(VALU_DEP_1)
	v_add_nc_u64_e32 v[24:25], v[22:23], v[6:7]
	v_lshl_add_u64 v[22:23], s[6:7], 1, v[22:23]
	v_add_nc_u64_e32 v[22:23], v[22:23], v[6:7]
	global_load_u16 v26, v[24:25], off
	s_wait_loadcnt 0x0
	v_cvt_f32_f16_e32 v26, v26
	s_delay_alu instid0(VALU_DEP_1) | instskip(NEXT) | instid1(VALU_DEP_1)
	v_mul_f32_e32 v26, s33, v26
	v_fma_mixlo_f16 v13, s30, v13, v26
	global_store_b16 v[16:17], v13, off
	global_load_u16 v13, v[24:25], off offset:32
	s_wait_loadcnt 0x0
	v_cvt_f32_f16_e32 v13, v13
	s_delay_alu instid0(VALU_DEP_1) | instskip(NEXT) | instid1(VALU_DEP_1)
	v_mul_f32_e32 v13, s33, v13
	v_fma_mixlo_f16 v12, s30, v12, v13
	global_store_b16 v[16:17], v12, off offset:32
	global_load_u16 v12, v[22:23], off
	s_wait_loadcnt 0x0
	v_cvt_f32_f16_e32 v12, v12
	s_delay_alu instid0(VALU_DEP_1) | instskip(SKIP_1) | instid1(VALU_DEP_2)
	v_mul_f32_e32 v16, s33, v12
	v_add_nc_u64_e32 v[12:13], v[14:15], v[6:7]
	v_fma_mixlo_f16 v11, s30, v11, v16
	global_store_b16 v[12:13], v11, off
	global_load_u16 v11, v[22:23], off offset:32
	s_wait_loadcnt 0x0
	v_cvt_f32_f16_e32 v11, v11
	s_delay_alu instid0(VALU_DEP_1) | instskip(NEXT) | instid1(VALU_DEP_1)
	v_mul_f32_e32 v11, s33, v11
	v_fma_mixlo_f16 v10, s30, v10, v11
	global_store_b16 v[12:13], v10, off offset:32
	s_branch .LBB380_2
.LBB380_10:
	s_endpgm
	.section	.rodata,"a",@progbits
	.p2align	6, 0x0
	.amdhsa_kernel _ZN12_GLOBAL__N_127rocblas_gemm_batched_kernelIfLi16ELi16ELi32ELi32ELi8ELi32ELi8ELi8ELi32ELc84ELc67EKDF16_S1_DF16_EEvlllT_PT11_llS4_llS2_PT12_llPT13_lli
		.amdhsa_group_segment_fixed_size 2048
		.amdhsa_private_segment_fixed_size 0
		.amdhsa_kernarg_size 140
		.amdhsa_user_sgpr_count 2
		.amdhsa_user_sgpr_dispatch_ptr 0
		.amdhsa_user_sgpr_queue_ptr 0
		.amdhsa_user_sgpr_kernarg_segment_ptr 1
		.amdhsa_user_sgpr_dispatch_id 0
		.amdhsa_user_sgpr_kernarg_preload_length 0
		.amdhsa_user_sgpr_kernarg_preload_offset 0
		.amdhsa_user_sgpr_private_segment_size 0
		.amdhsa_wavefront_size32 1
		.amdhsa_uses_dynamic_stack 0
		.amdhsa_enable_private_segment 0
		.amdhsa_system_sgpr_workgroup_id_x 1
		.amdhsa_system_sgpr_workgroup_id_y 1
		.amdhsa_system_sgpr_workgroup_id_z 1
		.amdhsa_system_sgpr_workgroup_info 0
		.amdhsa_system_vgpr_workitem_id 1
		.amdhsa_next_free_vgpr 56
		.amdhsa_next_free_sgpr 38
		.amdhsa_named_barrier_count 0
		.amdhsa_reserve_vcc 1
		.amdhsa_float_round_mode_32 0
		.amdhsa_float_round_mode_16_64 0
		.amdhsa_float_denorm_mode_32 3
		.amdhsa_float_denorm_mode_16_64 3
		.amdhsa_fp16_overflow 0
		.amdhsa_memory_ordered 1
		.amdhsa_forward_progress 1
		.amdhsa_inst_pref_size 12
		.amdhsa_round_robin_scheduling 0
		.amdhsa_exception_fp_ieee_invalid_op 0
		.amdhsa_exception_fp_denorm_src 0
		.amdhsa_exception_fp_ieee_div_zero 0
		.amdhsa_exception_fp_ieee_overflow 0
		.amdhsa_exception_fp_ieee_underflow 0
		.amdhsa_exception_fp_ieee_inexact 0
		.amdhsa_exception_int_div_zero 0
	.end_amdhsa_kernel
	.section	.text._ZN12_GLOBAL__N_127rocblas_gemm_batched_kernelIfLi16ELi16ELi32ELi32ELi8ELi32ELi8ELi8ELi32ELc84ELc67EKDF16_S1_DF16_EEvlllT_PT11_llS4_llS2_PT12_llPT13_lli,"axG",@progbits,_ZN12_GLOBAL__N_127rocblas_gemm_batched_kernelIfLi16ELi16ELi32ELi32ELi8ELi32ELi8ELi8ELi32ELc84ELc67EKDF16_S1_DF16_EEvlllT_PT11_llS4_llS2_PT12_llPT13_lli,comdat
.Lfunc_end380:
	.size	_ZN12_GLOBAL__N_127rocblas_gemm_batched_kernelIfLi16ELi16ELi32ELi32ELi8ELi32ELi8ELi8ELi32ELc84ELc67EKDF16_S1_DF16_EEvlllT_PT11_llS4_llS2_PT12_llPT13_lli, .Lfunc_end380-_ZN12_GLOBAL__N_127rocblas_gemm_batched_kernelIfLi16ELi16ELi32ELi32ELi8ELi32ELi8ELi8ELi32ELc84ELc67EKDF16_S1_DF16_EEvlllT_PT11_llS4_llS2_PT12_llPT13_lli
                                        ; -- End function
	.set _ZN12_GLOBAL__N_127rocblas_gemm_batched_kernelIfLi16ELi16ELi32ELi32ELi8ELi32ELi8ELi8ELi32ELc84ELc67EKDF16_S1_DF16_EEvlllT_PT11_llS4_llS2_PT12_llPT13_lli.num_vgpr, 56
	.set _ZN12_GLOBAL__N_127rocblas_gemm_batched_kernelIfLi16ELi16ELi32ELi32ELi8ELi32ELi8ELi8ELi32ELc84ELc67EKDF16_S1_DF16_EEvlllT_PT11_llS4_llS2_PT12_llPT13_lli.num_agpr, 0
	.set _ZN12_GLOBAL__N_127rocblas_gemm_batched_kernelIfLi16ELi16ELi32ELi32ELi8ELi32ELi8ELi8ELi32ELc84ELc67EKDF16_S1_DF16_EEvlllT_PT11_llS4_llS2_PT12_llPT13_lli.numbered_sgpr, 38
	.set _ZN12_GLOBAL__N_127rocblas_gemm_batched_kernelIfLi16ELi16ELi32ELi32ELi8ELi32ELi8ELi8ELi32ELc84ELc67EKDF16_S1_DF16_EEvlllT_PT11_llS4_llS2_PT12_llPT13_lli.num_named_barrier, 0
	.set _ZN12_GLOBAL__N_127rocblas_gemm_batched_kernelIfLi16ELi16ELi32ELi32ELi8ELi32ELi8ELi8ELi32ELc84ELc67EKDF16_S1_DF16_EEvlllT_PT11_llS4_llS2_PT12_llPT13_lli.private_seg_size, 0
	.set _ZN12_GLOBAL__N_127rocblas_gemm_batched_kernelIfLi16ELi16ELi32ELi32ELi8ELi32ELi8ELi8ELi32ELc84ELc67EKDF16_S1_DF16_EEvlllT_PT11_llS4_llS2_PT12_llPT13_lli.uses_vcc, 1
	.set _ZN12_GLOBAL__N_127rocblas_gemm_batched_kernelIfLi16ELi16ELi32ELi32ELi8ELi32ELi8ELi8ELi32ELc84ELc67EKDF16_S1_DF16_EEvlllT_PT11_llS4_llS2_PT12_llPT13_lli.uses_flat_scratch, 0
	.set _ZN12_GLOBAL__N_127rocblas_gemm_batched_kernelIfLi16ELi16ELi32ELi32ELi8ELi32ELi8ELi8ELi32ELc84ELc67EKDF16_S1_DF16_EEvlllT_PT11_llS4_llS2_PT12_llPT13_lli.has_dyn_sized_stack, 0
	.set _ZN12_GLOBAL__N_127rocblas_gemm_batched_kernelIfLi16ELi16ELi32ELi32ELi8ELi32ELi8ELi8ELi32ELc84ELc67EKDF16_S1_DF16_EEvlllT_PT11_llS4_llS2_PT12_llPT13_lli.has_recursion, 0
	.set _ZN12_GLOBAL__N_127rocblas_gemm_batched_kernelIfLi16ELi16ELi32ELi32ELi8ELi32ELi8ELi8ELi32ELc84ELc67EKDF16_S1_DF16_EEvlllT_PT11_llS4_llS2_PT12_llPT13_lli.has_indirect_call, 0
	.section	.AMDGPU.csdata,"",@progbits
; Kernel info:
; codeLenInByte = 1432
; TotalNumSgprs: 40
; NumVgprs: 56
; ScratchSize: 0
; MemoryBound: 0
; FloatMode: 240
; IeeeMode: 1
; LDSByteSize: 2048 bytes/workgroup (compile time only)
; SGPRBlocks: 0
; VGPRBlocks: 3
; NumSGPRsForWavesPerEU: 40
; NumVGPRsForWavesPerEU: 56
; NamedBarCnt: 0
; Occupancy: 16
; WaveLimiterHint : 0
; COMPUTE_PGM_RSRC2:SCRATCH_EN: 0
; COMPUTE_PGM_RSRC2:USER_SGPR: 2
; COMPUTE_PGM_RSRC2:TRAP_HANDLER: 0
; COMPUTE_PGM_RSRC2:TGID_X_EN: 1
; COMPUTE_PGM_RSRC2:TGID_Y_EN: 1
; COMPUTE_PGM_RSRC2:TGID_Z_EN: 1
; COMPUTE_PGM_RSRC2:TIDIG_COMP_CNT: 1
	.section	.text._ZN12_GLOBAL__N_135rocblas_gemm_batched_general_kernelIfLi16ELi16ELi32ELi32ELi8ELi32ELi8ELi8ELi32ELc78ELc78EKDF16_S1_DF16_EEvlllT_PT11_llS4_llS2_PT12_llPT13_lli,"axG",@progbits,_ZN12_GLOBAL__N_135rocblas_gemm_batched_general_kernelIfLi16ELi16ELi32ELi32ELi8ELi32ELi8ELi8ELi32ELc78ELc78EKDF16_S1_DF16_EEvlllT_PT11_llS4_llS2_PT12_llPT13_lli,comdat
	.globl	_ZN12_GLOBAL__N_135rocblas_gemm_batched_general_kernelIfLi16ELi16ELi32ELi32ELi8ELi32ELi8ELi8ELi32ELc78ELc78EKDF16_S1_DF16_EEvlllT_PT11_llS4_llS2_PT12_llPT13_lli ; -- Begin function _ZN12_GLOBAL__N_135rocblas_gemm_batched_general_kernelIfLi16ELi16ELi32ELi32ELi8ELi32ELi8ELi8ELi32ELc78ELc78EKDF16_S1_DF16_EEvlllT_PT11_llS4_llS2_PT12_llPT13_lli
	.p2align	8
	.type	_ZN12_GLOBAL__N_135rocblas_gemm_batched_general_kernelIfLi16ELi16ELi32ELi32ELi8ELi32ELi8ELi8ELi32ELc78ELc78EKDF16_S1_DF16_EEvlllT_PT11_llS4_llS2_PT12_llPT13_lli,@function
_ZN12_GLOBAL__N_135rocblas_gemm_batched_general_kernelIfLi16ELi16ELi32ELi32ELi8ELi32ELi8ELi8ELi32ELc78ELc78EKDF16_S1_DF16_EEvlllT_PT11_llS4_llS2_PT12_llPT13_lli: ; @_ZN12_GLOBAL__N_135rocblas_gemm_batched_general_kernelIfLi16ELi16ELi32ELi32ELi8ELi32ELi8ELi8ELi32ELc78ELc78EKDF16_S1_DF16_EEvlllT_PT11_llS4_llS2_PT12_llPT13_lli
; %bb.0:
	s_load_b32 s33, s[0:1], 0x88
	s_bfe_u32 s2, ttmp6, 0x40014
	s_lshr_b32 s3, ttmp7, 16
	s_add_co_i32 s2, s2, 1
	s_bfe_u32 s5, ttmp6, 0x40008
	s_mul_i32 s4, s3, s2
	s_getreg_b32 s2, hwreg(HW_REG_IB_STS2, 6, 4)
	s_add_co_i32 s5, s5, s4
	s_cmp_eq_u32 s2, 0
	s_mov_b32 s35, 0
	s_cselect_b32 s34, s3, s5
	s_wait_kmcnt 0x0
	s_cmp_ge_i32 s34, s33
	s_cbranch_scc1 .LBB381_34
; %bb.1:
	v_bfe_u32 v8, v0, 10, 10
	v_and_b32_e32 v10, 0x3ff, v0
	s_clause 0x1
	s_load_b256 s[16:23], s[0:1], 0x20
	s_load_b128 s[4:7], s[0:1], 0x40
	s_bfe_u32 s8, ttmp6, 0x4000c
	s_bfe_u32 s9, ttmp6, 0x40010
	s_add_co_i32 s8, s8, 1
	s_and_b32 s10, ttmp7, 0xffff
	s_add_co_i32 s9, s9, 1
	v_lshl_add_u32 v1, v8, 4, v10
	v_mov_b32_e32 v9, 0
	s_and_b32 s3, ttmp6, 15
	s_mul_i32 s8, ttmp9, s8
	s_mul_i32 s9, s10, s9
	s_bfe_u32 s11, ttmp6, 0x40004
	s_add_co_i32 s3, s3, s8
	s_add_co_i32 s11, s11, s9
	s_cmp_eq_u32 s2, 0
	v_dual_mov_b32 v5, v9 :: v_dual_lshrrev_b32 v4, 3, v1
	v_lshrrev_b32_e32 v2, 5, v1
	s_cselect_b32 s8, s10, s11
	s_cselect_b32 s2, ttmp9, s3
	s_lshl_b32 s36, s8, 5
	s_mov_b32 s37, s35
	s_load_b256 s[8:15], s[0:1], 0x58
	v_add_nc_u64_e32 v[12:13], s[36:37], v[4:5]
	v_dual_mov_b32 v3, v9 :: v_dual_bitop2_b32 v24, 31, v1 bitop3:0x40
	s_clause 0x2
	s_load_b128 s[28:31], s[0:1], 0x0
	s_load_b32 s41, s[0:1], 0x50
	s_load_b128 s[24:27], s[0:1], 0x78
	v_add_nc_u64_e32 v[18:19], s[36:37], v[8:9]
	s_ashr_i32 s3, s2, 31
	s_wait_kmcnt 0x0
	v_mul_u64_e32 v[16:17], s[18:19], v[2:3]
	v_mul_u64_e32 v[14:15], s[4:5], v[12:13]
	s_lshl_b64 s[4:5], s[2:3], 5
	s_delay_alu instid0(SALU_CYCLE_1) | instskip(SKIP_1) | instid1(VALU_DEP_2)
	v_dual_mov_b32 v7, s5 :: v_dual_bitop2_b32 v0, 7, v0 bitop3:0x40
	v_dual_lshlrev_b32 v5, 2, v24 :: v_dual_bitop2_b32 v6, s4, v24 bitop3:0x54
	v_dual_mov_b32 v11, v9 :: v_dual_lshlrev_b32 v22, 2, v0
	s_load_b96 s[36:38], s[0:1], 0x10
	v_mov_b32_e32 v1, v9
	s_delay_alu instid0(VALU_DEP_3)
	v_lshl_or_b32 v28, v2, 7, v5
	v_lshl_add_u32 v30, v8, 5, 0x400
	v_mul_u64_e32 v[20:21], s[10:11], v[18:19]
	v_lshl_or_b32 v22, v4, 5, v22
	s_wait_xcnt 0x0
	v_cmp_gt_i64_e64 s0, s[28:29], v[6:7]
	v_add_nc_u64_e32 v[6:7], s[4:5], v[10:11]
	v_mul_u64_e32 v[4:5], s[24:25], v[18:19]
	s_cmp_eq_f32 s41, 0
	v_lshlrev_b32_e32 v8, 1, v0
	v_cmp_gt_i64_e64 s1, s[30:31], v[12:13]
	v_add_nc_u32_e32 v29, 0x400, v22
	s_cselect_b32 s39, -1, 0
	v_add_nc_u64_e32 v[12:13], 16, v[6:7]
	s_lshl_b64 s[2:3], s[2:3], 6
	v_add_nc_u64_e32 v[22:23], 16, v[18:19]
	v_lshlrev_b32_e32 v31, 2, v10
	s_lshl_b64 s[24:25], s[24:25], 4
	s_lshl_b64 s[10:11], s[10:11], 4
	s_wait_kmcnt 0x0
	s_mov_b32 s40, s38
	v_cmp_gt_i64_e64 s4, s[28:29], v[12:13]
	s_lshl_b64 s[6:7], s[6:7], 1
	v_lshl_add_u64 v[16:17], v[16:17], 1, s[2:3]
	v_lshl_add_u64 v[14:15], v[14:15], 1, v[8:9]
	v_lshlrev_b32_e32 v8, 1, v24
	v_cmp_gt_i64_e64 s2, s[30:31], v[18:19]
	v_cmp_gt_i64_e64 s3, s[28:29], v[6:7]
	;; [unrolled: 1-line block ×3, first 2 shown]
	v_add_nc_u64_e32 v[10:11], s[22:23], v[14:15]
	v_add_nc_u64_e32 v[12:13], v[16:17], v[8:9]
	v_cmp_gt_i64_e64 s22, s[36:37], 0
	v_lshl_add_u64 v[8:9], v[20:21], 1, s[8:9]
	s_delay_alu instid0(VALU_DEP_3)
	v_add_nc_u64_e32 v[12:13], s[16:17], v[12:13]
	s_lshl_b64 s[8:9], s[20:21], 1
	s_lshl_b64 s[16:17], s[18:19], 4
	s_branch .LBB381_4
.LBB381_2:                              ;   in Loop: Header=BB381_4 Depth=1
	s_wait_xcnt 0x0
	s_or_b32 exec_lo, exec_lo, s20
.LBB381_3:                              ;   in Loop: Header=BB381_4 Depth=1
	s_add_co_i32 s34, s34, 0x10000
	s_delay_alu instid0(SALU_CYCLE_1)
	s_cmp_lt_i32 s34, s33
	s_cbranch_scc0 .LBB381_34
.LBB381_4:                              ; =>This Loop Header: Depth=1
                                        ;     Child Loop BB381_7 Depth 2
	v_dual_mov_b32 v17, 0 :: v_dual_mov_b32 v16, 0
	v_dual_mov_b32 v15, 0 :: v_dual_mov_b32 v14, 0
	s_and_not1_b32 vcc_lo, exec_lo, s22
	s_cbranch_vccnz .LBB381_11
; %bb.5:                                ;   in Loop: Header=BB381_4 Depth=1
	v_mad_nc_u64_u32 v[18:19], s6, s34, v[10:11]
	v_mad_nc_u64_u32 v[20:21], s8, s34, v[12:13]
	v_mov_b32_e32 v16, 0
	s_mov_b64 s[18:19], 0
	s_delay_alu instid0(VALU_DEP_1)
	v_dual_mov_b32 v17, v16 :: v_dual_mov_b32 v14, v16
	v_mov_b32_e32 v15, v16
	v_mad_u32 v19, s7, s34, v19
	v_mad_u32 v21, s9, s34, v21
	s_branch .LBB381_7
.LBB381_6:                              ;   in Loop: Header=BB381_7 Depth=2
	s_wait_xcnt 0x0
	s_or_b32 exec_lo, exec_lo, s20
	ds_store_b32 v29, v23
	s_wait_dscnt 0x0
	s_barrier_signal -1
	s_barrier_wait -1
	ds_load_b128 v[22:25], v30
	ds_load_2addr_b32 v[26:27], v31 offset1:16
	ds_load_b128 v[32:35], v30 offset:512
	ds_load_2addr_b32 v[44:45], v31 offset0:32 offset1:48
	ds_load_2addr_b32 v[46:47], v31 offset0:64 offset1:80
	;; [unrolled: 1-line block ×3, first 2 shown]
	ds_load_b128 v[36:39], v30 offset:16
	ds_load_2addr_b32 v[50:51], v31 offset0:128 offset1:144
	ds_load_b128 v[40:43], v30 offset:528
	s_add_nc_u64 s[18:19], s[18:19], 8
	v_add_nc_u64_e32 v[18:19], 16, v[18:19]
	v_cmp_lt_i64_e64 s20, s[18:19], s[36:37]
	v_add_nc_u64_e32 v[20:21], s[16:17], v[20:21]
	s_and_b32 vcc_lo, exec_lo, s20
	s_wait_dscnt 0x7
	v_pk_fma_f32 v[16:17], v[26:27], v[22:23], v[16:17] op_sel_hi:[1,0,1]
	s_wait_dscnt 0x6
	v_pk_fma_f32 v[14:15], v[26:27], v[32:33], v[14:15] op_sel_hi:[1,0,1]
	ds_load_2addr_b32 v[26:27], v31 offset0:160 offset1:176
	s_wait_dscnt 0x6
	v_pk_fma_f32 v[16:17], v[44:45], v[22:23], v[16:17] op_sel:[0,1,0]
	v_pk_fma_f32 v[14:15], v[44:45], v[32:33], v[14:15] op_sel:[0,1,0]
	ds_load_2addr_b32 v[22:23], v31 offset0:192 offset1:208
	v_dual_mov_b32 v32, v25 :: v_dual_mov_b32 v44, v35
	s_wait_dscnt 0x6
	v_pk_fma_f32 v[16:17], v[46:47], v[24:25], v[16:17] op_sel_hi:[1,0,1]
	v_pk_fma_f32 v[14:15], v[46:47], v[34:35], v[14:15] op_sel_hi:[1,0,1]
	ds_load_2addr_b32 v[24:25], v31 offset0:224 offset1:240
	s_wait_dscnt 0x0
	s_barrier_signal -1
	v_pk_fma_f32 v[16:17], v[48:49], v[32:33], v[16:17] op_sel_hi:[1,0,1]
	v_pk_fma_f32 v[14:15], v[48:49], v[44:45], v[14:15] op_sel_hi:[1,0,1]
	s_barrier_wait -1
	v_mov_b32_e32 v32, v43
	s_delay_alu instid0(VALU_DEP_3) | instskip(NEXT) | instid1(VALU_DEP_3)
	v_pk_fma_f32 v[16:17], v[50:51], v[36:37], v[16:17] op_sel_hi:[1,0,1]
	v_pk_fma_f32 v[14:15], v[50:51], v[40:41], v[14:15] op_sel_hi:[1,0,1]
	s_delay_alu instid0(VALU_DEP_2) | instskip(NEXT) | instid1(VALU_DEP_2)
	v_pk_fma_f32 v[16:17], v[26:27], v[36:37], v[16:17] op_sel:[0,1,0]
	v_pk_fma_f32 v[14:15], v[26:27], v[40:41], v[14:15] op_sel:[0,1,0]
	v_mov_b32_e32 v26, v39
	s_delay_alu instid0(VALU_DEP_3) | instskip(NEXT) | instid1(VALU_DEP_3)
	v_pk_fma_f32 v[16:17], v[22:23], v[38:39], v[16:17] op_sel_hi:[1,0,1]
	v_pk_fma_f32 v[14:15], v[22:23], v[42:43], v[14:15] op_sel_hi:[1,0,1]
	s_delay_alu instid0(VALU_DEP_2) | instskip(NEXT) | instid1(VALU_DEP_2)
	v_pk_fma_f32 v[16:17], v[24:25], v[26:27], v[16:17] op_sel_hi:[1,0,1]
	v_pk_fma_f32 v[14:15], v[24:25], v[32:33], v[14:15] op_sel_hi:[1,0,1]
	s_cbranch_vccz .LBB381_11
.LBB381_7:                              ;   Parent Loop BB381_4 Depth=1
                                        ; =>  This Inner Loop Header: Depth=2
	v_add_nc_u64_e32 v[22:23], s[18:19], v[2:3]
	s_delay_alu instid0(VALU_DEP_1) | instskip(SKIP_2) | instid1(SALU_CYCLE_1)
	v_cmp_gt_i64_e32 vcc_lo, s[36:37], v[22:23]
	v_mov_b32_e32 v22, 0
	s_and_b32 s21, s0, vcc_lo
	s_and_saveexec_b32 s20, s21
	s_cbranch_execz .LBB381_9
; %bb.8:                                ;   in Loop: Header=BB381_7 Depth=2
	global_load_u16 v22, v[20:21], off
	s_wait_loadcnt 0x0
	v_cvt_f32_f16_e32 v22, v22
.LBB381_9:                              ;   in Loop: Header=BB381_7 Depth=2
	s_wait_xcnt 0x0
	s_or_b32 exec_lo, exec_lo, s20
	v_add_nc_u64_e32 v[24:25], s[18:19], v[0:1]
	v_mov_b32_e32 v23, 0
	ds_store_b32 v28, v22
	v_cmp_gt_i64_e32 vcc_lo, s[36:37], v[24:25]
	s_and_b32 s21, vcc_lo, s1
	s_delay_alu instid0(SALU_CYCLE_1)
	s_and_saveexec_b32 s20, s21
	s_cbranch_execz .LBB381_6
; %bb.10:                               ;   in Loop: Header=BB381_7 Depth=2
	global_load_u16 v22, v[18:19], off
	s_wait_loadcnt 0x0
	v_cvt_f32_f16_e32 v23, v22
	s_branch .LBB381_6
.LBB381_11:                             ;   in Loop: Header=BB381_4 Depth=1
	s_mul_u64 s[18:19], s[26:27], s[34:35]
	s_and_not1_b32 vcc_lo, exec_lo, s39
	s_lshl_b64 s[18:19], s[18:19], 1
	s_delay_alu instid0(SALU_CYCLE_1)
	s_add_nc_u64 s[18:19], s[14:15], s[18:19]
	s_cbranch_vccnz .LBB381_16
; %bb.12:                               ;   in Loop: Header=BB381_4 Depth=1
	s_and_saveexec_b32 s20, s2
	s_cbranch_execz .LBB381_23
; %bb.13:                               ;   in Loop: Header=BB381_4 Depth=1
	v_lshl_add_u64 v[18:19], v[4:5], 1, s[18:19]
	s_delay_alu instid0(VALU_DEP_1)
	v_lshl_add_u64 v[20:21], v[6:7], 1, v[18:19]
	s_and_saveexec_b32 s21, s3
	s_cbranch_execnz .LBB381_17
; %bb.14:                               ;   in Loop: Header=BB381_4 Depth=1
	s_or_b32 exec_lo, exec_lo, s21
	s_and_saveexec_b32 s21, s4
	s_cbranch_execnz .LBB381_18
.LBB381_15:                             ;   in Loop: Header=BB381_4 Depth=1
	s_or_b32 exec_lo, exec_lo, s21
	s_delay_alu instid0(SALU_CYCLE_1)
	s_and_b32 exec_lo, exec_lo, s5
	s_cbranch_execnz .LBB381_19
	s_branch .LBB381_23
.LBB381_16:                             ;   in Loop: Header=BB381_4 Depth=1
	s_branch .LBB381_24
.LBB381_17:                             ;   in Loop: Header=BB381_4 Depth=1
	v_fma_mixlo_f16 v22, s38, v16, 0
	global_store_b16 v[20:21], v22, off
	s_wait_xcnt 0x0
	s_or_b32 exec_lo, exec_lo, s21
	s_and_saveexec_b32 s21, s4
	s_cbranch_execz .LBB381_15
.LBB381_18:                             ;   in Loop: Header=BB381_4 Depth=1
	v_fma_mixlo_f16 v22, s38, v17, 0
	global_store_b16 v[20:21], v22, off offset:32
	s_wait_xcnt 0x0
	s_or_b32 exec_lo, exec_lo, s21
	s_delay_alu instid0(SALU_CYCLE_1)
	s_and_b32 exec_lo, exec_lo, s5
	s_cbranch_execz .LBB381_23
.LBB381_19:                             ;   in Loop: Header=BB381_4 Depth=1
	v_lshl_add_u64 v[18:19], s[24:25], 1, v[18:19]
	s_delay_alu instid0(VALU_DEP_1)
	v_lshl_add_u64 v[18:19], v[6:7], 1, v[18:19]
	s_and_saveexec_b32 s21, s3
	s_cbranch_execz .LBB381_21
; %bb.20:                               ;   in Loop: Header=BB381_4 Depth=1
	v_fma_mixlo_f16 v20, s38, v14, 0
	global_store_b16 v[18:19], v20, off
.LBB381_21:                             ;   in Loop: Header=BB381_4 Depth=1
	s_wait_xcnt 0x0
	s_or_b32 exec_lo, exec_lo, s21
	s_delay_alu instid0(SALU_CYCLE_1)
	s_and_b32 exec_lo, exec_lo, s4
	s_cbranch_execz .LBB381_23
; %bb.22:                               ;   in Loop: Header=BB381_4 Depth=1
	v_fma_mixlo_f16 v20, s38, v15, 0
	global_store_b16 v[18:19], v20, off offset:32
.LBB381_23:                             ;   in Loop: Header=BB381_4 Depth=1
	s_wait_xcnt 0x0
	s_or_b32 exec_lo, exec_lo, s20
	s_cbranch_execnz .LBB381_3
.LBB381_24:                             ;   in Loop: Header=BB381_4 Depth=1
	s_and_saveexec_b32 s20, s2
	s_cbranch_execz .LBB381_2
; %bb.25:                               ;   in Loop: Header=BB381_4 Depth=1
	s_mul_u64 s[28:29], s[12:13], s[34:35]
	v_lshlrev_b64_e32 v[18:19], 1, v[6:7]
	v_lshl_add_u64 v[20:21], s[28:29], 1, v[8:9]
	v_lshl_add_u64 v[22:23], v[4:5], 1, s[18:19]
	s_delay_alu instid0(VALU_DEP_2) | instskip(NEXT) | instid1(VALU_DEP_2)
	v_add_nc_u64_e32 v[26:27], v[20:21], v[18:19]
	v_add_nc_u64_e32 v[24:25], v[22:23], v[18:19]
	s_and_saveexec_b32 s18, s3
	s_cbranch_execnz .LBB381_28
; %bb.26:                               ;   in Loop: Header=BB381_4 Depth=1
	s_or_b32 exec_lo, exec_lo, s18
	s_and_saveexec_b32 s18, s4
	s_cbranch_execnz .LBB381_29
.LBB381_27:                             ;   in Loop: Header=BB381_4 Depth=1
	s_or_b32 exec_lo, exec_lo, s18
	s_delay_alu instid0(SALU_CYCLE_1)
	s_and_b32 exec_lo, exec_lo, s5
	s_cbranch_execz .LBB381_2
	s_branch .LBB381_30
.LBB381_28:                             ;   in Loop: Header=BB381_4 Depth=1
	global_load_u16 v33, v[26:27], off
	v_mov_b64_e32 v[34:35], s[40:41]
	v_mov_b32_e32 v32, v16
	s_wait_loadcnt 0x0
	v_cvt_f32_f16_e32 v33, v33
	s_delay_alu instid0(VALU_DEP_1) | instskip(NEXT) | instid1(VALU_DEP_1)
	v_pk_mul_f32 v[32:33], v[34:35], v[32:33]
	v_add_f32_e32 v16, v32, v33
	s_delay_alu instid0(VALU_DEP_1)
	v_cvt_f16_f32_e32 v16, v16
	global_store_b16 v[24:25], v16, off
	s_wait_xcnt 0x0
	s_or_b32 exec_lo, exec_lo, s18
	s_and_saveexec_b32 s18, s4
	s_cbranch_execz .LBB381_27
.LBB381_29:                             ;   in Loop: Header=BB381_4 Depth=1
	global_load_u16 v26, v[26:27], off offset:32
	v_mov_b32_e32 v16, v17
	s_wait_loadcnt 0x0
	v_cvt_f32_f16_e32 v17, v26
	s_wait_xcnt 0x0
	v_mov_b64_e32 v[26:27], s[40:41]
	s_delay_alu instid0(VALU_DEP_1) | instskip(NEXT) | instid1(VALU_DEP_1)
	v_pk_mul_f32 v[16:17], v[26:27], v[16:17]
	v_add_f32_e32 v16, v16, v17
	s_delay_alu instid0(VALU_DEP_1) | instskip(SKIP_3) | instid1(SALU_CYCLE_1)
	v_cvt_f16_f32_e32 v16, v16
	global_store_b16 v[24:25], v16, off offset:32
	s_wait_xcnt 0x0
	s_or_b32 exec_lo, exec_lo, s18
	s_and_b32 exec_lo, exec_lo, s5
	s_cbranch_execz .LBB381_2
.LBB381_30:                             ;   in Loop: Header=BB381_4 Depth=1
	v_lshl_add_u64 v[16:17], s[10:11], 1, v[20:21]
	v_lshl_add_u64 v[22:23], s[24:25], 1, v[22:23]
	s_delay_alu instid0(VALU_DEP_2) | instskip(NEXT) | instid1(VALU_DEP_2)
	v_add_nc_u64_e32 v[20:21], v[16:17], v[18:19]
	v_add_nc_u64_e32 v[16:17], v[22:23], v[18:19]
	s_and_saveexec_b32 s18, s3
	s_cbranch_execz .LBB381_32
; %bb.31:                               ;   in Loop: Header=BB381_4 Depth=1
	global_load_u16 v19, v[20:21], off
	v_mov_b64_e32 v[22:23], s[40:41]
	v_mov_b32_e32 v18, v14
	s_wait_loadcnt 0x0
	v_cvt_f32_f16_e32 v19, v19
	s_delay_alu instid0(VALU_DEP_1) | instskip(NEXT) | instid1(VALU_DEP_1)
	v_pk_mul_f32 v[18:19], v[22:23], v[18:19]
	v_add_f32_e32 v14, v18, v19
	s_delay_alu instid0(VALU_DEP_1)
	v_cvt_f16_f32_e32 v14, v14
	global_store_b16 v[16:17], v14, off
.LBB381_32:                             ;   in Loop: Header=BB381_4 Depth=1
	s_wait_xcnt 0x0
	s_or_b32 exec_lo, exec_lo, s18
	s_delay_alu instid0(SALU_CYCLE_1)
	s_and_b32 exec_lo, exec_lo, s4
	s_cbranch_execz .LBB381_2
; %bb.33:                               ;   in Loop: Header=BB381_4 Depth=1
	global_load_u16 v18, v[20:21], off offset:32
	v_mov_b32_e32 v14, v15
	s_wait_loadcnt 0x0
	v_cvt_f32_f16_e32 v15, v18
	v_mov_b64_e32 v[18:19], s[40:41]
	s_delay_alu instid0(VALU_DEP_1) | instskip(NEXT) | instid1(VALU_DEP_1)
	v_pk_mul_f32 v[14:15], v[18:19], v[14:15]
	v_add_f32_e32 v14, v14, v15
	s_delay_alu instid0(VALU_DEP_1)
	v_cvt_f16_f32_e32 v14, v14
	global_store_b16 v[16:17], v14, off offset:32
	s_branch .LBB381_2
.LBB381_34:
	s_endpgm
	.section	.rodata,"a",@progbits
	.p2align	6, 0x0
	.amdhsa_kernel _ZN12_GLOBAL__N_135rocblas_gemm_batched_general_kernelIfLi16ELi16ELi32ELi32ELi8ELi32ELi8ELi8ELi32ELc78ELc78EKDF16_S1_DF16_EEvlllT_PT11_llS4_llS2_PT12_llPT13_lli
		.amdhsa_group_segment_fixed_size 2048
		.amdhsa_private_segment_fixed_size 0
		.amdhsa_kernarg_size 140
		.amdhsa_user_sgpr_count 2
		.amdhsa_user_sgpr_dispatch_ptr 0
		.amdhsa_user_sgpr_queue_ptr 0
		.amdhsa_user_sgpr_kernarg_segment_ptr 1
		.amdhsa_user_sgpr_dispatch_id 0
		.amdhsa_user_sgpr_kernarg_preload_length 0
		.amdhsa_user_sgpr_kernarg_preload_offset 0
		.amdhsa_user_sgpr_private_segment_size 0
		.amdhsa_wavefront_size32 1
		.amdhsa_uses_dynamic_stack 0
		.amdhsa_enable_private_segment 0
		.amdhsa_system_sgpr_workgroup_id_x 1
		.amdhsa_system_sgpr_workgroup_id_y 1
		.amdhsa_system_sgpr_workgroup_id_z 1
		.amdhsa_system_sgpr_workgroup_info 0
		.amdhsa_system_vgpr_workitem_id 1
		.amdhsa_next_free_vgpr 52
		.amdhsa_next_free_sgpr 42
		.amdhsa_named_barrier_count 0
		.amdhsa_reserve_vcc 1
		.amdhsa_float_round_mode_32 0
		.amdhsa_float_round_mode_16_64 0
		.amdhsa_float_denorm_mode_32 3
		.amdhsa_float_denorm_mode_16_64 3
		.amdhsa_fp16_overflow 0
		.amdhsa_memory_ordered 1
		.amdhsa_forward_progress 1
		.amdhsa_inst_pref_size 15
		.amdhsa_round_robin_scheduling 0
		.amdhsa_exception_fp_ieee_invalid_op 0
		.amdhsa_exception_fp_denorm_src 0
		.amdhsa_exception_fp_ieee_div_zero 0
		.amdhsa_exception_fp_ieee_overflow 0
		.amdhsa_exception_fp_ieee_underflow 0
		.amdhsa_exception_fp_ieee_inexact 0
		.amdhsa_exception_int_div_zero 0
	.end_amdhsa_kernel
	.section	.text._ZN12_GLOBAL__N_135rocblas_gemm_batched_general_kernelIfLi16ELi16ELi32ELi32ELi8ELi32ELi8ELi8ELi32ELc78ELc78EKDF16_S1_DF16_EEvlllT_PT11_llS4_llS2_PT12_llPT13_lli,"axG",@progbits,_ZN12_GLOBAL__N_135rocblas_gemm_batched_general_kernelIfLi16ELi16ELi32ELi32ELi8ELi32ELi8ELi8ELi32ELc78ELc78EKDF16_S1_DF16_EEvlllT_PT11_llS4_llS2_PT12_llPT13_lli,comdat
.Lfunc_end381:
	.size	_ZN12_GLOBAL__N_135rocblas_gemm_batched_general_kernelIfLi16ELi16ELi32ELi32ELi8ELi32ELi8ELi8ELi32ELc78ELc78EKDF16_S1_DF16_EEvlllT_PT11_llS4_llS2_PT12_llPT13_lli, .Lfunc_end381-_ZN12_GLOBAL__N_135rocblas_gemm_batched_general_kernelIfLi16ELi16ELi32ELi32ELi8ELi32ELi8ELi8ELi32ELc78ELc78EKDF16_S1_DF16_EEvlllT_PT11_llS4_llS2_PT12_llPT13_lli
                                        ; -- End function
	.set _ZN12_GLOBAL__N_135rocblas_gemm_batched_general_kernelIfLi16ELi16ELi32ELi32ELi8ELi32ELi8ELi8ELi32ELc78ELc78EKDF16_S1_DF16_EEvlllT_PT11_llS4_llS2_PT12_llPT13_lli.num_vgpr, 52
	.set _ZN12_GLOBAL__N_135rocblas_gemm_batched_general_kernelIfLi16ELi16ELi32ELi32ELi8ELi32ELi8ELi8ELi32ELc78ELc78EKDF16_S1_DF16_EEvlllT_PT11_llS4_llS2_PT12_llPT13_lli.num_agpr, 0
	.set _ZN12_GLOBAL__N_135rocblas_gemm_batched_general_kernelIfLi16ELi16ELi32ELi32ELi8ELi32ELi8ELi8ELi32ELc78ELc78EKDF16_S1_DF16_EEvlllT_PT11_llS4_llS2_PT12_llPT13_lli.numbered_sgpr, 42
	.set _ZN12_GLOBAL__N_135rocblas_gemm_batched_general_kernelIfLi16ELi16ELi32ELi32ELi8ELi32ELi8ELi8ELi32ELc78ELc78EKDF16_S1_DF16_EEvlllT_PT11_llS4_llS2_PT12_llPT13_lli.num_named_barrier, 0
	.set _ZN12_GLOBAL__N_135rocblas_gemm_batched_general_kernelIfLi16ELi16ELi32ELi32ELi8ELi32ELi8ELi8ELi32ELc78ELc78EKDF16_S1_DF16_EEvlllT_PT11_llS4_llS2_PT12_llPT13_lli.private_seg_size, 0
	.set _ZN12_GLOBAL__N_135rocblas_gemm_batched_general_kernelIfLi16ELi16ELi32ELi32ELi8ELi32ELi8ELi8ELi32ELc78ELc78EKDF16_S1_DF16_EEvlllT_PT11_llS4_llS2_PT12_llPT13_lli.uses_vcc, 1
	.set _ZN12_GLOBAL__N_135rocblas_gemm_batched_general_kernelIfLi16ELi16ELi32ELi32ELi8ELi32ELi8ELi8ELi32ELc78ELc78EKDF16_S1_DF16_EEvlllT_PT11_llS4_llS2_PT12_llPT13_lli.uses_flat_scratch, 0
	.set _ZN12_GLOBAL__N_135rocblas_gemm_batched_general_kernelIfLi16ELi16ELi32ELi32ELi8ELi32ELi8ELi8ELi32ELc78ELc78EKDF16_S1_DF16_EEvlllT_PT11_llS4_llS2_PT12_llPT13_lli.has_dyn_sized_stack, 0
	.set _ZN12_GLOBAL__N_135rocblas_gemm_batched_general_kernelIfLi16ELi16ELi32ELi32ELi8ELi32ELi8ELi8ELi32ELc78ELc78EKDF16_S1_DF16_EEvlllT_PT11_llS4_llS2_PT12_llPT13_lli.has_recursion, 0
	.set _ZN12_GLOBAL__N_135rocblas_gemm_batched_general_kernelIfLi16ELi16ELi32ELi32ELi8ELi32ELi8ELi8ELi32ELc78ELc78EKDF16_S1_DF16_EEvlllT_PT11_llS4_llS2_PT12_llPT13_lli.has_indirect_call, 0
	.section	.AMDGPU.csdata,"",@progbits
; Kernel info:
; codeLenInByte = 1832
; TotalNumSgprs: 44
; NumVgprs: 52
; ScratchSize: 0
; MemoryBound: 0
; FloatMode: 240
; IeeeMode: 1
; LDSByteSize: 2048 bytes/workgroup (compile time only)
; SGPRBlocks: 0
; VGPRBlocks: 3
; NumSGPRsForWavesPerEU: 44
; NumVGPRsForWavesPerEU: 52
; NamedBarCnt: 0
; Occupancy: 16
; WaveLimiterHint : 0
; COMPUTE_PGM_RSRC2:SCRATCH_EN: 0
; COMPUTE_PGM_RSRC2:USER_SGPR: 2
; COMPUTE_PGM_RSRC2:TRAP_HANDLER: 0
; COMPUTE_PGM_RSRC2:TGID_X_EN: 1
; COMPUTE_PGM_RSRC2:TGID_Y_EN: 1
; COMPUTE_PGM_RSRC2:TGID_Z_EN: 1
; COMPUTE_PGM_RSRC2:TIDIG_COMP_CNT: 1
	.section	.text._ZN12_GLOBAL__N_135rocblas_gemm_batched_general_kernelIfLi16ELi16ELi32ELi32ELi8ELi32ELi8ELi8ELi32ELc84ELc78EKDF16_S1_DF16_EEvlllT_PT11_llS4_llS2_PT12_llPT13_lli,"axG",@progbits,_ZN12_GLOBAL__N_135rocblas_gemm_batched_general_kernelIfLi16ELi16ELi32ELi32ELi8ELi32ELi8ELi8ELi32ELc84ELc78EKDF16_S1_DF16_EEvlllT_PT11_llS4_llS2_PT12_llPT13_lli,comdat
	.globl	_ZN12_GLOBAL__N_135rocblas_gemm_batched_general_kernelIfLi16ELi16ELi32ELi32ELi8ELi32ELi8ELi8ELi32ELc84ELc78EKDF16_S1_DF16_EEvlllT_PT11_llS4_llS2_PT12_llPT13_lli ; -- Begin function _ZN12_GLOBAL__N_135rocblas_gemm_batched_general_kernelIfLi16ELi16ELi32ELi32ELi8ELi32ELi8ELi8ELi32ELc84ELc78EKDF16_S1_DF16_EEvlllT_PT11_llS4_llS2_PT12_llPT13_lli
	.p2align	8
	.type	_ZN12_GLOBAL__N_135rocblas_gemm_batched_general_kernelIfLi16ELi16ELi32ELi32ELi8ELi32ELi8ELi8ELi32ELc84ELc78EKDF16_S1_DF16_EEvlllT_PT11_llS4_llS2_PT12_llPT13_lli,@function
_ZN12_GLOBAL__N_135rocblas_gemm_batched_general_kernelIfLi16ELi16ELi32ELi32ELi8ELi32ELi8ELi8ELi32ELc84ELc78EKDF16_S1_DF16_EEvlllT_PT11_llS4_llS2_PT12_llPT13_lli: ; @_ZN12_GLOBAL__N_135rocblas_gemm_batched_general_kernelIfLi16ELi16ELi32ELi32ELi8ELi32ELi8ELi8ELi32ELc84ELc78EKDF16_S1_DF16_EEvlllT_PT11_llS4_llS2_PT12_llPT13_lli
; %bb.0:
	s_load_b32 s33, s[0:1], 0x88
	s_bfe_u32 s2, ttmp6, 0x40014
	s_lshr_b32 s3, ttmp7, 16
	s_add_co_i32 s2, s2, 1
	s_bfe_u32 s5, ttmp6, 0x40008
	s_mul_i32 s4, s3, s2
	s_getreg_b32 s2, hwreg(HW_REG_IB_STS2, 6, 4)
	s_add_co_i32 s5, s5, s4
	s_cmp_eq_u32 s2, 0
	s_mov_b32 s35, 0
	s_cselect_b32 s34, s3, s5
	s_wait_kmcnt 0x0
	s_cmp_ge_i32 s34, s33
	s_cbranch_scc1 .LBB382_34
; %bb.1:
	v_bfe_u32 v8, v0, 10, 10
	v_and_b32_e32 v10, 0x3ff, v0
	s_bfe_u32 s3, ttmp6, 0x4000c
	s_bfe_u32 s25, ttmp6, 0x40010
	s_clause 0x2
	s_load_b256 s[16:23], s[0:1], 0x20
	s_load_b128 s[4:7], s[0:1], 0x40
	s_load_b256 s[8:15], s[0:1], 0x58
	s_add_co_i32 s3, s3, 1
	s_and_b32 s26, ttmp7, 0xffff
	s_add_co_i32 s25, s25, 1
	v_lshl_add_u32 v1, v8, 4, v10
	v_mov_b32_e32 v9, 0
	s_and_b32 s24, ttmp6, 15
	s_mul_i32 s3, ttmp9, s3
	s_mul_i32 s25, s26, s25
	s_bfe_u32 s27, ttmp6, 0x40004
	s_add_co_i32 s24, s24, s3
	s_add_co_i32 s27, s27, s25
	s_cmp_eq_u32 s2, 0
	v_dual_mov_b32 v7, v9 :: v_dual_lshrrev_b32 v6, 3, v1
	v_and_b32_e32 v4, 31, v1
	s_cselect_b32 s3, s26, s27
	s_cselect_b32 s2, ttmp9, s24
	s_lshl_b32 s36, s3, 5
	s_mov_b32 s37, s35
	s_ashr_i32 s3, s2, 31
	v_add_nc_u64_e32 v[12:13], s[36:37], v[6:7]
	s_clause 0x1
	s_load_b32 s41, s[0:1], 0x50
	s_load_b128 s[24:27], s[0:1], 0x78
	s_lshl_b64 s[2:3], s[2:3], 5
	v_add_nc_u64_e32 v[18:19], s[36:37], v[8:9]
	v_dual_mov_b32 v15, s3 :: v_dual_bitop2_b32 v14, s2, v4 bitop3:0x54
	s_wait_kmcnt 0x0
	v_mul_u64_e32 v[16:17], s[4:5], v[12:13]
	s_clause 0x1
	s_load_b128 s[28:31], s[0:1], 0x0
	s_load_b96 s[36:38], s[0:1], 0x10
	v_dual_mov_b32 v3, v9 :: v_dual_lshlrev_b32 v24, 2, v4
	v_mul_u64_e32 v[20:21], s[18:19], v[14:15]
	v_mul_u64_e32 v[22:23], s[10:11], v[18:19]
	v_dual_mov_b32 v11, v9 :: v_dual_bitop2_b32 v0, 7, v0 bitop3:0x40
	v_dual_mov_b32 v1, v9 :: v_dual_lshrrev_b32 v2, 5, v1
	v_lshl_add_u32 v30, v8, 5, 0x400
	s_delay_alu instid0(VALU_DEP_3) | instskip(SKIP_3) | instid1(VALU_DEP_3)
	v_dual_lshlrev_b32 v7, 2, v0 :: v_dual_lshlrev_b32 v8, 1, v0
	v_lshlrev_b32_e32 v31, 2, v10
	v_mul_u64_e32 v[4:5], s[24:25], v[18:19]
	s_cmp_eq_f32 s41, 0
	v_lshl_or_b32 v25, v6, 5, v7
	v_add_nc_u64_e32 v[6:7], s[2:3], v[10:11]
	v_lshl_or_b32 v28, v2, 7, v24
	s_cselect_b32 s39, -1, 0
	s_wait_kmcnt 0x0
	v_cmp_gt_i64_e64 s1, s[30:31], v[12:13]
	v_add_nc_u64_e32 v[12:13], 16, v[18:19]
	v_cmp_gt_i64_e64 s0, s[28:29], v[14:15]
	v_cmp_gt_i64_e64 s2, s[30:31], v[18:19]
	v_add_nc_u64_e32 v[10:11], 16, v[6:7]
	v_cmp_gt_i64_e64 s3, s[28:29], v[6:7]
	v_add_nc_u32_e32 v29, 0x400, v25
	s_lshl_b64 s[18:19], s[24:25], 4
	v_cmp_gt_i64_e64 s5, s[30:31], v[12:13]
	s_mov_b32 s40, s38
	s_lshl_b64 s[6:7], s[6:7], 1
	v_lshl_add_u64 v[14:15], v[16:17], 1, v[8:9]
	v_lshlrev_b32_e32 v8, 1, v2
	v_cmp_gt_i64_e64 s4, s[28:29], v[10:11]
	s_delay_alu instid0(VALU_DEP_3) | instskip(NEXT) | instid1(VALU_DEP_3)
	v_add_nc_u64_e32 v[10:11], s[22:23], v[14:15]
	v_lshl_add_u64 v[12:13], v[20:21], 1, v[8:9]
	v_cmp_gt_i64_e64 s22, s[36:37], 0
	v_lshl_add_u64 v[8:9], v[22:23], 1, s[8:9]
	s_lshl_b64 s[8:9], s[10:11], 4
	s_lshl_b64 s[10:11], s[20:21], 1
	v_add_nc_u64_e32 v[12:13], s[16:17], v[12:13]
	s_branch .LBB382_4
.LBB382_2:                              ;   in Loop: Header=BB382_4 Depth=1
	s_wait_xcnt 0x0
	s_or_b32 exec_lo, exec_lo, s20
.LBB382_3:                              ;   in Loop: Header=BB382_4 Depth=1
	s_add_co_i32 s34, s34, 0x10000
	s_delay_alu instid0(SALU_CYCLE_1)
	s_cmp_lt_i32 s34, s33
	s_cbranch_scc0 .LBB382_34
.LBB382_4:                              ; =>This Loop Header: Depth=1
                                        ;     Child Loop BB382_7 Depth 2
	v_dual_mov_b32 v17, 0 :: v_dual_mov_b32 v16, 0
	v_dual_mov_b32 v15, 0 :: v_dual_mov_b32 v14, 0
	s_and_not1_b32 vcc_lo, exec_lo, s22
	s_cbranch_vccnz .LBB382_11
; %bb.5:                                ;   in Loop: Header=BB382_4 Depth=1
	v_mad_nc_u64_u32 v[18:19], s6, s34, v[10:11]
	v_mad_nc_u64_u32 v[20:21], s10, s34, v[12:13]
	v_mov_b32_e32 v16, 0
	s_mov_b64 s[16:17], 0
	s_delay_alu instid0(VALU_DEP_1)
	v_dual_mov_b32 v17, v16 :: v_dual_mov_b32 v14, v16
	v_mov_b32_e32 v15, v16
	v_mad_u32 v19, s7, s34, v19
	v_mad_u32 v21, s11, s34, v21
	s_branch .LBB382_7
.LBB382_6:                              ;   in Loop: Header=BB382_7 Depth=2
	s_wait_xcnt 0x0
	s_or_b32 exec_lo, exec_lo, s20
	ds_store_b32 v29, v23
	s_wait_dscnt 0x0
	s_barrier_signal -1
	s_barrier_wait -1
	ds_load_b128 v[22:25], v30
	ds_load_2addr_b32 v[26:27], v31 offset1:16
	ds_load_b128 v[32:35], v30 offset:512
	ds_load_2addr_b32 v[44:45], v31 offset0:32 offset1:48
	ds_load_2addr_b32 v[46:47], v31 offset0:64 offset1:80
	;; [unrolled: 1-line block ×3, first 2 shown]
	ds_load_b128 v[36:39], v30 offset:16
	ds_load_2addr_b32 v[50:51], v31 offset0:128 offset1:144
	ds_load_b128 v[40:43], v30 offset:528
	s_add_nc_u64 s[16:17], s[16:17], 8
	v_add_nc_u64_e32 v[18:19], 16, v[18:19]
	v_cmp_lt_i64_e64 s20, s[16:17], s[36:37]
	v_add_nc_u64_e32 v[20:21], 16, v[20:21]
	s_and_b32 vcc_lo, exec_lo, s20
	s_wait_dscnt 0x7
	v_pk_fma_f32 v[16:17], v[26:27], v[22:23], v[16:17] op_sel_hi:[1,0,1]
	s_wait_dscnt 0x6
	v_pk_fma_f32 v[14:15], v[26:27], v[32:33], v[14:15] op_sel_hi:[1,0,1]
	ds_load_2addr_b32 v[26:27], v31 offset0:160 offset1:176
	s_wait_dscnt 0x6
	v_pk_fma_f32 v[16:17], v[44:45], v[22:23], v[16:17] op_sel:[0,1,0]
	v_pk_fma_f32 v[14:15], v[44:45], v[32:33], v[14:15] op_sel:[0,1,0]
	ds_load_2addr_b32 v[22:23], v31 offset0:192 offset1:208
	v_dual_mov_b32 v32, v25 :: v_dual_mov_b32 v44, v35
	s_wait_dscnt 0x6
	v_pk_fma_f32 v[16:17], v[46:47], v[24:25], v[16:17] op_sel_hi:[1,0,1]
	v_pk_fma_f32 v[14:15], v[46:47], v[34:35], v[14:15] op_sel_hi:[1,0,1]
	ds_load_2addr_b32 v[24:25], v31 offset0:224 offset1:240
	s_wait_dscnt 0x0
	s_barrier_signal -1
	v_pk_fma_f32 v[16:17], v[48:49], v[32:33], v[16:17] op_sel_hi:[1,0,1]
	v_pk_fma_f32 v[14:15], v[48:49], v[44:45], v[14:15] op_sel_hi:[1,0,1]
	s_barrier_wait -1
	v_mov_b32_e32 v32, v43
	s_delay_alu instid0(VALU_DEP_3) | instskip(NEXT) | instid1(VALU_DEP_3)
	v_pk_fma_f32 v[16:17], v[50:51], v[36:37], v[16:17] op_sel_hi:[1,0,1]
	v_pk_fma_f32 v[14:15], v[50:51], v[40:41], v[14:15] op_sel_hi:[1,0,1]
	s_delay_alu instid0(VALU_DEP_2) | instskip(NEXT) | instid1(VALU_DEP_2)
	v_pk_fma_f32 v[16:17], v[26:27], v[36:37], v[16:17] op_sel:[0,1,0]
	v_pk_fma_f32 v[14:15], v[26:27], v[40:41], v[14:15] op_sel:[0,1,0]
	v_mov_b32_e32 v26, v39
	s_delay_alu instid0(VALU_DEP_3) | instskip(NEXT) | instid1(VALU_DEP_3)
	v_pk_fma_f32 v[16:17], v[22:23], v[38:39], v[16:17] op_sel_hi:[1,0,1]
	v_pk_fma_f32 v[14:15], v[22:23], v[42:43], v[14:15] op_sel_hi:[1,0,1]
	s_delay_alu instid0(VALU_DEP_2) | instskip(NEXT) | instid1(VALU_DEP_2)
	v_pk_fma_f32 v[16:17], v[24:25], v[26:27], v[16:17] op_sel_hi:[1,0,1]
	v_pk_fma_f32 v[14:15], v[24:25], v[32:33], v[14:15] op_sel_hi:[1,0,1]
	s_cbranch_vccz .LBB382_11
.LBB382_7:                              ;   Parent Loop BB382_4 Depth=1
                                        ; =>  This Inner Loop Header: Depth=2
	v_add_nc_u64_e32 v[22:23], s[16:17], v[2:3]
	s_delay_alu instid0(VALU_DEP_1) | instskip(SKIP_2) | instid1(SALU_CYCLE_1)
	v_cmp_gt_i64_e32 vcc_lo, s[36:37], v[22:23]
	v_mov_b32_e32 v22, 0
	s_and_b32 s21, s0, vcc_lo
	s_and_saveexec_b32 s20, s21
	s_cbranch_execz .LBB382_9
; %bb.8:                                ;   in Loop: Header=BB382_7 Depth=2
	global_load_u16 v22, v[20:21], off
	s_wait_loadcnt 0x0
	v_cvt_f32_f16_e32 v22, v22
.LBB382_9:                              ;   in Loop: Header=BB382_7 Depth=2
	s_wait_xcnt 0x0
	s_or_b32 exec_lo, exec_lo, s20
	v_add_nc_u64_e32 v[24:25], s[16:17], v[0:1]
	v_mov_b32_e32 v23, 0
	ds_store_b32 v28, v22
	v_cmp_gt_i64_e32 vcc_lo, s[36:37], v[24:25]
	s_and_b32 s21, vcc_lo, s1
	s_delay_alu instid0(SALU_CYCLE_1)
	s_and_saveexec_b32 s20, s21
	s_cbranch_execz .LBB382_6
; %bb.10:                               ;   in Loop: Header=BB382_7 Depth=2
	global_load_u16 v22, v[18:19], off
	s_wait_loadcnt 0x0
	v_cvt_f32_f16_e32 v23, v22
	s_branch .LBB382_6
.LBB382_11:                             ;   in Loop: Header=BB382_4 Depth=1
	s_mul_u64 s[16:17], s[26:27], s[34:35]
	s_and_not1_b32 vcc_lo, exec_lo, s39
	s_lshl_b64 s[16:17], s[16:17], 1
	s_delay_alu instid0(SALU_CYCLE_1)
	s_add_nc_u64 s[16:17], s[14:15], s[16:17]
	s_cbranch_vccnz .LBB382_16
; %bb.12:                               ;   in Loop: Header=BB382_4 Depth=1
	s_and_saveexec_b32 s20, s2
	s_cbranch_execz .LBB382_23
; %bb.13:                               ;   in Loop: Header=BB382_4 Depth=1
	v_lshl_add_u64 v[18:19], v[4:5], 1, s[16:17]
	s_delay_alu instid0(VALU_DEP_1)
	v_lshl_add_u64 v[20:21], v[6:7], 1, v[18:19]
	s_and_saveexec_b32 s21, s3
	s_cbranch_execnz .LBB382_17
; %bb.14:                               ;   in Loop: Header=BB382_4 Depth=1
	s_or_b32 exec_lo, exec_lo, s21
	s_and_saveexec_b32 s21, s4
	s_cbranch_execnz .LBB382_18
.LBB382_15:                             ;   in Loop: Header=BB382_4 Depth=1
	s_or_b32 exec_lo, exec_lo, s21
	s_delay_alu instid0(SALU_CYCLE_1)
	s_and_b32 exec_lo, exec_lo, s5
	s_cbranch_execnz .LBB382_19
	s_branch .LBB382_23
.LBB382_16:                             ;   in Loop: Header=BB382_4 Depth=1
	s_branch .LBB382_24
.LBB382_17:                             ;   in Loop: Header=BB382_4 Depth=1
	v_fma_mixlo_f16 v22, s38, v16, 0
	global_store_b16 v[20:21], v22, off
	s_wait_xcnt 0x0
	s_or_b32 exec_lo, exec_lo, s21
	s_and_saveexec_b32 s21, s4
	s_cbranch_execz .LBB382_15
.LBB382_18:                             ;   in Loop: Header=BB382_4 Depth=1
	v_fma_mixlo_f16 v22, s38, v17, 0
	global_store_b16 v[20:21], v22, off offset:32
	s_wait_xcnt 0x0
	s_or_b32 exec_lo, exec_lo, s21
	s_delay_alu instid0(SALU_CYCLE_1)
	s_and_b32 exec_lo, exec_lo, s5
	s_cbranch_execz .LBB382_23
.LBB382_19:                             ;   in Loop: Header=BB382_4 Depth=1
	v_lshl_add_u64 v[18:19], s[18:19], 1, v[18:19]
	s_delay_alu instid0(VALU_DEP_1)
	v_lshl_add_u64 v[18:19], v[6:7], 1, v[18:19]
	s_and_saveexec_b32 s21, s3
	s_cbranch_execz .LBB382_21
; %bb.20:                               ;   in Loop: Header=BB382_4 Depth=1
	v_fma_mixlo_f16 v20, s38, v14, 0
	global_store_b16 v[18:19], v20, off
.LBB382_21:                             ;   in Loop: Header=BB382_4 Depth=1
	s_wait_xcnt 0x0
	s_or_b32 exec_lo, exec_lo, s21
	s_delay_alu instid0(SALU_CYCLE_1)
	s_and_b32 exec_lo, exec_lo, s4
	s_cbranch_execz .LBB382_23
; %bb.22:                               ;   in Loop: Header=BB382_4 Depth=1
	v_fma_mixlo_f16 v20, s38, v15, 0
	global_store_b16 v[18:19], v20, off offset:32
.LBB382_23:                             ;   in Loop: Header=BB382_4 Depth=1
	s_wait_xcnt 0x0
	s_or_b32 exec_lo, exec_lo, s20
	s_cbranch_execnz .LBB382_3
.LBB382_24:                             ;   in Loop: Header=BB382_4 Depth=1
	s_and_saveexec_b32 s20, s2
	s_cbranch_execz .LBB382_2
; %bb.25:                               ;   in Loop: Header=BB382_4 Depth=1
	s_mul_u64 s[24:25], s[12:13], s[34:35]
	v_lshlrev_b64_e32 v[18:19], 1, v[6:7]
	v_lshl_add_u64 v[20:21], s[24:25], 1, v[8:9]
	v_lshl_add_u64 v[22:23], v[4:5], 1, s[16:17]
	s_delay_alu instid0(VALU_DEP_2) | instskip(NEXT) | instid1(VALU_DEP_2)
	v_add_nc_u64_e32 v[26:27], v[20:21], v[18:19]
	v_add_nc_u64_e32 v[24:25], v[22:23], v[18:19]
	s_and_saveexec_b32 s16, s3
	s_cbranch_execnz .LBB382_28
; %bb.26:                               ;   in Loop: Header=BB382_4 Depth=1
	s_or_b32 exec_lo, exec_lo, s16
	s_and_saveexec_b32 s16, s4
	s_cbranch_execnz .LBB382_29
.LBB382_27:                             ;   in Loop: Header=BB382_4 Depth=1
	s_or_b32 exec_lo, exec_lo, s16
	s_delay_alu instid0(SALU_CYCLE_1)
	s_and_b32 exec_lo, exec_lo, s5
	s_cbranch_execz .LBB382_2
	s_branch .LBB382_30
.LBB382_28:                             ;   in Loop: Header=BB382_4 Depth=1
	global_load_u16 v33, v[26:27], off
	v_mov_b64_e32 v[34:35], s[40:41]
	v_mov_b32_e32 v32, v16
	s_wait_loadcnt 0x0
	v_cvt_f32_f16_e32 v33, v33
	s_delay_alu instid0(VALU_DEP_1) | instskip(NEXT) | instid1(VALU_DEP_1)
	v_pk_mul_f32 v[32:33], v[34:35], v[32:33]
	v_add_f32_e32 v16, v32, v33
	s_delay_alu instid0(VALU_DEP_1)
	v_cvt_f16_f32_e32 v16, v16
	global_store_b16 v[24:25], v16, off
	s_wait_xcnt 0x0
	s_or_b32 exec_lo, exec_lo, s16
	s_and_saveexec_b32 s16, s4
	s_cbranch_execz .LBB382_27
.LBB382_29:                             ;   in Loop: Header=BB382_4 Depth=1
	global_load_u16 v26, v[26:27], off offset:32
	v_mov_b32_e32 v16, v17
	s_wait_loadcnt 0x0
	v_cvt_f32_f16_e32 v17, v26
	s_wait_xcnt 0x0
	v_mov_b64_e32 v[26:27], s[40:41]
	s_delay_alu instid0(VALU_DEP_1) | instskip(NEXT) | instid1(VALU_DEP_1)
	v_pk_mul_f32 v[16:17], v[26:27], v[16:17]
	v_add_f32_e32 v16, v16, v17
	s_delay_alu instid0(VALU_DEP_1) | instskip(SKIP_3) | instid1(SALU_CYCLE_1)
	v_cvt_f16_f32_e32 v16, v16
	global_store_b16 v[24:25], v16, off offset:32
	s_wait_xcnt 0x0
	s_or_b32 exec_lo, exec_lo, s16
	s_and_b32 exec_lo, exec_lo, s5
	s_cbranch_execz .LBB382_2
.LBB382_30:                             ;   in Loop: Header=BB382_4 Depth=1
	v_lshl_add_u64 v[16:17], s[8:9], 1, v[20:21]
	v_lshl_add_u64 v[22:23], s[18:19], 1, v[22:23]
	s_delay_alu instid0(VALU_DEP_2) | instskip(NEXT) | instid1(VALU_DEP_2)
	v_add_nc_u64_e32 v[20:21], v[16:17], v[18:19]
	v_add_nc_u64_e32 v[16:17], v[22:23], v[18:19]
	s_and_saveexec_b32 s16, s3
	s_cbranch_execz .LBB382_32
; %bb.31:                               ;   in Loop: Header=BB382_4 Depth=1
	global_load_u16 v19, v[20:21], off
	v_mov_b64_e32 v[22:23], s[40:41]
	v_mov_b32_e32 v18, v14
	s_wait_loadcnt 0x0
	v_cvt_f32_f16_e32 v19, v19
	s_delay_alu instid0(VALU_DEP_1) | instskip(NEXT) | instid1(VALU_DEP_1)
	v_pk_mul_f32 v[18:19], v[22:23], v[18:19]
	v_add_f32_e32 v14, v18, v19
	s_delay_alu instid0(VALU_DEP_1)
	v_cvt_f16_f32_e32 v14, v14
	global_store_b16 v[16:17], v14, off
.LBB382_32:                             ;   in Loop: Header=BB382_4 Depth=1
	s_wait_xcnt 0x0
	s_or_b32 exec_lo, exec_lo, s16
	s_delay_alu instid0(SALU_CYCLE_1)
	s_and_b32 exec_lo, exec_lo, s4
	s_cbranch_execz .LBB382_2
; %bb.33:                               ;   in Loop: Header=BB382_4 Depth=1
	global_load_u16 v18, v[20:21], off offset:32
	v_mov_b32_e32 v14, v15
	s_wait_loadcnt 0x0
	v_cvt_f32_f16_e32 v15, v18
	v_mov_b64_e32 v[18:19], s[40:41]
	s_delay_alu instid0(VALU_DEP_1) | instskip(NEXT) | instid1(VALU_DEP_1)
	v_pk_mul_f32 v[14:15], v[18:19], v[14:15]
	v_add_f32_e32 v14, v14, v15
	s_delay_alu instid0(VALU_DEP_1)
	v_cvt_f16_f32_e32 v14, v14
	global_store_b16 v[16:17], v14, off offset:32
	s_branch .LBB382_2
.LBB382_34:
	s_endpgm
	.section	.rodata,"a",@progbits
	.p2align	6, 0x0
	.amdhsa_kernel _ZN12_GLOBAL__N_135rocblas_gemm_batched_general_kernelIfLi16ELi16ELi32ELi32ELi8ELi32ELi8ELi8ELi32ELc84ELc78EKDF16_S1_DF16_EEvlllT_PT11_llS4_llS2_PT12_llPT13_lli
		.amdhsa_group_segment_fixed_size 2048
		.amdhsa_private_segment_fixed_size 0
		.amdhsa_kernarg_size 140
		.amdhsa_user_sgpr_count 2
		.amdhsa_user_sgpr_dispatch_ptr 0
		.amdhsa_user_sgpr_queue_ptr 0
		.amdhsa_user_sgpr_kernarg_segment_ptr 1
		.amdhsa_user_sgpr_dispatch_id 0
		.amdhsa_user_sgpr_kernarg_preload_length 0
		.amdhsa_user_sgpr_kernarg_preload_offset 0
		.amdhsa_user_sgpr_private_segment_size 0
		.amdhsa_wavefront_size32 1
		.amdhsa_uses_dynamic_stack 0
		.amdhsa_enable_private_segment 0
		.amdhsa_system_sgpr_workgroup_id_x 1
		.amdhsa_system_sgpr_workgroup_id_y 1
		.amdhsa_system_sgpr_workgroup_id_z 1
		.amdhsa_system_sgpr_workgroup_info 0
		.amdhsa_system_vgpr_workitem_id 1
		.amdhsa_next_free_vgpr 52
		.amdhsa_next_free_sgpr 42
		.amdhsa_named_barrier_count 0
		.amdhsa_reserve_vcc 1
		.amdhsa_float_round_mode_32 0
		.amdhsa_float_round_mode_16_64 0
		.amdhsa_float_denorm_mode_32 3
		.amdhsa_float_denorm_mode_16_64 3
		.amdhsa_fp16_overflow 0
		.amdhsa_memory_ordered 1
		.amdhsa_forward_progress 1
		.amdhsa_inst_pref_size 15
		.amdhsa_round_robin_scheduling 0
		.amdhsa_exception_fp_ieee_invalid_op 0
		.amdhsa_exception_fp_denorm_src 0
		.amdhsa_exception_fp_ieee_div_zero 0
		.amdhsa_exception_fp_ieee_overflow 0
		.amdhsa_exception_fp_ieee_underflow 0
		.amdhsa_exception_fp_ieee_inexact 0
		.amdhsa_exception_int_div_zero 0
	.end_amdhsa_kernel
	.section	.text._ZN12_GLOBAL__N_135rocblas_gemm_batched_general_kernelIfLi16ELi16ELi32ELi32ELi8ELi32ELi8ELi8ELi32ELc84ELc78EKDF16_S1_DF16_EEvlllT_PT11_llS4_llS2_PT12_llPT13_lli,"axG",@progbits,_ZN12_GLOBAL__N_135rocblas_gemm_batched_general_kernelIfLi16ELi16ELi32ELi32ELi8ELi32ELi8ELi8ELi32ELc84ELc78EKDF16_S1_DF16_EEvlllT_PT11_llS4_llS2_PT12_llPT13_lli,comdat
.Lfunc_end382:
	.size	_ZN12_GLOBAL__N_135rocblas_gemm_batched_general_kernelIfLi16ELi16ELi32ELi32ELi8ELi32ELi8ELi8ELi32ELc84ELc78EKDF16_S1_DF16_EEvlllT_PT11_llS4_llS2_PT12_llPT13_lli, .Lfunc_end382-_ZN12_GLOBAL__N_135rocblas_gemm_batched_general_kernelIfLi16ELi16ELi32ELi32ELi8ELi32ELi8ELi8ELi32ELc84ELc78EKDF16_S1_DF16_EEvlllT_PT11_llS4_llS2_PT12_llPT13_lli
                                        ; -- End function
	.set _ZN12_GLOBAL__N_135rocblas_gemm_batched_general_kernelIfLi16ELi16ELi32ELi32ELi8ELi32ELi8ELi8ELi32ELc84ELc78EKDF16_S1_DF16_EEvlllT_PT11_llS4_llS2_PT12_llPT13_lli.num_vgpr, 52
	.set _ZN12_GLOBAL__N_135rocblas_gemm_batched_general_kernelIfLi16ELi16ELi32ELi32ELi8ELi32ELi8ELi8ELi32ELc84ELc78EKDF16_S1_DF16_EEvlllT_PT11_llS4_llS2_PT12_llPT13_lli.num_agpr, 0
	.set _ZN12_GLOBAL__N_135rocblas_gemm_batched_general_kernelIfLi16ELi16ELi32ELi32ELi8ELi32ELi8ELi8ELi32ELc84ELc78EKDF16_S1_DF16_EEvlllT_PT11_llS4_llS2_PT12_llPT13_lli.numbered_sgpr, 42
	.set _ZN12_GLOBAL__N_135rocblas_gemm_batched_general_kernelIfLi16ELi16ELi32ELi32ELi8ELi32ELi8ELi8ELi32ELc84ELc78EKDF16_S1_DF16_EEvlllT_PT11_llS4_llS2_PT12_llPT13_lli.num_named_barrier, 0
	.set _ZN12_GLOBAL__N_135rocblas_gemm_batched_general_kernelIfLi16ELi16ELi32ELi32ELi8ELi32ELi8ELi8ELi32ELc84ELc78EKDF16_S1_DF16_EEvlllT_PT11_llS4_llS2_PT12_llPT13_lli.private_seg_size, 0
	.set _ZN12_GLOBAL__N_135rocblas_gemm_batched_general_kernelIfLi16ELi16ELi32ELi32ELi8ELi32ELi8ELi8ELi32ELc84ELc78EKDF16_S1_DF16_EEvlllT_PT11_llS4_llS2_PT12_llPT13_lli.uses_vcc, 1
	.set _ZN12_GLOBAL__N_135rocblas_gemm_batched_general_kernelIfLi16ELi16ELi32ELi32ELi8ELi32ELi8ELi8ELi32ELc84ELc78EKDF16_S1_DF16_EEvlllT_PT11_llS4_llS2_PT12_llPT13_lli.uses_flat_scratch, 0
	.set _ZN12_GLOBAL__N_135rocblas_gemm_batched_general_kernelIfLi16ELi16ELi32ELi32ELi8ELi32ELi8ELi8ELi32ELc84ELc78EKDF16_S1_DF16_EEvlllT_PT11_llS4_llS2_PT12_llPT13_lli.has_dyn_sized_stack, 0
	.set _ZN12_GLOBAL__N_135rocblas_gemm_batched_general_kernelIfLi16ELi16ELi32ELi32ELi8ELi32ELi8ELi8ELi32ELc84ELc78EKDF16_S1_DF16_EEvlllT_PT11_llS4_llS2_PT12_llPT13_lli.has_recursion, 0
	.set _ZN12_GLOBAL__N_135rocblas_gemm_batched_general_kernelIfLi16ELi16ELi32ELi32ELi8ELi32ELi8ELi8ELi32ELc84ELc78EKDF16_S1_DF16_EEvlllT_PT11_llS4_llS2_PT12_llPT13_lli.has_indirect_call, 0
	.section	.AMDGPU.csdata,"",@progbits
; Kernel info:
; codeLenInByte = 1816
; TotalNumSgprs: 44
; NumVgprs: 52
; ScratchSize: 0
; MemoryBound: 0
; FloatMode: 240
; IeeeMode: 1
; LDSByteSize: 2048 bytes/workgroup (compile time only)
; SGPRBlocks: 0
; VGPRBlocks: 3
; NumSGPRsForWavesPerEU: 44
; NumVGPRsForWavesPerEU: 52
; NamedBarCnt: 0
; Occupancy: 16
; WaveLimiterHint : 0
; COMPUTE_PGM_RSRC2:SCRATCH_EN: 0
; COMPUTE_PGM_RSRC2:USER_SGPR: 2
; COMPUTE_PGM_RSRC2:TRAP_HANDLER: 0
; COMPUTE_PGM_RSRC2:TGID_X_EN: 1
; COMPUTE_PGM_RSRC2:TGID_Y_EN: 1
; COMPUTE_PGM_RSRC2:TGID_Z_EN: 1
; COMPUTE_PGM_RSRC2:TIDIG_COMP_CNT: 1
	.section	.text._ZN12_GLOBAL__N_135rocblas_gemm_batched_general_kernelIfLi16ELi16ELi32ELi32ELi8ELi32ELi8ELi8ELi32ELc78ELc84EKDF16_S1_DF16_EEvlllT_PT11_llS4_llS2_PT12_llPT13_lli,"axG",@progbits,_ZN12_GLOBAL__N_135rocblas_gemm_batched_general_kernelIfLi16ELi16ELi32ELi32ELi8ELi32ELi8ELi8ELi32ELc78ELc84EKDF16_S1_DF16_EEvlllT_PT11_llS4_llS2_PT12_llPT13_lli,comdat
	.globl	_ZN12_GLOBAL__N_135rocblas_gemm_batched_general_kernelIfLi16ELi16ELi32ELi32ELi8ELi32ELi8ELi8ELi32ELc78ELc84EKDF16_S1_DF16_EEvlllT_PT11_llS4_llS2_PT12_llPT13_lli ; -- Begin function _ZN12_GLOBAL__N_135rocblas_gemm_batched_general_kernelIfLi16ELi16ELi32ELi32ELi8ELi32ELi8ELi8ELi32ELc78ELc84EKDF16_S1_DF16_EEvlllT_PT11_llS4_llS2_PT12_llPT13_lli
	.p2align	8
	.type	_ZN12_GLOBAL__N_135rocblas_gemm_batched_general_kernelIfLi16ELi16ELi32ELi32ELi8ELi32ELi8ELi8ELi32ELc78ELc84EKDF16_S1_DF16_EEvlllT_PT11_llS4_llS2_PT12_llPT13_lli,@function
_ZN12_GLOBAL__N_135rocblas_gemm_batched_general_kernelIfLi16ELi16ELi32ELi32ELi8ELi32ELi8ELi8ELi32ELc78ELc84EKDF16_S1_DF16_EEvlllT_PT11_llS4_llS2_PT12_llPT13_lli: ; @_ZN12_GLOBAL__N_135rocblas_gemm_batched_general_kernelIfLi16ELi16ELi32ELi32ELi8ELi32ELi8ELi8ELi32ELc78ELc84EKDF16_S1_DF16_EEvlllT_PT11_llS4_llS2_PT12_llPT13_lli
; %bb.0:
	s_load_b32 s33, s[0:1], 0x88
	s_bfe_u32 s2, ttmp6, 0x40014
	s_lshr_b32 s3, ttmp7, 16
	s_add_co_i32 s2, s2, 1
	s_bfe_u32 s5, ttmp6, 0x40008
	s_mul_i32 s4, s3, s2
	s_getreg_b32 s2, hwreg(HW_REG_IB_STS2, 6, 4)
	s_add_co_i32 s5, s5, s4
	s_cmp_eq_u32 s2, 0
	s_mov_b32 s35, 0
	s_cselect_b32 s34, s3, s5
	s_wait_kmcnt 0x0
	s_cmp_ge_i32 s34, s33
	s_cbranch_scc1 .LBB383_34
; %bb.1:
	s_clause 0x3
	s_load_b128 s[4:7], s[0:1], 0x0
	s_load_b256 s[16:23], s[0:1], 0x20
	s_load_b128 s[28:31], s[0:1], 0x40
	s_load_b32 s41, s[0:1], 0x50
	v_bfe_u32 v8, v0, 10, 10
	v_and_b32_e32 v10, 0x3ff, v0
	s_bfe_u32 s3, ttmp6, 0x4000c
	s_clause 0x1
	s_load_b128 s[24:27], s[0:1], 0x78
	s_load_b256 s[8:15], s[0:1], 0x58
	s_add_co_i32 s3, s3, 1
	s_bfe_u32 s38, ttmp6, 0x40010
	v_lshl_add_u32 v1, v8, 4, v10
	v_dual_mov_b32 v9, 0 :: v_dual_bitop2_b32 v0, 7, v0 bitop3:0x40
	s_and_b32 s36, ttmp6, 15
	s_mul_i32 s3, ttmp9, s3
	s_delay_alu instid0(VALU_DEP_2) | instskip(NEXT) | instid1(VALU_DEP_2)
	v_dual_lshrrev_b32 v2, 5, v1 :: v_dual_bitop2_b32 v22, 31, v1 bitop3:0x40
	v_dual_mov_b32 v3, v9 :: v_dual_lshrrev_b32 v12, 3, v1
	v_dual_mov_b32 v1, v9 :: v_dual_mov_b32 v13, v9
	s_and_b32 s37, ttmp7, 0xffff
	s_add_co_i32 s38, s38, 1
	s_add_co_i32 s36, s36, s3
	s_wait_kmcnt 0x0
	v_mul_u64_e32 v[14:15], s[28:29], v[0:1]
	s_mul_i32 s3, s37, s38
	s_bfe_u32 s38, ttmp6, 0x40004
	v_mul_u64_e32 v[16:17], s[18:19], v[2:3]
	s_add_co_i32 s38, s38, s3
	s_cmp_eq_u32 s2, 0
	s_mov_b32 s43, s35
	s_cselect_b32 s40, s37, s38
	s_cselect_b32 s2, ttmp9, s36
	s_lshl_b32 s42, s40, 5
	s_ashr_i32 s3, s2, 31
	v_add_nc_u64_e32 v[18:19], s[42:43], v[8:9]
	s_lshl_b64 s[44:45], s[2:3], 5
	v_add_nc_u64_e32 v[6:7], s[42:43], v[12:13]
	v_dual_mov_b32 v5, s45 :: v_dual_bitop2_b32 v4, s44, v22 bitop3:0x54
	v_mov_b32_e32 v11, v9
	s_load_b96 s[36:38], s[0:1], 0x10
	s_delay_alu instid0(VALU_DEP_4)
	v_mul_u64_e32 v[20:21], s[10:11], v[18:19]
	s_cmp_eq_f32 s41, 0
	s_wait_xcnt 0x0
	v_cmp_gt_i64_e64 s0, s[4:5], v[4:5]
	v_mul_u64_e32 v[4:5], s[24:25], v[18:19]
	v_cmp_gt_i64_e64 s1, s[6:7], v[6:7]
	v_lshl_add_u32 v30, v8, 5, 0x400
	v_lshlrev_b32_e32 v8, 1, v12
	v_add_nc_u64_e32 v[6:7], s[44:45], v[10:11]
	v_dual_lshlrev_b32 v23, 2, v0 :: v_dual_lshlrev_b32 v13, 2, v22
	s_cselect_b32 s39, -1, 0
	s_lshl_b32 s42, s40, 6
	v_lshlrev_b32_e32 v31, 2, v10
	s_delay_alu instid0(VALU_DEP_2)
	v_lshl_or_b32 v23, v12, 5, v23
	v_lshl_add_u64 v[14:15], v[14:15], 1, s[42:43]
	v_lshl_or_b32 v28, v2, 7, v13
	v_add_nc_u64_e32 v[10:11], 16, v[6:7]
	v_add_nc_u64_e32 v[12:13], 16, v[18:19]
	s_lshl_b64 s[2:3], s[2:3], 6
	v_add_nc_u64_e32 v[14:15], v[14:15], v[8:9]
	v_lshl_add_u64 v[16:17], v[16:17], 1, s[2:3]
	v_lshlrev_b32_e32 v8, 1, v22
	v_cmp_gt_i64_e64 s3, s[4:5], v[6:7]
	v_cmp_gt_i64_e64 s4, s[4:5], v[10:11]
	;; [unrolled: 1-line block ×4, first 2 shown]
	v_add_nc_u64_e32 v[12:13], v[16:17], v[8:9]
	s_lshl_b64 s[6:7], s[24:25], 4
	v_add_nc_u64_e32 v[10:11], s[22:23], v[14:15]
	s_wait_kmcnt 0x0
	v_cmp_gt_i64_e64 s24, s[36:37], 0
	v_add_nc_u32_e32 v29, 0x400, v23
	s_mov_b32 s40, s38
	v_lshl_add_u64 v[8:9], v[20:21], 1, s[8:9]
	v_add_nc_u64_e32 v[12:13], s[16:17], v[12:13]
	s_lshl_b64 s[10:11], s[10:11], 4
	s_lshl_b64 s[8:9], s[30:31], 1
	;; [unrolled: 1-line block ×5, first 2 shown]
	s_branch .LBB383_4
.LBB383_2:                              ;   in Loop: Header=BB383_4 Depth=1
	s_wait_xcnt 0x0
	s_or_b32 exec_lo, exec_lo, s25
.LBB383_3:                              ;   in Loop: Header=BB383_4 Depth=1
	s_add_co_i32 s34, s34, 0x10000
	s_delay_alu instid0(SALU_CYCLE_1)
	s_cmp_lt_i32 s34, s33
	s_cbranch_scc0 .LBB383_34
.LBB383_4:                              ; =>This Loop Header: Depth=1
                                        ;     Child Loop BB383_7 Depth 2
	v_dual_mov_b32 v17, 0 :: v_dual_mov_b32 v16, 0
	v_dual_mov_b32 v15, 0 :: v_dual_mov_b32 v14, 0
	s_and_not1_b32 vcc_lo, exec_lo, s24
	s_cbranch_vccnz .LBB383_11
; %bb.5:                                ;   in Loop: Header=BB383_4 Depth=1
	v_mad_nc_u64_u32 v[18:19], s8, s34, v[10:11]
	v_mad_nc_u64_u32 v[20:21], s20, s34, v[12:13]
	v_mov_b32_e32 v16, 0
	s_mov_b64 s[22:23], 0
	s_delay_alu instid0(VALU_DEP_1)
	v_dual_mov_b32 v17, v16 :: v_dual_mov_b32 v14, v16
	v_mov_b32_e32 v15, v16
	v_mad_u32 v19, s9, s34, v19
	v_mad_u32 v21, s21, s34, v21
	s_branch .LBB383_7
.LBB383_6:                              ;   in Loop: Header=BB383_7 Depth=2
	s_wait_xcnt 0x0
	s_or_b32 exec_lo, exec_lo, s25
	ds_store_b32 v29, v23
	s_wait_dscnt 0x0
	s_barrier_signal -1
	s_barrier_wait -1
	ds_load_b128 v[22:25], v30
	ds_load_2addr_b32 v[26:27], v31 offset1:16
	ds_load_b128 v[32:35], v30 offset:512
	ds_load_2addr_b32 v[44:45], v31 offset0:32 offset1:48
	ds_load_2addr_b32 v[46:47], v31 offset0:64 offset1:80
	;; [unrolled: 1-line block ×3, first 2 shown]
	ds_load_b128 v[36:39], v30 offset:16
	ds_load_2addr_b32 v[50:51], v31 offset0:128 offset1:144
	ds_load_b128 v[40:43], v30 offset:528
	s_add_nc_u64 s[22:23], s[22:23], 8
	v_add_nc_u64_e32 v[18:19], s[16:17], v[18:19]
	v_cmp_lt_i64_e64 s25, s[22:23], s[36:37]
	v_add_nc_u64_e32 v[20:21], s[18:19], v[20:21]
	s_and_b32 vcc_lo, exec_lo, s25
	s_wait_dscnt 0x7
	v_pk_fma_f32 v[16:17], v[26:27], v[22:23], v[16:17] op_sel_hi:[1,0,1]
	s_wait_dscnt 0x6
	v_pk_fma_f32 v[14:15], v[26:27], v[32:33], v[14:15] op_sel_hi:[1,0,1]
	ds_load_2addr_b32 v[26:27], v31 offset0:160 offset1:176
	s_wait_dscnt 0x6
	v_pk_fma_f32 v[16:17], v[44:45], v[22:23], v[16:17] op_sel:[0,1,0]
	v_pk_fma_f32 v[14:15], v[44:45], v[32:33], v[14:15] op_sel:[0,1,0]
	ds_load_2addr_b32 v[22:23], v31 offset0:192 offset1:208
	v_dual_mov_b32 v32, v25 :: v_dual_mov_b32 v44, v35
	s_wait_dscnt 0x6
	v_pk_fma_f32 v[16:17], v[46:47], v[24:25], v[16:17] op_sel_hi:[1,0,1]
	v_pk_fma_f32 v[14:15], v[46:47], v[34:35], v[14:15] op_sel_hi:[1,0,1]
	ds_load_2addr_b32 v[24:25], v31 offset0:224 offset1:240
	s_wait_dscnt 0x0
	s_barrier_signal -1
	v_pk_fma_f32 v[16:17], v[48:49], v[32:33], v[16:17] op_sel_hi:[1,0,1]
	v_pk_fma_f32 v[14:15], v[48:49], v[44:45], v[14:15] op_sel_hi:[1,0,1]
	s_barrier_wait -1
	v_mov_b32_e32 v32, v43
	s_delay_alu instid0(VALU_DEP_3) | instskip(NEXT) | instid1(VALU_DEP_3)
	v_pk_fma_f32 v[16:17], v[50:51], v[36:37], v[16:17] op_sel_hi:[1,0,1]
	v_pk_fma_f32 v[14:15], v[50:51], v[40:41], v[14:15] op_sel_hi:[1,0,1]
	s_delay_alu instid0(VALU_DEP_2) | instskip(NEXT) | instid1(VALU_DEP_2)
	v_pk_fma_f32 v[16:17], v[26:27], v[36:37], v[16:17] op_sel:[0,1,0]
	v_pk_fma_f32 v[14:15], v[26:27], v[40:41], v[14:15] op_sel:[0,1,0]
	v_mov_b32_e32 v26, v39
	s_delay_alu instid0(VALU_DEP_3) | instskip(NEXT) | instid1(VALU_DEP_3)
	v_pk_fma_f32 v[16:17], v[22:23], v[38:39], v[16:17] op_sel_hi:[1,0,1]
	v_pk_fma_f32 v[14:15], v[22:23], v[42:43], v[14:15] op_sel_hi:[1,0,1]
	s_delay_alu instid0(VALU_DEP_2) | instskip(NEXT) | instid1(VALU_DEP_2)
	v_pk_fma_f32 v[16:17], v[24:25], v[26:27], v[16:17] op_sel_hi:[1,0,1]
	v_pk_fma_f32 v[14:15], v[24:25], v[32:33], v[14:15] op_sel_hi:[1,0,1]
	s_cbranch_vccz .LBB383_11
.LBB383_7:                              ;   Parent Loop BB383_4 Depth=1
                                        ; =>  This Inner Loop Header: Depth=2
	v_add_nc_u64_e32 v[22:23], s[22:23], v[2:3]
	s_delay_alu instid0(VALU_DEP_1) | instskip(SKIP_2) | instid1(SALU_CYCLE_1)
	v_cmp_gt_i64_e32 vcc_lo, s[36:37], v[22:23]
	v_mov_b32_e32 v22, 0
	s_and_b32 s28, s0, vcc_lo
	s_and_saveexec_b32 s25, s28
	s_cbranch_execz .LBB383_9
; %bb.8:                                ;   in Loop: Header=BB383_7 Depth=2
	global_load_u16 v22, v[20:21], off
	s_wait_loadcnt 0x0
	v_cvt_f32_f16_e32 v22, v22
.LBB383_9:                              ;   in Loop: Header=BB383_7 Depth=2
	s_wait_xcnt 0x0
	s_or_b32 exec_lo, exec_lo, s25
	v_add_nc_u64_e32 v[24:25], s[22:23], v[0:1]
	v_mov_b32_e32 v23, 0
	ds_store_b32 v28, v22
	v_cmp_gt_i64_e32 vcc_lo, s[36:37], v[24:25]
	s_and_b32 s28, vcc_lo, s1
	s_delay_alu instid0(SALU_CYCLE_1)
	s_and_saveexec_b32 s25, s28
	s_cbranch_execz .LBB383_6
; %bb.10:                               ;   in Loop: Header=BB383_7 Depth=2
	global_load_u16 v22, v[18:19], off
	s_wait_loadcnt 0x0
	v_cvt_f32_f16_e32 v23, v22
	s_branch .LBB383_6
.LBB383_11:                             ;   in Loop: Header=BB383_4 Depth=1
	s_mul_u64 s[22:23], s[26:27], s[34:35]
	s_and_not1_b32 vcc_lo, exec_lo, s39
	s_lshl_b64 s[22:23], s[22:23], 1
	s_delay_alu instid0(SALU_CYCLE_1)
	s_add_nc_u64 s[22:23], s[14:15], s[22:23]
	s_cbranch_vccnz .LBB383_16
; %bb.12:                               ;   in Loop: Header=BB383_4 Depth=1
	s_and_saveexec_b32 s25, s2
	s_cbranch_execz .LBB383_23
; %bb.13:                               ;   in Loop: Header=BB383_4 Depth=1
	v_lshl_add_u64 v[18:19], v[4:5], 1, s[22:23]
	s_delay_alu instid0(VALU_DEP_1)
	v_lshl_add_u64 v[20:21], v[6:7], 1, v[18:19]
	s_and_saveexec_b32 s28, s3
	s_cbranch_execnz .LBB383_17
; %bb.14:                               ;   in Loop: Header=BB383_4 Depth=1
	s_or_b32 exec_lo, exec_lo, s28
	s_and_saveexec_b32 s28, s4
	s_cbranch_execnz .LBB383_18
.LBB383_15:                             ;   in Loop: Header=BB383_4 Depth=1
	s_or_b32 exec_lo, exec_lo, s28
	s_delay_alu instid0(SALU_CYCLE_1)
	s_and_b32 exec_lo, exec_lo, s5
	s_cbranch_execnz .LBB383_19
	s_branch .LBB383_23
.LBB383_16:                             ;   in Loop: Header=BB383_4 Depth=1
	s_branch .LBB383_24
.LBB383_17:                             ;   in Loop: Header=BB383_4 Depth=1
	v_fma_mixlo_f16 v22, s38, v16, 0
	global_store_b16 v[20:21], v22, off
	s_wait_xcnt 0x0
	s_or_b32 exec_lo, exec_lo, s28
	s_and_saveexec_b32 s28, s4
	s_cbranch_execz .LBB383_15
.LBB383_18:                             ;   in Loop: Header=BB383_4 Depth=1
	v_fma_mixlo_f16 v22, s38, v17, 0
	global_store_b16 v[20:21], v22, off offset:32
	s_wait_xcnt 0x0
	s_or_b32 exec_lo, exec_lo, s28
	s_delay_alu instid0(SALU_CYCLE_1)
	s_and_b32 exec_lo, exec_lo, s5
	s_cbranch_execz .LBB383_23
.LBB383_19:                             ;   in Loop: Header=BB383_4 Depth=1
	v_lshl_add_u64 v[18:19], s[6:7], 1, v[18:19]
	s_delay_alu instid0(VALU_DEP_1)
	v_lshl_add_u64 v[18:19], v[6:7], 1, v[18:19]
	s_and_saveexec_b32 s28, s3
	s_cbranch_execz .LBB383_21
; %bb.20:                               ;   in Loop: Header=BB383_4 Depth=1
	v_fma_mixlo_f16 v20, s38, v14, 0
	global_store_b16 v[18:19], v20, off
.LBB383_21:                             ;   in Loop: Header=BB383_4 Depth=1
	s_wait_xcnt 0x0
	s_or_b32 exec_lo, exec_lo, s28
	s_delay_alu instid0(SALU_CYCLE_1)
	s_and_b32 exec_lo, exec_lo, s4
	s_cbranch_execz .LBB383_23
; %bb.22:                               ;   in Loop: Header=BB383_4 Depth=1
	v_fma_mixlo_f16 v20, s38, v15, 0
	global_store_b16 v[18:19], v20, off offset:32
.LBB383_23:                             ;   in Loop: Header=BB383_4 Depth=1
	s_wait_xcnt 0x0
	s_or_b32 exec_lo, exec_lo, s25
	s_cbranch_execnz .LBB383_3
.LBB383_24:                             ;   in Loop: Header=BB383_4 Depth=1
	s_and_saveexec_b32 s25, s2
	s_cbranch_execz .LBB383_2
; %bb.25:                               ;   in Loop: Header=BB383_4 Depth=1
	s_mul_u64 s[28:29], s[12:13], s[34:35]
	v_lshlrev_b64_e32 v[18:19], 1, v[6:7]
	v_lshl_add_u64 v[20:21], s[28:29], 1, v[8:9]
	v_lshl_add_u64 v[22:23], v[4:5], 1, s[22:23]
	s_delay_alu instid0(VALU_DEP_2) | instskip(NEXT) | instid1(VALU_DEP_2)
	v_add_nc_u64_e32 v[26:27], v[20:21], v[18:19]
	v_add_nc_u64_e32 v[24:25], v[22:23], v[18:19]
	s_and_saveexec_b32 s22, s3
	s_cbranch_execnz .LBB383_28
; %bb.26:                               ;   in Loop: Header=BB383_4 Depth=1
	s_or_b32 exec_lo, exec_lo, s22
	s_and_saveexec_b32 s22, s4
	s_cbranch_execnz .LBB383_29
.LBB383_27:                             ;   in Loop: Header=BB383_4 Depth=1
	s_or_b32 exec_lo, exec_lo, s22
	s_delay_alu instid0(SALU_CYCLE_1)
	s_and_b32 exec_lo, exec_lo, s5
	s_cbranch_execz .LBB383_2
	s_branch .LBB383_30
.LBB383_28:                             ;   in Loop: Header=BB383_4 Depth=1
	global_load_u16 v33, v[26:27], off
	v_mov_b64_e32 v[34:35], s[40:41]
	v_mov_b32_e32 v32, v16
	s_wait_loadcnt 0x0
	v_cvt_f32_f16_e32 v33, v33
	s_delay_alu instid0(VALU_DEP_1) | instskip(NEXT) | instid1(VALU_DEP_1)
	v_pk_mul_f32 v[32:33], v[34:35], v[32:33]
	v_add_f32_e32 v16, v32, v33
	s_delay_alu instid0(VALU_DEP_1)
	v_cvt_f16_f32_e32 v16, v16
	global_store_b16 v[24:25], v16, off
	s_wait_xcnt 0x0
	s_or_b32 exec_lo, exec_lo, s22
	s_and_saveexec_b32 s22, s4
	s_cbranch_execz .LBB383_27
.LBB383_29:                             ;   in Loop: Header=BB383_4 Depth=1
	global_load_u16 v26, v[26:27], off offset:32
	v_mov_b32_e32 v16, v17
	s_wait_loadcnt 0x0
	v_cvt_f32_f16_e32 v17, v26
	s_wait_xcnt 0x0
	v_mov_b64_e32 v[26:27], s[40:41]
	s_delay_alu instid0(VALU_DEP_1) | instskip(NEXT) | instid1(VALU_DEP_1)
	v_pk_mul_f32 v[16:17], v[26:27], v[16:17]
	v_add_f32_e32 v16, v16, v17
	s_delay_alu instid0(VALU_DEP_1) | instskip(SKIP_3) | instid1(SALU_CYCLE_1)
	v_cvt_f16_f32_e32 v16, v16
	global_store_b16 v[24:25], v16, off offset:32
	s_wait_xcnt 0x0
	s_or_b32 exec_lo, exec_lo, s22
	s_and_b32 exec_lo, exec_lo, s5
	s_cbranch_execz .LBB383_2
.LBB383_30:                             ;   in Loop: Header=BB383_4 Depth=1
	v_lshl_add_u64 v[16:17], s[10:11], 1, v[20:21]
	v_lshl_add_u64 v[22:23], s[6:7], 1, v[22:23]
	s_delay_alu instid0(VALU_DEP_2) | instskip(NEXT) | instid1(VALU_DEP_2)
	v_add_nc_u64_e32 v[20:21], v[16:17], v[18:19]
	v_add_nc_u64_e32 v[16:17], v[22:23], v[18:19]
	s_and_saveexec_b32 s22, s3
	s_cbranch_execz .LBB383_32
; %bb.31:                               ;   in Loop: Header=BB383_4 Depth=1
	global_load_u16 v19, v[20:21], off
	v_mov_b64_e32 v[22:23], s[40:41]
	v_mov_b32_e32 v18, v14
	s_wait_loadcnt 0x0
	v_cvt_f32_f16_e32 v19, v19
	s_delay_alu instid0(VALU_DEP_1) | instskip(NEXT) | instid1(VALU_DEP_1)
	v_pk_mul_f32 v[18:19], v[22:23], v[18:19]
	v_add_f32_e32 v14, v18, v19
	s_delay_alu instid0(VALU_DEP_1)
	v_cvt_f16_f32_e32 v14, v14
	global_store_b16 v[16:17], v14, off
.LBB383_32:                             ;   in Loop: Header=BB383_4 Depth=1
	s_wait_xcnt 0x0
	s_or_b32 exec_lo, exec_lo, s22
	s_delay_alu instid0(SALU_CYCLE_1)
	s_and_b32 exec_lo, exec_lo, s4
	s_cbranch_execz .LBB383_2
; %bb.33:                               ;   in Loop: Header=BB383_4 Depth=1
	global_load_u16 v18, v[20:21], off offset:32
	v_mov_b32_e32 v14, v15
	s_wait_loadcnt 0x0
	v_cvt_f32_f16_e32 v15, v18
	v_mov_b64_e32 v[18:19], s[40:41]
	s_delay_alu instid0(VALU_DEP_1) | instskip(NEXT) | instid1(VALU_DEP_1)
	v_pk_mul_f32 v[14:15], v[18:19], v[14:15]
	v_add_f32_e32 v14, v14, v15
	s_delay_alu instid0(VALU_DEP_1)
	v_cvt_f16_f32_e32 v14, v14
	global_store_b16 v[16:17], v14, off offset:32
	s_branch .LBB383_2
.LBB383_34:
	s_endpgm
	.section	.rodata,"a",@progbits
	.p2align	6, 0x0
	.amdhsa_kernel _ZN12_GLOBAL__N_135rocblas_gemm_batched_general_kernelIfLi16ELi16ELi32ELi32ELi8ELi32ELi8ELi8ELi32ELc78ELc84EKDF16_S1_DF16_EEvlllT_PT11_llS4_llS2_PT12_llPT13_lli
		.amdhsa_group_segment_fixed_size 2048
		.amdhsa_private_segment_fixed_size 0
		.amdhsa_kernarg_size 140
		.amdhsa_user_sgpr_count 2
		.amdhsa_user_sgpr_dispatch_ptr 0
		.amdhsa_user_sgpr_queue_ptr 0
		.amdhsa_user_sgpr_kernarg_segment_ptr 1
		.amdhsa_user_sgpr_dispatch_id 0
		.amdhsa_user_sgpr_kernarg_preload_length 0
		.amdhsa_user_sgpr_kernarg_preload_offset 0
		.amdhsa_user_sgpr_private_segment_size 0
		.amdhsa_wavefront_size32 1
		.amdhsa_uses_dynamic_stack 0
		.amdhsa_enable_private_segment 0
		.amdhsa_system_sgpr_workgroup_id_x 1
		.amdhsa_system_sgpr_workgroup_id_y 1
		.amdhsa_system_sgpr_workgroup_id_z 1
		.amdhsa_system_sgpr_workgroup_info 0
		.amdhsa_system_vgpr_workitem_id 1
		.amdhsa_next_free_vgpr 52
		.amdhsa_next_free_sgpr 46
		.amdhsa_named_barrier_count 0
		.amdhsa_reserve_vcc 1
		.amdhsa_float_round_mode_32 0
		.amdhsa_float_round_mode_16_64 0
		.amdhsa_float_denorm_mode_32 3
		.amdhsa_float_denorm_mode_16_64 3
		.amdhsa_fp16_overflow 0
		.amdhsa_memory_ordered 1
		.amdhsa_forward_progress 1
		.amdhsa_inst_pref_size 15
		.amdhsa_round_robin_scheduling 0
		.amdhsa_exception_fp_ieee_invalid_op 0
		.amdhsa_exception_fp_denorm_src 0
		.amdhsa_exception_fp_ieee_div_zero 0
		.amdhsa_exception_fp_ieee_overflow 0
		.amdhsa_exception_fp_ieee_underflow 0
		.amdhsa_exception_fp_ieee_inexact 0
		.amdhsa_exception_int_div_zero 0
	.end_amdhsa_kernel
	.section	.text._ZN12_GLOBAL__N_135rocblas_gemm_batched_general_kernelIfLi16ELi16ELi32ELi32ELi8ELi32ELi8ELi8ELi32ELc78ELc84EKDF16_S1_DF16_EEvlllT_PT11_llS4_llS2_PT12_llPT13_lli,"axG",@progbits,_ZN12_GLOBAL__N_135rocblas_gemm_batched_general_kernelIfLi16ELi16ELi32ELi32ELi8ELi32ELi8ELi8ELi32ELc78ELc84EKDF16_S1_DF16_EEvlllT_PT11_llS4_llS2_PT12_llPT13_lli,comdat
.Lfunc_end383:
	.size	_ZN12_GLOBAL__N_135rocblas_gemm_batched_general_kernelIfLi16ELi16ELi32ELi32ELi8ELi32ELi8ELi8ELi32ELc78ELc84EKDF16_S1_DF16_EEvlllT_PT11_llS4_llS2_PT12_llPT13_lli, .Lfunc_end383-_ZN12_GLOBAL__N_135rocblas_gemm_batched_general_kernelIfLi16ELi16ELi32ELi32ELi8ELi32ELi8ELi8ELi32ELc78ELc84EKDF16_S1_DF16_EEvlllT_PT11_llS4_llS2_PT12_llPT13_lli
                                        ; -- End function
	.set _ZN12_GLOBAL__N_135rocblas_gemm_batched_general_kernelIfLi16ELi16ELi32ELi32ELi8ELi32ELi8ELi8ELi32ELc78ELc84EKDF16_S1_DF16_EEvlllT_PT11_llS4_llS2_PT12_llPT13_lli.num_vgpr, 52
	.set _ZN12_GLOBAL__N_135rocblas_gemm_batched_general_kernelIfLi16ELi16ELi32ELi32ELi8ELi32ELi8ELi8ELi32ELc78ELc84EKDF16_S1_DF16_EEvlllT_PT11_llS4_llS2_PT12_llPT13_lli.num_agpr, 0
	.set _ZN12_GLOBAL__N_135rocblas_gemm_batched_general_kernelIfLi16ELi16ELi32ELi32ELi8ELi32ELi8ELi8ELi32ELc78ELc84EKDF16_S1_DF16_EEvlllT_PT11_llS4_llS2_PT12_llPT13_lli.numbered_sgpr, 46
	.set _ZN12_GLOBAL__N_135rocblas_gemm_batched_general_kernelIfLi16ELi16ELi32ELi32ELi8ELi32ELi8ELi8ELi32ELc78ELc84EKDF16_S1_DF16_EEvlllT_PT11_llS4_llS2_PT12_llPT13_lli.num_named_barrier, 0
	.set _ZN12_GLOBAL__N_135rocblas_gemm_batched_general_kernelIfLi16ELi16ELi32ELi32ELi8ELi32ELi8ELi8ELi32ELc78ELc84EKDF16_S1_DF16_EEvlllT_PT11_llS4_llS2_PT12_llPT13_lli.private_seg_size, 0
	.set _ZN12_GLOBAL__N_135rocblas_gemm_batched_general_kernelIfLi16ELi16ELi32ELi32ELi8ELi32ELi8ELi8ELi32ELc78ELc84EKDF16_S1_DF16_EEvlllT_PT11_llS4_llS2_PT12_llPT13_lli.uses_vcc, 1
	.set _ZN12_GLOBAL__N_135rocblas_gemm_batched_general_kernelIfLi16ELi16ELi32ELi32ELi8ELi32ELi8ELi8ELi32ELc78ELc84EKDF16_S1_DF16_EEvlllT_PT11_llS4_llS2_PT12_llPT13_lli.uses_flat_scratch, 0
	.set _ZN12_GLOBAL__N_135rocblas_gemm_batched_general_kernelIfLi16ELi16ELi32ELi32ELi8ELi32ELi8ELi8ELi32ELc78ELc84EKDF16_S1_DF16_EEvlllT_PT11_llS4_llS2_PT12_llPT13_lli.has_dyn_sized_stack, 0
	.set _ZN12_GLOBAL__N_135rocblas_gemm_batched_general_kernelIfLi16ELi16ELi32ELi32ELi8ELi32ELi8ELi8ELi32ELc78ELc84EKDF16_S1_DF16_EEvlllT_PT11_llS4_llS2_PT12_llPT13_lli.has_recursion, 0
	.set _ZN12_GLOBAL__N_135rocblas_gemm_batched_general_kernelIfLi16ELi16ELi32ELi32ELi8ELi32ELi8ELi8ELi32ELc78ELc84EKDF16_S1_DF16_EEvlllT_PT11_llS4_llS2_PT12_llPT13_lli.has_indirect_call, 0
	.section	.AMDGPU.csdata,"",@progbits
; Kernel info:
; codeLenInByte = 1852
; TotalNumSgprs: 48
; NumVgprs: 52
; ScratchSize: 0
; MemoryBound: 0
; FloatMode: 240
; IeeeMode: 1
; LDSByteSize: 2048 bytes/workgroup (compile time only)
; SGPRBlocks: 0
; VGPRBlocks: 3
; NumSGPRsForWavesPerEU: 48
; NumVGPRsForWavesPerEU: 52
; NamedBarCnt: 0
; Occupancy: 16
; WaveLimiterHint : 0
; COMPUTE_PGM_RSRC2:SCRATCH_EN: 0
; COMPUTE_PGM_RSRC2:USER_SGPR: 2
; COMPUTE_PGM_RSRC2:TRAP_HANDLER: 0
; COMPUTE_PGM_RSRC2:TGID_X_EN: 1
; COMPUTE_PGM_RSRC2:TGID_Y_EN: 1
; COMPUTE_PGM_RSRC2:TGID_Z_EN: 1
; COMPUTE_PGM_RSRC2:TIDIG_COMP_CNT: 1
	.section	.text._ZN12_GLOBAL__N_135rocblas_gemm_batched_general_kernelIfLi16ELi16ELi32ELi32ELi8ELi32ELi8ELi8ELi32ELc84ELc84EKDF16_S1_DF16_EEvlllT_PT11_llS4_llS2_PT12_llPT13_lli,"axG",@progbits,_ZN12_GLOBAL__N_135rocblas_gemm_batched_general_kernelIfLi16ELi16ELi32ELi32ELi8ELi32ELi8ELi8ELi32ELc84ELc84EKDF16_S1_DF16_EEvlllT_PT11_llS4_llS2_PT12_llPT13_lli,comdat
	.globl	_ZN12_GLOBAL__N_135rocblas_gemm_batched_general_kernelIfLi16ELi16ELi32ELi32ELi8ELi32ELi8ELi8ELi32ELc84ELc84EKDF16_S1_DF16_EEvlllT_PT11_llS4_llS2_PT12_llPT13_lli ; -- Begin function _ZN12_GLOBAL__N_135rocblas_gemm_batched_general_kernelIfLi16ELi16ELi32ELi32ELi8ELi32ELi8ELi8ELi32ELc84ELc84EKDF16_S1_DF16_EEvlllT_PT11_llS4_llS2_PT12_llPT13_lli
	.p2align	8
	.type	_ZN12_GLOBAL__N_135rocblas_gemm_batched_general_kernelIfLi16ELi16ELi32ELi32ELi8ELi32ELi8ELi8ELi32ELc84ELc84EKDF16_S1_DF16_EEvlllT_PT11_llS4_llS2_PT12_llPT13_lli,@function
_ZN12_GLOBAL__N_135rocblas_gemm_batched_general_kernelIfLi16ELi16ELi32ELi32ELi8ELi32ELi8ELi8ELi32ELc84ELc84EKDF16_S1_DF16_EEvlllT_PT11_llS4_llS2_PT12_llPT13_lli: ; @_ZN12_GLOBAL__N_135rocblas_gemm_batched_general_kernelIfLi16ELi16ELi32ELi32ELi8ELi32ELi8ELi8ELi32ELc84ELc84EKDF16_S1_DF16_EEvlllT_PT11_llS4_llS2_PT12_llPT13_lli
; %bb.0:
	s_load_b32 s33, s[0:1], 0x88
	s_bfe_u32 s2, ttmp6, 0x40014
	s_lshr_b32 s3, ttmp7, 16
	s_add_co_i32 s2, s2, 1
	s_bfe_u32 s5, ttmp6, 0x40008
	s_mul_i32 s4, s3, s2
	s_getreg_b32 s2, hwreg(HW_REG_IB_STS2, 6, 4)
	s_add_co_i32 s5, s5, s4
	s_cmp_eq_u32 s2, 0
	s_mov_b32 s35, 0
	s_cselect_b32 s34, s3, s5
	s_wait_kmcnt 0x0
	s_cmp_ge_i32 s34, s33
	s_cbranch_scc1 .LBB384_34
; %bb.1:
	s_clause 0x4
	s_load_b128 s[4:7], s[0:1], 0x0
	s_load_b256 s[16:23], s[0:1], 0x20
	s_load_b128 s[28:31], s[0:1], 0x40
	s_load_b32 s41, s[0:1], 0x50
	s_load_b256 s[8:15], s[0:1], 0x58
	v_bfe_u32 v8, v0, 10, 10
	v_and_b32_e32 v10, 0x3ff, v0
	v_dual_mov_b32 v9, 0 :: v_dual_bitop2_b32 v0, 7, v0 bitop3:0x40
	s_bfe_u32 s3, ttmp6, 0x4000c
	s_bfe_u32 s25, ttmp6, 0x40010
	s_add_co_i32 s3, s3, 1
	s_and_b32 s26, ttmp7, 0xffff
	s_add_co_i32 s25, s25, 1
	s_and_b32 s24, ttmp6, 15
	s_mul_i32 s3, ttmp9, s3
	s_mul_i32 s25, s26, s25
	s_bfe_u32 s27, ttmp6, 0x40004
	v_lshl_add_u32 v2, v8, 4, v10
	v_mov_b32_e32 v1, v9
	s_add_co_i32 s24, s24, s3
	s_add_co_i32 s27, s27, s25
	s_cmp_eq_u32 s2, 0
	v_and_b32_e32 v3, 31, v2
	s_cselect_b32 s2, ttmp9, s24
	s_wait_kmcnt 0x0
	v_mul_u64_e32 v[12:13], s[28:29], v[0:1]
	s_cselect_b32 s40, s26, s27
	s_ashr_i32 s3, s2, 31
	s_clause 0x1
	s_load_b128 s[24:27], s[0:1], 0x78
	s_load_b96 s[36:38], s[0:1], 0x10
	s_lshl_b64 s[2:3], s[2:3], 5
	s_lshl_b32 s42, s40, 5
	v_dual_mov_b32 v5, s3 :: v_dual_bitop2_b32 v4, s2, v3 bitop3:0x54
	s_mov_b32 s43, s35
	v_dual_mov_b32 v11, v9 :: v_dual_lshrrev_b32 v16, 3, v2
	v_add_nc_u64_e32 v[14:15], s[42:43], v[8:9]
	s_delay_alu instid0(VALU_DEP_3)
	v_mul_u64_e32 v[18:19], s[18:19], v[4:5]
	v_dual_mov_b32 v17, v9 :: v_dual_lshrrev_b32 v2, 5, v2
	s_wait_xcnt 0x0
	v_cmp_gt_i64_e64 s0, s[4:5], v[4:5]
	s_cmp_eq_f32 s41, 0
	v_dual_lshlrev_b32 v22, 2, v0 :: v_dual_lshlrev_b32 v23, 2, v3
	v_mul_u64_e32 v[20:21], s[10:11], v[14:15]
	v_add_nc_u64_e32 v[6:7], s[42:43], v[16:17]
	s_cselect_b32 s39, -1, 0
	s_wait_kmcnt 0x0
	v_mul_u64_e32 v[4:5], s[24:25], v[14:15]
	v_mov_b32_e32 v3, v9
	v_lshl_add_u32 v30, v8, 5, 0x400
	v_lshlrev_b32_e32 v8, 1, v16
	v_lshl_or_b32 v17, v16, 5, v22
	v_cmp_gt_i64_e64 s1, s[6:7], v[6:7]
	v_add_nc_u64_e32 v[6:7], s[2:3], v[10:11]
	s_lshl_b32 s2, s40, 6
	s_mov_b32 s3, s35
	v_lshlrev_b32_e32 v31, 2, v10
	v_lshl_add_u64 v[12:13], v[12:13], 1, s[2:3]
	v_lshl_or_b32 v28, v2, 7, v23
	v_add_nc_u32_e32 v29, 0x400, v17
	v_add_nc_u64_e32 v[16:17], 16, v[6:7]
	v_add_nc_u64_e32 v[22:23], 16, v[14:15]
	;; [unrolled: 1-line block ×3, first 2 shown]
	v_lshlrev_b32_e32 v8, 1, v2
	v_cmp_gt_i64_e64 s2, s[6:7], v[14:15]
	v_cmp_gt_i64_e64 s3, s[4:5], v[6:7]
	s_mov_b32 s40, s38
	v_cmp_gt_i64_e64 s4, s[4:5], v[16:17]
	v_cmp_gt_i64_e64 s5, s[6:7], v[22:23]
	v_lshl_add_u64 v[12:13], v[18:19], 1, v[8:9]
	v_add_nc_u64_e32 v[10:11], s[22:23], v[10:11]
	v_cmp_gt_i64_e64 s22, s[36:37], 0
	s_lshl_b64 s[6:7], s[24:25], 4
	s_lshl_b64 s[10:11], s[10:11], 4
	v_add_nc_u64_e32 v[12:13], s[16:17], v[12:13]
	s_lshl_b64 s[16:17], s[28:29], 4
	v_lshl_add_u64 v[8:9], v[20:21], 1, s[8:9]
	s_lshl_b64 s[8:9], s[30:31], 1
	s_lshl_b64 s[18:19], s[20:21], 1
	s_branch .LBB384_4
.LBB384_2:                              ;   in Loop: Header=BB384_4 Depth=1
	s_wait_xcnt 0x0
	s_or_b32 exec_lo, exec_lo, s23
.LBB384_3:                              ;   in Loop: Header=BB384_4 Depth=1
	s_add_co_i32 s34, s34, 0x10000
	s_delay_alu instid0(SALU_CYCLE_1)
	s_cmp_lt_i32 s34, s33
	s_cbranch_scc0 .LBB384_34
.LBB384_4:                              ; =>This Loop Header: Depth=1
                                        ;     Child Loop BB384_7 Depth 2
	v_dual_mov_b32 v17, 0 :: v_dual_mov_b32 v16, 0
	v_dual_mov_b32 v15, 0 :: v_dual_mov_b32 v14, 0
	s_and_not1_b32 vcc_lo, exec_lo, s22
	s_cbranch_vccnz .LBB384_11
; %bb.5:                                ;   in Loop: Header=BB384_4 Depth=1
	v_mad_nc_u64_u32 v[18:19], s8, s34, v[10:11]
	v_mad_nc_u64_u32 v[20:21], s18, s34, v[12:13]
	v_mov_b32_e32 v16, 0
	s_mov_b64 s[20:21], 0
	s_delay_alu instid0(VALU_DEP_1)
	v_dual_mov_b32 v17, v16 :: v_dual_mov_b32 v14, v16
	v_mov_b32_e32 v15, v16
	v_mad_u32 v19, s9, s34, v19
	v_mad_u32 v21, s19, s34, v21
	s_branch .LBB384_7
.LBB384_6:                              ;   in Loop: Header=BB384_7 Depth=2
	s_wait_xcnt 0x0
	s_or_b32 exec_lo, exec_lo, s23
	ds_store_b32 v29, v23
	s_wait_dscnt 0x0
	s_barrier_signal -1
	s_barrier_wait -1
	ds_load_b128 v[22:25], v30
	ds_load_2addr_b32 v[26:27], v31 offset1:16
	ds_load_b128 v[32:35], v30 offset:512
	ds_load_2addr_b32 v[44:45], v31 offset0:32 offset1:48
	ds_load_2addr_b32 v[46:47], v31 offset0:64 offset1:80
	;; [unrolled: 1-line block ×3, first 2 shown]
	ds_load_b128 v[36:39], v30 offset:16
	ds_load_2addr_b32 v[50:51], v31 offset0:128 offset1:144
	ds_load_b128 v[40:43], v30 offset:528
	s_add_nc_u64 s[20:21], s[20:21], 8
	v_add_nc_u64_e32 v[18:19], s[16:17], v[18:19]
	v_cmp_lt_i64_e64 s23, s[20:21], s[36:37]
	v_add_nc_u64_e32 v[20:21], 16, v[20:21]
	s_and_b32 vcc_lo, exec_lo, s23
	s_wait_dscnt 0x7
	v_pk_fma_f32 v[16:17], v[26:27], v[22:23], v[16:17] op_sel_hi:[1,0,1]
	s_wait_dscnt 0x6
	v_pk_fma_f32 v[14:15], v[26:27], v[32:33], v[14:15] op_sel_hi:[1,0,1]
	ds_load_2addr_b32 v[26:27], v31 offset0:160 offset1:176
	s_wait_dscnt 0x6
	v_pk_fma_f32 v[16:17], v[44:45], v[22:23], v[16:17] op_sel:[0,1,0]
	v_pk_fma_f32 v[14:15], v[44:45], v[32:33], v[14:15] op_sel:[0,1,0]
	ds_load_2addr_b32 v[22:23], v31 offset0:192 offset1:208
	v_dual_mov_b32 v32, v25 :: v_dual_mov_b32 v44, v35
	s_wait_dscnt 0x6
	v_pk_fma_f32 v[16:17], v[46:47], v[24:25], v[16:17] op_sel_hi:[1,0,1]
	v_pk_fma_f32 v[14:15], v[46:47], v[34:35], v[14:15] op_sel_hi:[1,0,1]
	ds_load_2addr_b32 v[24:25], v31 offset0:224 offset1:240
	s_wait_dscnt 0x0
	s_barrier_signal -1
	v_pk_fma_f32 v[16:17], v[48:49], v[32:33], v[16:17] op_sel_hi:[1,0,1]
	v_pk_fma_f32 v[14:15], v[48:49], v[44:45], v[14:15] op_sel_hi:[1,0,1]
	s_barrier_wait -1
	v_mov_b32_e32 v32, v43
	s_delay_alu instid0(VALU_DEP_3) | instskip(NEXT) | instid1(VALU_DEP_3)
	v_pk_fma_f32 v[16:17], v[50:51], v[36:37], v[16:17] op_sel_hi:[1,0,1]
	v_pk_fma_f32 v[14:15], v[50:51], v[40:41], v[14:15] op_sel_hi:[1,0,1]
	s_delay_alu instid0(VALU_DEP_2) | instskip(NEXT) | instid1(VALU_DEP_2)
	v_pk_fma_f32 v[16:17], v[26:27], v[36:37], v[16:17] op_sel:[0,1,0]
	v_pk_fma_f32 v[14:15], v[26:27], v[40:41], v[14:15] op_sel:[0,1,0]
	v_mov_b32_e32 v26, v39
	s_delay_alu instid0(VALU_DEP_3) | instskip(NEXT) | instid1(VALU_DEP_3)
	v_pk_fma_f32 v[16:17], v[22:23], v[38:39], v[16:17] op_sel_hi:[1,0,1]
	v_pk_fma_f32 v[14:15], v[22:23], v[42:43], v[14:15] op_sel_hi:[1,0,1]
	s_delay_alu instid0(VALU_DEP_2) | instskip(NEXT) | instid1(VALU_DEP_2)
	v_pk_fma_f32 v[16:17], v[24:25], v[26:27], v[16:17] op_sel_hi:[1,0,1]
	v_pk_fma_f32 v[14:15], v[24:25], v[32:33], v[14:15] op_sel_hi:[1,0,1]
	s_cbranch_vccz .LBB384_11
.LBB384_7:                              ;   Parent Loop BB384_4 Depth=1
                                        ; =>  This Inner Loop Header: Depth=2
	v_add_nc_u64_e32 v[22:23], s[20:21], v[2:3]
	s_delay_alu instid0(VALU_DEP_1) | instskip(SKIP_2) | instid1(SALU_CYCLE_1)
	v_cmp_gt_i64_e32 vcc_lo, s[36:37], v[22:23]
	v_mov_b32_e32 v22, 0
	s_and_b32 s24, s0, vcc_lo
	s_and_saveexec_b32 s23, s24
	s_cbranch_execz .LBB384_9
; %bb.8:                                ;   in Loop: Header=BB384_7 Depth=2
	global_load_u16 v22, v[20:21], off
	s_wait_loadcnt 0x0
	v_cvt_f32_f16_e32 v22, v22
.LBB384_9:                              ;   in Loop: Header=BB384_7 Depth=2
	s_wait_xcnt 0x0
	s_or_b32 exec_lo, exec_lo, s23
	v_add_nc_u64_e32 v[24:25], s[20:21], v[0:1]
	v_mov_b32_e32 v23, 0
	ds_store_b32 v28, v22
	v_cmp_gt_i64_e32 vcc_lo, s[36:37], v[24:25]
	s_and_b32 s24, vcc_lo, s1
	s_delay_alu instid0(SALU_CYCLE_1)
	s_and_saveexec_b32 s23, s24
	s_cbranch_execz .LBB384_6
; %bb.10:                               ;   in Loop: Header=BB384_7 Depth=2
	global_load_u16 v22, v[18:19], off
	s_wait_loadcnt 0x0
	v_cvt_f32_f16_e32 v23, v22
	s_branch .LBB384_6
.LBB384_11:                             ;   in Loop: Header=BB384_4 Depth=1
	s_mul_u64 s[20:21], s[26:27], s[34:35]
	s_and_not1_b32 vcc_lo, exec_lo, s39
	s_lshl_b64 s[20:21], s[20:21], 1
	s_delay_alu instid0(SALU_CYCLE_1)
	s_add_nc_u64 s[20:21], s[14:15], s[20:21]
	s_cbranch_vccnz .LBB384_16
; %bb.12:                               ;   in Loop: Header=BB384_4 Depth=1
	s_and_saveexec_b32 s23, s2
	s_cbranch_execz .LBB384_23
; %bb.13:                               ;   in Loop: Header=BB384_4 Depth=1
	v_lshl_add_u64 v[18:19], v[4:5], 1, s[20:21]
	s_delay_alu instid0(VALU_DEP_1)
	v_lshl_add_u64 v[20:21], v[6:7], 1, v[18:19]
	s_and_saveexec_b32 s24, s3
	s_cbranch_execnz .LBB384_17
; %bb.14:                               ;   in Loop: Header=BB384_4 Depth=1
	s_or_b32 exec_lo, exec_lo, s24
	s_and_saveexec_b32 s24, s4
	s_cbranch_execnz .LBB384_18
.LBB384_15:                             ;   in Loop: Header=BB384_4 Depth=1
	s_or_b32 exec_lo, exec_lo, s24
	s_delay_alu instid0(SALU_CYCLE_1)
	s_and_b32 exec_lo, exec_lo, s5
	s_cbranch_execnz .LBB384_19
	s_branch .LBB384_23
.LBB384_16:                             ;   in Loop: Header=BB384_4 Depth=1
	s_branch .LBB384_24
.LBB384_17:                             ;   in Loop: Header=BB384_4 Depth=1
	v_fma_mixlo_f16 v22, s38, v16, 0
	global_store_b16 v[20:21], v22, off
	s_wait_xcnt 0x0
	s_or_b32 exec_lo, exec_lo, s24
	s_and_saveexec_b32 s24, s4
	s_cbranch_execz .LBB384_15
.LBB384_18:                             ;   in Loop: Header=BB384_4 Depth=1
	v_fma_mixlo_f16 v22, s38, v17, 0
	global_store_b16 v[20:21], v22, off offset:32
	s_wait_xcnt 0x0
	s_or_b32 exec_lo, exec_lo, s24
	s_delay_alu instid0(SALU_CYCLE_1)
	s_and_b32 exec_lo, exec_lo, s5
	s_cbranch_execz .LBB384_23
.LBB384_19:                             ;   in Loop: Header=BB384_4 Depth=1
	v_lshl_add_u64 v[18:19], s[6:7], 1, v[18:19]
	s_delay_alu instid0(VALU_DEP_1)
	v_lshl_add_u64 v[18:19], v[6:7], 1, v[18:19]
	s_and_saveexec_b32 s24, s3
	s_cbranch_execz .LBB384_21
; %bb.20:                               ;   in Loop: Header=BB384_4 Depth=1
	v_fma_mixlo_f16 v20, s38, v14, 0
	global_store_b16 v[18:19], v20, off
.LBB384_21:                             ;   in Loop: Header=BB384_4 Depth=1
	s_wait_xcnt 0x0
	s_or_b32 exec_lo, exec_lo, s24
	s_delay_alu instid0(SALU_CYCLE_1)
	s_and_b32 exec_lo, exec_lo, s4
	s_cbranch_execz .LBB384_23
; %bb.22:                               ;   in Loop: Header=BB384_4 Depth=1
	v_fma_mixlo_f16 v20, s38, v15, 0
	global_store_b16 v[18:19], v20, off offset:32
.LBB384_23:                             ;   in Loop: Header=BB384_4 Depth=1
	s_wait_xcnt 0x0
	s_or_b32 exec_lo, exec_lo, s23
	s_cbranch_execnz .LBB384_3
.LBB384_24:                             ;   in Loop: Header=BB384_4 Depth=1
	s_and_saveexec_b32 s23, s2
	s_cbranch_execz .LBB384_2
; %bb.25:                               ;   in Loop: Header=BB384_4 Depth=1
	s_mul_u64 s[24:25], s[12:13], s[34:35]
	v_lshlrev_b64_e32 v[18:19], 1, v[6:7]
	v_lshl_add_u64 v[20:21], s[24:25], 1, v[8:9]
	v_lshl_add_u64 v[22:23], v[4:5], 1, s[20:21]
	s_delay_alu instid0(VALU_DEP_2) | instskip(NEXT) | instid1(VALU_DEP_2)
	v_add_nc_u64_e32 v[26:27], v[20:21], v[18:19]
	v_add_nc_u64_e32 v[24:25], v[22:23], v[18:19]
	s_and_saveexec_b32 s20, s3
	s_cbranch_execnz .LBB384_28
; %bb.26:                               ;   in Loop: Header=BB384_4 Depth=1
	s_or_b32 exec_lo, exec_lo, s20
	s_and_saveexec_b32 s20, s4
	s_cbranch_execnz .LBB384_29
.LBB384_27:                             ;   in Loop: Header=BB384_4 Depth=1
	s_or_b32 exec_lo, exec_lo, s20
	s_delay_alu instid0(SALU_CYCLE_1)
	s_and_b32 exec_lo, exec_lo, s5
	s_cbranch_execz .LBB384_2
	s_branch .LBB384_30
.LBB384_28:                             ;   in Loop: Header=BB384_4 Depth=1
	global_load_u16 v33, v[26:27], off
	v_mov_b64_e32 v[34:35], s[40:41]
	v_mov_b32_e32 v32, v16
	s_wait_loadcnt 0x0
	v_cvt_f32_f16_e32 v33, v33
	s_delay_alu instid0(VALU_DEP_1) | instskip(NEXT) | instid1(VALU_DEP_1)
	v_pk_mul_f32 v[32:33], v[34:35], v[32:33]
	v_add_f32_e32 v16, v32, v33
	s_delay_alu instid0(VALU_DEP_1)
	v_cvt_f16_f32_e32 v16, v16
	global_store_b16 v[24:25], v16, off
	s_wait_xcnt 0x0
	s_or_b32 exec_lo, exec_lo, s20
	s_and_saveexec_b32 s20, s4
	s_cbranch_execz .LBB384_27
.LBB384_29:                             ;   in Loop: Header=BB384_4 Depth=1
	global_load_u16 v26, v[26:27], off offset:32
	v_mov_b32_e32 v16, v17
	s_wait_loadcnt 0x0
	v_cvt_f32_f16_e32 v17, v26
	s_wait_xcnt 0x0
	v_mov_b64_e32 v[26:27], s[40:41]
	s_delay_alu instid0(VALU_DEP_1) | instskip(NEXT) | instid1(VALU_DEP_1)
	v_pk_mul_f32 v[16:17], v[26:27], v[16:17]
	v_add_f32_e32 v16, v16, v17
	s_delay_alu instid0(VALU_DEP_1) | instskip(SKIP_3) | instid1(SALU_CYCLE_1)
	v_cvt_f16_f32_e32 v16, v16
	global_store_b16 v[24:25], v16, off offset:32
	s_wait_xcnt 0x0
	s_or_b32 exec_lo, exec_lo, s20
	s_and_b32 exec_lo, exec_lo, s5
	s_cbranch_execz .LBB384_2
.LBB384_30:                             ;   in Loop: Header=BB384_4 Depth=1
	v_lshl_add_u64 v[16:17], s[10:11], 1, v[20:21]
	v_lshl_add_u64 v[22:23], s[6:7], 1, v[22:23]
	s_delay_alu instid0(VALU_DEP_2) | instskip(NEXT) | instid1(VALU_DEP_2)
	v_add_nc_u64_e32 v[20:21], v[16:17], v[18:19]
	v_add_nc_u64_e32 v[16:17], v[22:23], v[18:19]
	s_and_saveexec_b32 s20, s3
	s_cbranch_execz .LBB384_32
; %bb.31:                               ;   in Loop: Header=BB384_4 Depth=1
	global_load_u16 v19, v[20:21], off
	v_mov_b64_e32 v[22:23], s[40:41]
	v_mov_b32_e32 v18, v14
	s_wait_loadcnt 0x0
	v_cvt_f32_f16_e32 v19, v19
	s_delay_alu instid0(VALU_DEP_1) | instskip(NEXT) | instid1(VALU_DEP_1)
	v_pk_mul_f32 v[18:19], v[22:23], v[18:19]
	v_add_f32_e32 v14, v18, v19
	s_delay_alu instid0(VALU_DEP_1)
	v_cvt_f16_f32_e32 v14, v14
	global_store_b16 v[16:17], v14, off
.LBB384_32:                             ;   in Loop: Header=BB384_4 Depth=1
	s_wait_xcnt 0x0
	s_or_b32 exec_lo, exec_lo, s20
	s_delay_alu instid0(SALU_CYCLE_1)
	s_and_b32 exec_lo, exec_lo, s4
	s_cbranch_execz .LBB384_2
; %bb.33:                               ;   in Loop: Header=BB384_4 Depth=1
	global_load_u16 v18, v[20:21], off offset:32
	v_mov_b32_e32 v14, v15
	s_wait_loadcnt 0x0
	v_cvt_f32_f16_e32 v15, v18
	v_mov_b64_e32 v[18:19], s[40:41]
	s_delay_alu instid0(VALU_DEP_1) | instskip(NEXT) | instid1(VALU_DEP_1)
	v_pk_mul_f32 v[14:15], v[18:19], v[14:15]
	v_add_f32_e32 v14, v14, v15
	s_delay_alu instid0(VALU_DEP_1)
	v_cvt_f16_f32_e32 v14, v14
	global_store_b16 v[16:17], v14, off offset:32
	s_branch .LBB384_2
.LBB384_34:
	s_endpgm
	.section	.rodata,"a",@progbits
	.p2align	6, 0x0
	.amdhsa_kernel _ZN12_GLOBAL__N_135rocblas_gemm_batched_general_kernelIfLi16ELi16ELi32ELi32ELi8ELi32ELi8ELi8ELi32ELc84ELc84EKDF16_S1_DF16_EEvlllT_PT11_llS4_llS2_PT12_llPT13_lli
		.amdhsa_group_segment_fixed_size 2048
		.amdhsa_private_segment_fixed_size 0
		.amdhsa_kernarg_size 140
		.amdhsa_user_sgpr_count 2
		.amdhsa_user_sgpr_dispatch_ptr 0
		.amdhsa_user_sgpr_queue_ptr 0
		.amdhsa_user_sgpr_kernarg_segment_ptr 1
		.amdhsa_user_sgpr_dispatch_id 0
		.amdhsa_user_sgpr_kernarg_preload_length 0
		.amdhsa_user_sgpr_kernarg_preload_offset 0
		.amdhsa_user_sgpr_private_segment_size 0
		.amdhsa_wavefront_size32 1
		.amdhsa_uses_dynamic_stack 0
		.amdhsa_enable_private_segment 0
		.amdhsa_system_sgpr_workgroup_id_x 1
		.amdhsa_system_sgpr_workgroup_id_y 1
		.amdhsa_system_sgpr_workgroup_id_z 1
		.amdhsa_system_sgpr_workgroup_info 0
		.amdhsa_system_vgpr_workitem_id 1
		.amdhsa_next_free_vgpr 52
		.amdhsa_next_free_sgpr 44
		.amdhsa_named_barrier_count 0
		.amdhsa_reserve_vcc 1
		.amdhsa_float_round_mode_32 0
		.amdhsa_float_round_mode_16_64 0
		.amdhsa_float_denorm_mode_32 3
		.amdhsa_float_denorm_mode_16_64 3
		.amdhsa_fp16_overflow 0
		.amdhsa_memory_ordered 1
		.amdhsa_forward_progress 1
		.amdhsa_inst_pref_size 15
		.amdhsa_round_robin_scheduling 0
		.amdhsa_exception_fp_ieee_invalid_op 0
		.amdhsa_exception_fp_denorm_src 0
		.amdhsa_exception_fp_ieee_div_zero 0
		.amdhsa_exception_fp_ieee_overflow 0
		.amdhsa_exception_fp_ieee_underflow 0
		.amdhsa_exception_fp_ieee_inexact 0
		.amdhsa_exception_int_div_zero 0
	.end_amdhsa_kernel
	.section	.text._ZN12_GLOBAL__N_135rocblas_gemm_batched_general_kernelIfLi16ELi16ELi32ELi32ELi8ELi32ELi8ELi8ELi32ELc84ELc84EKDF16_S1_DF16_EEvlllT_PT11_llS4_llS2_PT12_llPT13_lli,"axG",@progbits,_ZN12_GLOBAL__N_135rocblas_gemm_batched_general_kernelIfLi16ELi16ELi32ELi32ELi8ELi32ELi8ELi8ELi32ELc84ELc84EKDF16_S1_DF16_EEvlllT_PT11_llS4_llS2_PT12_llPT13_lli,comdat
.Lfunc_end384:
	.size	_ZN12_GLOBAL__N_135rocblas_gemm_batched_general_kernelIfLi16ELi16ELi32ELi32ELi8ELi32ELi8ELi8ELi32ELc84ELc84EKDF16_S1_DF16_EEvlllT_PT11_llS4_llS2_PT12_llPT13_lli, .Lfunc_end384-_ZN12_GLOBAL__N_135rocblas_gemm_batched_general_kernelIfLi16ELi16ELi32ELi32ELi8ELi32ELi8ELi8ELi32ELc84ELc84EKDF16_S1_DF16_EEvlllT_PT11_llS4_llS2_PT12_llPT13_lli
                                        ; -- End function
	.set _ZN12_GLOBAL__N_135rocblas_gemm_batched_general_kernelIfLi16ELi16ELi32ELi32ELi8ELi32ELi8ELi8ELi32ELc84ELc84EKDF16_S1_DF16_EEvlllT_PT11_llS4_llS2_PT12_llPT13_lli.num_vgpr, 52
	.set _ZN12_GLOBAL__N_135rocblas_gemm_batched_general_kernelIfLi16ELi16ELi32ELi32ELi8ELi32ELi8ELi8ELi32ELc84ELc84EKDF16_S1_DF16_EEvlllT_PT11_llS4_llS2_PT12_llPT13_lli.num_agpr, 0
	.set _ZN12_GLOBAL__N_135rocblas_gemm_batched_general_kernelIfLi16ELi16ELi32ELi32ELi8ELi32ELi8ELi8ELi32ELc84ELc84EKDF16_S1_DF16_EEvlllT_PT11_llS4_llS2_PT12_llPT13_lli.numbered_sgpr, 44
	.set _ZN12_GLOBAL__N_135rocblas_gemm_batched_general_kernelIfLi16ELi16ELi32ELi32ELi8ELi32ELi8ELi8ELi32ELc84ELc84EKDF16_S1_DF16_EEvlllT_PT11_llS4_llS2_PT12_llPT13_lli.num_named_barrier, 0
	.set _ZN12_GLOBAL__N_135rocblas_gemm_batched_general_kernelIfLi16ELi16ELi32ELi32ELi8ELi32ELi8ELi8ELi32ELc84ELc84EKDF16_S1_DF16_EEvlllT_PT11_llS4_llS2_PT12_llPT13_lli.private_seg_size, 0
	.set _ZN12_GLOBAL__N_135rocblas_gemm_batched_general_kernelIfLi16ELi16ELi32ELi32ELi8ELi32ELi8ELi8ELi32ELc84ELc84EKDF16_S1_DF16_EEvlllT_PT11_llS4_llS2_PT12_llPT13_lli.uses_vcc, 1
	.set _ZN12_GLOBAL__N_135rocblas_gemm_batched_general_kernelIfLi16ELi16ELi32ELi32ELi8ELi32ELi8ELi8ELi32ELc84ELc84EKDF16_S1_DF16_EEvlllT_PT11_llS4_llS2_PT12_llPT13_lli.uses_flat_scratch, 0
	.set _ZN12_GLOBAL__N_135rocblas_gemm_batched_general_kernelIfLi16ELi16ELi32ELi32ELi8ELi32ELi8ELi8ELi32ELc84ELc84EKDF16_S1_DF16_EEvlllT_PT11_llS4_llS2_PT12_llPT13_lli.has_dyn_sized_stack, 0
	.set _ZN12_GLOBAL__N_135rocblas_gemm_batched_general_kernelIfLi16ELi16ELi32ELi32ELi8ELi32ELi8ELi8ELi32ELc84ELc84EKDF16_S1_DF16_EEvlllT_PT11_llS4_llS2_PT12_llPT13_lli.has_recursion, 0
	.set _ZN12_GLOBAL__N_135rocblas_gemm_batched_general_kernelIfLi16ELi16ELi32ELi32ELi8ELi32ELi8ELi8ELi32ELc84ELc84EKDF16_S1_DF16_EEvlllT_PT11_llS4_llS2_PT12_llPT13_lli.has_indirect_call, 0
	.section	.AMDGPU.csdata,"",@progbits
; Kernel info:
; codeLenInByte = 1828
; TotalNumSgprs: 46
; NumVgprs: 52
; ScratchSize: 0
; MemoryBound: 0
; FloatMode: 240
; IeeeMode: 1
; LDSByteSize: 2048 bytes/workgroup (compile time only)
; SGPRBlocks: 0
; VGPRBlocks: 3
; NumSGPRsForWavesPerEU: 46
; NumVGPRsForWavesPerEU: 52
; NamedBarCnt: 0
; Occupancy: 16
; WaveLimiterHint : 0
; COMPUTE_PGM_RSRC2:SCRATCH_EN: 0
; COMPUTE_PGM_RSRC2:USER_SGPR: 2
; COMPUTE_PGM_RSRC2:TRAP_HANDLER: 0
; COMPUTE_PGM_RSRC2:TGID_X_EN: 1
; COMPUTE_PGM_RSRC2:TGID_Y_EN: 1
; COMPUTE_PGM_RSRC2:TGID_Z_EN: 1
; COMPUTE_PGM_RSRC2:TIDIG_COMP_CNT: 1
	.section	.text._ZN12_GLOBAL__N_135rocblas_gemm_batched_general_kernelIfLi16ELi16ELi32ELi32ELi8ELi32ELi8ELi8ELi32ELc67ELc67EKDF16_S1_DF16_EEvlllT_PT11_llS4_llS2_PT12_llPT13_lli,"axG",@progbits,_ZN12_GLOBAL__N_135rocblas_gemm_batched_general_kernelIfLi16ELi16ELi32ELi32ELi8ELi32ELi8ELi8ELi32ELc67ELc67EKDF16_S1_DF16_EEvlllT_PT11_llS4_llS2_PT12_llPT13_lli,comdat
	.globl	_ZN12_GLOBAL__N_135rocblas_gemm_batched_general_kernelIfLi16ELi16ELi32ELi32ELi8ELi32ELi8ELi8ELi32ELc67ELc67EKDF16_S1_DF16_EEvlllT_PT11_llS4_llS2_PT12_llPT13_lli ; -- Begin function _ZN12_GLOBAL__N_135rocblas_gemm_batched_general_kernelIfLi16ELi16ELi32ELi32ELi8ELi32ELi8ELi8ELi32ELc67ELc67EKDF16_S1_DF16_EEvlllT_PT11_llS4_llS2_PT12_llPT13_lli
	.p2align	8
	.type	_ZN12_GLOBAL__N_135rocblas_gemm_batched_general_kernelIfLi16ELi16ELi32ELi32ELi8ELi32ELi8ELi8ELi32ELc67ELc67EKDF16_S1_DF16_EEvlllT_PT11_llS4_llS2_PT12_llPT13_lli,@function
_ZN12_GLOBAL__N_135rocblas_gemm_batched_general_kernelIfLi16ELi16ELi32ELi32ELi8ELi32ELi8ELi8ELi32ELc67ELc67EKDF16_S1_DF16_EEvlllT_PT11_llS4_llS2_PT12_llPT13_lli: ; @_ZN12_GLOBAL__N_135rocblas_gemm_batched_general_kernelIfLi16ELi16ELi32ELi32ELi8ELi32ELi8ELi8ELi32ELc67ELc67EKDF16_S1_DF16_EEvlllT_PT11_llS4_llS2_PT12_llPT13_lli
; %bb.0:
	s_load_b32 s33, s[0:1], 0x88
	s_bfe_u32 s2, ttmp6, 0x40014
	s_lshr_b32 s3, ttmp7, 16
	s_add_co_i32 s2, s2, 1
	s_bfe_u32 s5, ttmp6, 0x40008
	s_mul_i32 s4, s3, s2
	s_getreg_b32 s2, hwreg(HW_REG_IB_STS2, 6, 4)
	s_add_co_i32 s5, s5, s4
	s_cmp_eq_u32 s2, 0
	s_mov_b32 s35, 0
	s_cselect_b32 s34, s3, s5
	s_wait_kmcnt 0x0
	s_cmp_ge_i32 s34, s33
	s_cbranch_scc1 .LBB385_34
; %bb.1:
	s_clause 0x4
	s_load_b128 s[4:7], s[0:1], 0x0
	s_load_b256 s[16:23], s[0:1], 0x20
	s_load_b128 s[28:31], s[0:1], 0x40
	s_load_b32 s41, s[0:1], 0x50
	s_load_b256 s[8:15], s[0:1], 0x58
	v_bfe_u32 v8, v0, 10, 10
	v_and_b32_e32 v10, 0x3ff, v0
	v_dual_mov_b32 v9, 0 :: v_dual_bitop2_b32 v0, 7, v0 bitop3:0x40
	s_bfe_u32 s3, ttmp6, 0x4000c
	s_bfe_u32 s25, ttmp6, 0x40010
	s_add_co_i32 s3, s3, 1
	s_and_b32 s26, ttmp7, 0xffff
	s_add_co_i32 s25, s25, 1
	s_and_b32 s24, ttmp6, 15
	s_mul_i32 s3, ttmp9, s3
	s_mul_i32 s25, s26, s25
	s_bfe_u32 s27, ttmp6, 0x40004
	v_lshl_add_u32 v2, v8, 4, v10
	v_mov_b32_e32 v1, v9
	s_add_co_i32 s24, s24, s3
	s_add_co_i32 s27, s27, s25
	s_cmp_eq_u32 s2, 0
	v_and_b32_e32 v3, 31, v2
	s_cselect_b32 s2, ttmp9, s24
	s_wait_kmcnt 0x0
	v_mul_u64_e32 v[12:13], s[28:29], v[0:1]
	s_cselect_b32 s40, s26, s27
	s_ashr_i32 s3, s2, 31
	s_clause 0x1
	s_load_b128 s[24:27], s[0:1], 0x78
	s_load_b96 s[36:38], s[0:1], 0x10
	s_lshl_b64 s[2:3], s[2:3], 5
	s_lshl_b32 s42, s40, 5
	v_dual_mov_b32 v5, s3 :: v_dual_bitop2_b32 v4, s2, v3 bitop3:0x54
	s_mov_b32 s43, s35
	v_dual_mov_b32 v11, v9 :: v_dual_lshrrev_b32 v16, 3, v2
	v_add_nc_u64_e32 v[14:15], s[42:43], v[8:9]
	s_delay_alu instid0(VALU_DEP_3)
	v_mul_u64_e32 v[18:19], s[18:19], v[4:5]
	v_dual_mov_b32 v17, v9 :: v_dual_lshrrev_b32 v2, 5, v2
	s_wait_xcnt 0x0
	v_cmp_gt_i64_e64 s0, s[4:5], v[4:5]
	s_cmp_eq_f32 s41, 0
	v_dual_lshlrev_b32 v22, 2, v0 :: v_dual_lshlrev_b32 v23, 2, v3
	v_mul_u64_e32 v[20:21], s[10:11], v[14:15]
	v_add_nc_u64_e32 v[6:7], s[42:43], v[16:17]
	s_cselect_b32 s39, -1, 0
	s_wait_kmcnt 0x0
	v_mul_u64_e32 v[4:5], s[24:25], v[14:15]
	v_mov_b32_e32 v3, v9
	v_lshl_add_u32 v30, v8, 5, 0x400
	v_lshlrev_b32_e32 v8, 1, v16
	v_lshl_or_b32 v17, v16, 5, v22
	v_cmp_gt_i64_e64 s1, s[6:7], v[6:7]
	v_add_nc_u64_e32 v[6:7], s[2:3], v[10:11]
	s_lshl_b32 s2, s40, 6
	s_mov_b32 s3, s35
	v_lshlrev_b32_e32 v31, 2, v10
	v_lshl_add_u64 v[12:13], v[12:13], 1, s[2:3]
	v_lshl_or_b32 v28, v2, 7, v23
	v_add_nc_u32_e32 v29, 0x400, v17
	v_add_nc_u64_e32 v[16:17], 16, v[6:7]
	v_add_nc_u64_e32 v[22:23], 16, v[14:15]
	;; [unrolled: 1-line block ×3, first 2 shown]
	v_lshlrev_b32_e32 v8, 1, v2
	v_cmp_gt_i64_e64 s2, s[6:7], v[14:15]
	v_cmp_gt_i64_e64 s3, s[4:5], v[6:7]
	s_mov_b32 s40, s38
	v_cmp_gt_i64_e64 s4, s[4:5], v[16:17]
	v_cmp_gt_i64_e64 s5, s[6:7], v[22:23]
	v_lshl_add_u64 v[12:13], v[18:19], 1, v[8:9]
	v_add_nc_u64_e32 v[10:11], s[22:23], v[10:11]
	v_cmp_gt_i64_e64 s22, s[36:37], 0
	s_lshl_b64 s[6:7], s[24:25], 4
	s_lshl_b64 s[10:11], s[10:11], 4
	v_add_nc_u64_e32 v[12:13], s[16:17], v[12:13]
	s_lshl_b64 s[16:17], s[28:29], 4
	v_lshl_add_u64 v[8:9], v[20:21], 1, s[8:9]
	s_lshl_b64 s[8:9], s[30:31], 1
	s_lshl_b64 s[18:19], s[20:21], 1
	s_branch .LBB385_4
.LBB385_2:                              ;   in Loop: Header=BB385_4 Depth=1
	s_wait_xcnt 0x0
	s_or_b32 exec_lo, exec_lo, s23
.LBB385_3:                              ;   in Loop: Header=BB385_4 Depth=1
	s_add_co_i32 s34, s34, 0x10000
	s_delay_alu instid0(SALU_CYCLE_1)
	s_cmp_lt_i32 s34, s33
	s_cbranch_scc0 .LBB385_34
.LBB385_4:                              ; =>This Loop Header: Depth=1
                                        ;     Child Loop BB385_7 Depth 2
	v_dual_mov_b32 v17, 0 :: v_dual_mov_b32 v16, 0
	v_dual_mov_b32 v15, 0 :: v_dual_mov_b32 v14, 0
	s_and_not1_b32 vcc_lo, exec_lo, s22
	s_cbranch_vccnz .LBB385_11
; %bb.5:                                ;   in Loop: Header=BB385_4 Depth=1
	v_mad_nc_u64_u32 v[18:19], s8, s34, v[10:11]
	v_mad_nc_u64_u32 v[20:21], s18, s34, v[12:13]
	v_mov_b32_e32 v16, 0
	s_mov_b64 s[20:21], 0
	s_delay_alu instid0(VALU_DEP_1)
	v_dual_mov_b32 v17, v16 :: v_dual_mov_b32 v14, v16
	v_mov_b32_e32 v15, v16
	v_mad_u32 v19, s9, s34, v19
	v_mad_u32 v21, s19, s34, v21
	s_branch .LBB385_7
.LBB385_6:                              ;   in Loop: Header=BB385_7 Depth=2
	s_wait_xcnt 0x0
	s_or_b32 exec_lo, exec_lo, s23
	ds_store_b32 v29, v23
	s_wait_dscnt 0x0
	s_barrier_signal -1
	s_barrier_wait -1
	ds_load_b128 v[22:25], v30
	ds_load_2addr_b32 v[26:27], v31 offset1:16
	ds_load_b128 v[32:35], v30 offset:512
	ds_load_2addr_b32 v[44:45], v31 offset0:32 offset1:48
	ds_load_2addr_b32 v[46:47], v31 offset0:64 offset1:80
	;; [unrolled: 1-line block ×3, first 2 shown]
	ds_load_b128 v[36:39], v30 offset:16
	ds_load_2addr_b32 v[50:51], v31 offset0:128 offset1:144
	ds_load_b128 v[40:43], v30 offset:528
	s_add_nc_u64 s[20:21], s[20:21], 8
	v_add_nc_u64_e32 v[18:19], s[16:17], v[18:19]
	v_cmp_lt_i64_e64 s23, s[20:21], s[36:37]
	v_add_nc_u64_e32 v[20:21], 16, v[20:21]
	s_and_b32 vcc_lo, exec_lo, s23
	s_wait_dscnt 0x7
	v_pk_fma_f32 v[16:17], v[26:27], v[22:23], v[16:17] op_sel_hi:[1,0,1]
	s_wait_dscnt 0x6
	v_pk_fma_f32 v[14:15], v[26:27], v[32:33], v[14:15] op_sel_hi:[1,0,1]
	ds_load_2addr_b32 v[26:27], v31 offset0:160 offset1:176
	s_wait_dscnt 0x6
	v_pk_fma_f32 v[16:17], v[44:45], v[22:23], v[16:17] op_sel:[0,1,0]
	v_pk_fma_f32 v[14:15], v[44:45], v[32:33], v[14:15] op_sel:[0,1,0]
	ds_load_2addr_b32 v[22:23], v31 offset0:192 offset1:208
	v_dual_mov_b32 v32, v25 :: v_dual_mov_b32 v44, v35
	s_wait_dscnt 0x6
	v_pk_fma_f32 v[16:17], v[46:47], v[24:25], v[16:17] op_sel_hi:[1,0,1]
	v_pk_fma_f32 v[14:15], v[46:47], v[34:35], v[14:15] op_sel_hi:[1,0,1]
	ds_load_2addr_b32 v[24:25], v31 offset0:224 offset1:240
	s_wait_dscnt 0x0
	s_barrier_signal -1
	v_pk_fma_f32 v[16:17], v[48:49], v[32:33], v[16:17] op_sel_hi:[1,0,1]
	v_pk_fma_f32 v[14:15], v[48:49], v[44:45], v[14:15] op_sel_hi:[1,0,1]
	s_barrier_wait -1
	v_mov_b32_e32 v32, v43
	s_delay_alu instid0(VALU_DEP_3) | instskip(NEXT) | instid1(VALU_DEP_3)
	v_pk_fma_f32 v[16:17], v[50:51], v[36:37], v[16:17] op_sel_hi:[1,0,1]
	v_pk_fma_f32 v[14:15], v[50:51], v[40:41], v[14:15] op_sel_hi:[1,0,1]
	s_delay_alu instid0(VALU_DEP_2) | instskip(NEXT) | instid1(VALU_DEP_2)
	v_pk_fma_f32 v[16:17], v[26:27], v[36:37], v[16:17] op_sel:[0,1,0]
	v_pk_fma_f32 v[14:15], v[26:27], v[40:41], v[14:15] op_sel:[0,1,0]
	v_mov_b32_e32 v26, v39
	s_delay_alu instid0(VALU_DEP_3) | instskip(NEXT) | instid1(VALU_DEP_3)
	v_pk_fma_f32 v[16:17], v[22:23], v[38:39], v[16:17] op_sel_hi:[1,0,1]
	v_pk_fma_f32 v[14:15], v[22:23], v[42:43], v[14:15] op_sel_hi:[1,0,1]
	s_delay_alu instid0(VALU_DEP_2) | instskip(NEXT) | instid1(VALU_DEP_2)
	v_pk_fma_f32 v[16:17], v[24:25], v[26:27], v[16:17] op_sel_hi:[1,0,1]
	v_pk_fma_f32 v[14:15], v[24:25], v[32:33], v[14:15] op_sel_hi:[1,0,1]
	s_cbranch_vccz .LBB385_11
.LBB385_7:                              ;   Parent Loop BB385_4 Depth=1
                                        ; =>  This Inner Loop Header: Depth=2
	v_add_nc_u64_e32 v[22:23], s[20:21], v[2:3]
	s_delay_alu instid0(VALU_DEP_1) | instskip(SKIP_2) | instid1(SALU_CYCLE_1)
	v_cmp_gt_i64_e32 vcc_lo, s[36:37], v[22:23]
	v_mov_b32_e32 v22, 0
	s_and_b32 s24, s0, vcc_lo
	s_and_saveexec_b32 s23, s24
	s_cbranch_execz .LBB385_9
; %bb.8:                                ;   in Loop: Header=BB385_7 Depth=2
	global_load_u16 v22, v[20:21], off
	s_wait_loadcnt 0x0
	v_cvt_f32_f16_e32 v22, v22
.LBB385_9:                              ;   in Loop: Header=BB385_7 Depth=2
	s_wait_xcnt 0x0
	s_or_b32 exec_lo, exec_lo, s23
	v_add_nc_u64_e32 v[24:25], s[20:21], v[0:1]
	v_mov_b32_e32 v23, 0
	ds_store_b32 v28, v22
	v_cmp_gt_i64_e32 vcc_lo, s[36:37], v[24:25]
	s_and_b32 s24, vcc_lo, s1
	s_delay_alu instid0(SALU_CYCLE_1)
	s_and_saveexec_b32 s23, s24
	s_cbranch_execz .LBB385_6
; %bb.10:                               ;   in Loop: Header=BB385_7 Depth=2
	global_load_u16 v22, v[18:19], off
	s_wait_loadcnt 0x0
	v_cvt_f32_f16_e32 v23, v22
	s_branch .LBB385_6
.LBB385_11:                             ;   in Loop: Header=BB385_4 Depth=1
	s_mul_u64 s[20:21], s[26:27], s[34:35]
	s_and_not1_b32 vcc_lo, exec_lo, s39
	s_lshl_b64 s[20:21], s[20:21], 1
	s_delay_alu instid0(SALU_CYCLE_1)
	s_add_nc_u64 s[20:21], s[14:15], s[20:21]
	s_cbranch_vccnz .LBB385_16
; %bb.12:                               ;   in Loop: Header=BB385_4 Depth=1
	s_and_saveexec_b32 s23, s2
	s_cbranch_execz .LBB385_23
; %bb.13:                               ;   in Loop: Header=BB385_4 Depth=1
	v_lshl_add_u64 v[18:19], v[4:5], 1, s[20:21]
	s_delay_alu instid0(VALU_DEP_1)
	v_lshl_add_u64 v[20:21], v[6:7], 1, v[18:19]
	s_and_saveexec_b32 s24, s3
	s_cbranch_execnz .LBB385_17
; %bb.14:                               ;   in Loop: Header=BB385_4 Depth=1
	s_or_b32 exec_lo, exec_lo, s24
	s_and_saveexec_b32 s24, s4
	s_cbranch_execnz .LBB385_18
.LBB385_15:                             ;   in Loop: Header=BB385_4 Depth=1
	s_or_b32 exec_lo, exec_lo, s24
	s_delay_alu instid0(SALU_CYCLE_1)
	s_and_b32 exec_lo, exec_lo, s5
	s_cbranch_execnz .LBB385_19
	s_branch .LBB385_23
.LBB385_16:                             ;   in Loop: Header=BB385_4 Depth=1
	s_branch .LBB385_24
.LBB385_17:                             ;   in Loop: Header=BB385_4 Depth=1
	v_fma_mixlo_f16 v22, s38, v16, 0
	global_store_b16 v[20:21], v22, off
	s_wait_xcnt 0x0
	s_or_b32 exec_lo, exec_lo, s24
	s_and_saveexec_b32 s24, s4
	s_cbranch_execz .LBB385_15
.LBB385_18:                             ;   in Loop: Header=BB385_4 Depth=1
	v_fma_mixlo_f16 v22, s38, v17, 0
	global_store_b16 v[20:21], v22, off offset:32
	s_wait_xcnt 0x0
	s_or_b32 exec_lo, exec_lo, s24
	s_delay_alu instid0(SALU_CYCLE_1)
	s_and_b32 exec_lo, exec_lo, s5
	s_cbranch_execz .LBB385_23
.LBB385_19:                             ;   in Loop: Header=BB385_4 Depth=1
	v_lshl_add_u64 v[18:19], s[6:7], 1, v[18:19]
	s_delay_alu instid0(VALU_DEP_1)
	v_lshl_add_u64 v[18:19], v[6:7], 1, v[18:19]
	s_and_saveexec_b32 s24, s3
	s_cbranch_execz .LBB385_21
; %bb.20:                               ;   in Loop: Header=BB385_4 Depth=1
	v_fma_mixlo_f16 v20, s38, v14, 0
	global_store_b16 v[18:19], v20, off
.LBB385_21:                             ;   in Loop: Header=BB385_4 Depth=1
	s_wait_xcnt 0x0
	s_or_b32 exec_lo, exec_lo, s24
	s_delay_alu instid0(SALU_CYCLE_1)
	s_and_b32 exec_lo, exec_lo, s4
	s_cbranch_execz .LBB385_23
; %bb.22:                               ;   in Loop: Header=BB385_4 Depth=1
	v_fma_mixlo_f16 v20, s38, v15, 0
	global_store_b16 v[18:19], v20, off offset:32
.LBB385_23:                             ;   in Loop: Header=BB385_4 Depth=1
	s_wait_xcnt 0x0
	s_or_b32 exec_lo, exec_lo, s23
	s_cbranch_execnz .LBB385_3
.LBB385_24:                             ;   in Loop: Header=BB385_4 Depth=1
	s_and_saveexec_b32 s23, s2
	s_cbranch_execz .LBB385_2
; %bb.25:                               ;   in Loop: Header=BB385_4 Depth=1
	s_mul_u64 s[24:25], s[12:13], s[34:35]
	v_lshlrev_b64_e32 v[18:19], 1, v[6:7]
	v_lshl_add_u64 v[20:21], s[24:25], 1, v[8:9]
	v_lshl_add_u64 v[22:23], v[4:5], 1, s[20:21]
	s_delay_alu instid0(VALU_DEP_2) | instskip(NEXT) | instid1(VALU_DEP_2)
	v_add_nc_u64_e32 v[26:27], v[20:21], v[18:19]
	v_add_nc_u64_e32 v[24:25], v[22:23], v[18:19]
	s_and_saveexec_b32 s20, s3
	s_cbranch_execnz .LBB385_28
; %bb.26:                               ;   in Loop: Header=BB385_4 Depth=1
	s_or_b32 exec_lo, exec_lo, s20
	s_and_saveexec_b32 s20, s4
	s_cbranch_execnz .LBB385_29
.LBB385_27:                             ;   in Loop: Header=BB385_4 Depth=1
	s_or_b32 exec_lo, exec_lo, s20
	s_delay_alu instid0(SALU_CYCLE_1)
	s_and_b32 exec_lo, exec_lo, s5
	s_cbranch_execz .LBB385_2
	s_branch .LBB385_30
.LBB385_28:                             ;   in Loop: Header=BB385_4 Depth=1
	global_load_u16 v33, v[26:27], off
	v_mov_b64_e32 v[34:35], s[40:41]
	v_mov_b32_e32 v32, v16
	s_wait_loadcnt 0x0
	v_cvt_f32_f16_e32 v33, v33
	s_delay_alu instid0(VALU_DEP_1) | instskip(NEXT) | instid1(VALU_DEP_1)
	v_pk_mul_f32 v[32:33], v[34:35], v[32:33]
	v_add_f32_e32 v16, v32, v33
	s_delay_alu instid0(VALU_DEP_1)
	v_cvt_f16_f32_e32 v16, v16
	global_store_b16 v[24:25], v16, off
	s_wait_xcnt 0x0
	s_or_b32 exec_lo, exec_lo, s20
	s_and_saveexec_b32 s20, s4
	s_cbranch_execz .LBB385_27
.LBB385_29:                             ;   in Loop: Header=BB385_4 Depth=1
	global_load_u16 v26, v[26:27], off offset:32
	v_mov_b32_e32 v16, v17
	s_wait_loadcnt 0x0
	v_cvt_f32_f16_e32 v17, v26
	s_wait_xcnt 0x0
	v_mov_b64_e32 v[26:27], s[40:41]
	s_delay_alu instid0(VALU_DEP_1) | instskip(NEXT) | instid1(VALU_DEP_1)
	v_pk_mul_f32 v[16:17], v[26:27], v[16:17]
	v_add_f32_e32 v16, v16, v17
	s_delay_alu instid0(VALU_DEP_1) | instskip(SKIP_3) | instid1(SALU_CYCLE_1)
	v_cvt_f16_f32_e32 v16, v16
	global_store_b16 v[24:25], v16, off offset:32
	s_wait_xcnt 0x0
	s_or_b32 exec_lo, exec_lo, s20
	s_and_b32 exec_lo, exec_lo, s5
	s_cbranch_execz .LBB385_2
.LBB385_30:                             ;   in Loop: Header=BB385_4 Depth=1
	v_lshl_add_u64 v[16:17], s[10:11], 1, v[20:21]
	v_lshl_add_u64 v[22:23], s[6:7], 1, v[22:23]
	s_delay_alu instid0(VALU_DEP_2) | instskip(NEXT) | instid1(VALU_DEP_2)
	v_add_nc_u64_e32 v[20:21], v[16:17], v[18:19]
	v_add_nc_u64_e32 v[16:17], v[22:23], v[18:19]
	s_and_saveexec_b32 s20, s3
	s_cbranch_execz .LBB385_32
; %bb.31:                               ;   in Loop: Header=BB385_4 Depth=1
	global_load_u16 v19, v[20:21], off
	v_mov_b64_e32 v[22:23], s[40:41]
	v_mov_b32_e32 v18, v14
	s_wait_loadcnt 0x0
	v_cvt_f32_f16_e32 v19, v19
	s_delay_alu instid0(VALU_DEP_1) | instskip(NEXT) | instid1(VALU_DEP_1)
	v_pk_mul_f32 v[18:19], v[22:23], v[18:19]
	v_add_f32_e32 v14, v18, v19
	s_delay_alu instid0(VALU_DEP_1)
	v_cvt_f16_f32_e32 v14, v14
	global_store_b16 v[16:17], v14, off
.LBB385_32:                             ;   in Loop: Header=BB385_4 Depth=1
	s_wait_xcnt 0x0
	s_or_b32 exec_lo, exec_lo, s20
	s_delay_alu instid0(SALU_CYCLE_1)
	s_and_b32 exec_lo, exec_lo, s4
	s_cbranch_execz .LBB385_2
; %bb.33:                               ;   in Loop: Header=BB385_4 Depth=1
	global_load_u16 v18, v[20:21], off offset:32
	v_mov_b32_e32 v14, v15
	s_wait_loadcnt 0x0
	v_cvt_f32_f16_e32 v15, v18
	v_mov_b64_e32 v[18:19], s[40:41]
	s_delay_alu instid0(VALU_DEP_1) | instskip(NEXT) | instid1(VALU_DEP_1)
	v_pk_mul_f32 v[14:15], v[18:19], v[14:15]
	v_add_f32_e32 v14, v14, v15
	s_delay_alu instid0(VALU_DEP_1)
	v_cvt_f16_f32_e32 v14, v14
	global_store_b16 v[16:17], v14, off offset:32
	s_branch .LBB385_2
.LBB385_34:
	s_endpgm
	.section	.rodata,"a",@progbits
	.p2align	6, 0x0
	.amdhsa_kernel _ZN12_GLOBAL__N_135rocblas_gemm_batched_general_kernelIfLi16ELi16ELi32ELi32ELi8ELi32ELi8ELi8ELi32ELc67ELc67EKDF16_S1_DF16_EEvlllT_PT11_llS4_llS2_PT12_llPT13_lli
		.amdhsa_group_segment_fixed_size 2048
		.amdhsa_private_segment_fixed_size 0
		.amdhsa_kernarg_size 140
		.amdhsa_user_sgpr_count 2
		.amdhsa_user_sgpr_dispatch_ptr 0
		.amdhsa_user_sgpr_queue_ptr 0
		.amdhsa_user_sgpr_kernarg_segment_ptr 1
		.amdhsa_user_sgpr_dispatch_id 0
		.amdhsa_user_sgpr_kernarg_preload_length 0
		.amdhsa_user_sgpr_kernarg_preload_offset 0
		.amdhsa_user_sgpr_private_segment_size 0
		.amdhsa_wavefront_size32 1
		.amdhsa_uses_dynamic_stack 0
		.amdhsa_enable_private_segment 0
		.amdhsa_system_sgpr_workgroup_id_x 1
		.amdhsa_system_sgpr_workgroup_id_y 1
		.amdhsa_system_sgpr_workgroup_id_z 1
		.amdhsa_system_sgpr_workgroup_info 0
		.amdhsa_system_vgpr_workitem_id 1
		.amdhsa_next_free_vgpr 52
		.amdhsa_next_free_sgpr 44
		.amdhsa_named_barrier_count 0
		.amdhsa_reserve_vcc 1
		.amdhsa_float_round_mode_32 0
		.amdhsa_float_round_mode_16_64 0
		.amdhsa_float_denorm_mode_32 3
		.amdhsa_float_denorm_mode_16_64 3
		.amdhsa_fp16_overflow 0
		.amdhsa_memory_ordered 1
		.amdhsa_forward_progress 1
		.amdhsa_inst_pref_size 15
		.amdhsa_round_robin_scheduling 0
		.amdhsa_exception_fp_ieee_invalid_op 0
		.amdhsa_exception_fp_denorm_src 0
		.amdhsa_exception_fp_ieee_div_zero 0
		.amdhsa_exception_fp_ieee_overflow 0
		.amdhsa_exception_fp_ieee_underflow 0
		.amdhsa_exception_fp_ieee_inexact 0
		.amdhsa_exception_int_div_zero 0
	.end_amdhsa_kernel
	.section	.text._ZN12_GLOBAL__N_135rocblas_gemm_batched_general_kernelIfLi16ELi16ELi32ELi32ELi8ELi32ELi8ELi8ELi32ELc67ELc67EKDF16_S1_DF16_EEvlllT_PT11_llS4_llS2_PT12_llPT13_lli,"axG",@progbits,_ZN12_GLOBAL__N_135rocblas_gemm_batched_general_kernelIfLi16ELi16ELi32ELi32ELi8ELi32ELi8ELi8ELi32ELc67ELc67EKDF16_S1_DF16_EEvlllT_PT11_llS4_llS2_PT12_llPT13_lli,comdat
.Lfunc_end385:
	.size	_ZN12_GLOBAL__N_135rocblas_gemm_batched_general_kernelIfLi16ELi16ELi32ELi32ELi8ELi32ELi8ELi8ELi32ELc67ELc67EKDF16_S1_DF16_EEvlllT_PT11_llS4_llS2_PT12_llPT13_lli, .Lfunc_end385-_ZN12_GLOBAL__N_135rocblas_gemm_batched_general_kernelIfLi16ELi16ELi32ELi32ELi8ELi32ELi8ELi8ELi32ELc67ELc67EKDF16_S1_DF16_EEvlllT_PT11_llS4_llS2_PT12_llPT13_lli
                                        ; -- End function
	.set _ZN12_GLOBAL__N_135rocblas_gemm_batched_general_kernelIfLi16ELi16ELi32ELi32ELi8ELi32ELi8ELi8ELi32ELc67ELc67EKDF16_S1_DF16_EEvlllT_PT11_llS4_llS2_PT12_llPT13_lli.num_vgpr, 52
	.set _ZN12_GLOBAL__N_135rocblas_gemm_batched_general_kernelIfLi16ELi16ELi32ELi32ELi8ELi32ELi8ELi8ELi32ELc67ELc67EKDF16_S1_DF16_EEvlllT_PT11_llS4_llS2_PT12_llPT13_lli.num_agpr, 0
	.set _ZN12_GLOBAL__N_135rocblas_gemm_batched_general_kernelIfLi16ELi16ELi32ELi32ELi8ELi32ELi8ELi8ELi32ELc67ELc67EKDF16_S1_DF16_EEvlllT_PT11_llS4_llS2_PT12_llPT13_lli.numbered_sgpr, 44
	.set _ZN12_GLOBAL__N_135rocblas_gemm_batched_general_kernelIfLi16ELi16ELi32ELi32ELi8ELi32ELi8ELi8ELi32ELc67ELc67EKDF16_S1_DF16_EEvlllT_PT11_llS4_llS2_PT12_llPT13_lli.num_named_barrier, 0
	.set _ZN12_GLOBAL__N_135rocblas_gemm_batched_general_kernelIfLi16ELi16ELi32ELi32ELi8ELi32ELi8ELi8ELi32ELc67ELc67EKDF16_S1_DF16_EEvlllT_PT11_llS4_llS2_PT12_llPT13_lli.private_seg_size, 0
	.set _ZN12_GLOBAL__N_135rocblas_gemm_batched_general_kernelIfLi16ELi16ELi32ELi32ELi8ELi32ELi8ELi8ELi32ELc67ELc67EKDF16_S1_DF16_EEvlllT_PT11_llS4_llS2_PT12_llPT13_lli.uses_vcc, 1
	.set _ZN12_GLOBAL__N_135rocblas_gemm_batched_general_kernelIfLi16ELi16ELi32ELi32ELi8ELi32ELi8ELi8ELi32ELc67ELc67EKDF16_S1_DF16_EEvlllT_PT11_llS4_llS2_PT12_llPT13_lli.uses_flat_scratch, 0
	.set _ZN12_GLOBAL__N_135rocblas_gemm_batched_general_kernelIfLi16ELi16ELi32ELi32ELi8ELi32ELi8ELi8ELi32ELc67ELc67EKDF16_S1_DF16_EEvlllT_PT11_llS4_llS2_PT12_llPT13_lli.has_dyn_sized_stack, 0
	.set _ZN12_GLOBAL__N_135rocblas_gemm_batched_general_kernelIfLi16ELi16ELi32ELi32ELi8ELi32ELi8ELi8ELi32ELc67ELc67EKDF16_S1_DF16_EEvlllT_PT11_llS4_llS2_PT12_llPT13_lli.has_recursion, 0
	.set _ZN12_GLOBAL__N_135rocblas_gemm_batched_general_kernelIfLi16ELi16ELi32ELi32ELi8ELi32ELi8ELi8ELi32ELc67ELc67EKDF16_S1_DF16_EEvlllT_PT11_llS4_llS2_PT12_llPT13_lli.has_indirect_call, 0
	.section	.AMDGPU.csdata,"",@progbits
; Kernel info:
; codeLenInByte = 1828
; TotalNumSgprs: 46
; NumVgprs: 52
; ScratchSize: 0
; MemoryBound: 0
; FloatMode: 240
; IeeeMode: 1
; LDSByteSize: 2048 bytes/workgroup (compile time only)
; SGPRBlocks: 0
; VGPRBlocks: 3
; NumSGPRsForWavesPerEU: 46
; NumVGPRsForWavesPerEU: 52
; NamedBarCnt: 0
; Occupancy: 16
; WaveLimiterHint : 0
; COMPUTE_PGM_RSRC2:SCRATCH_EN: 0
; COMPUTE_PGM_RSRC2:USER_SGPR: 2
; COMPUTE_PGM_RSRC2:TRAP_HANDLER: 0
; COMPUTE_PGM_RSRC2:TGID_X_EN: 1
; COMPUTE_PGM_RSRC2:TGID_Y_EN: 1
; COMPUTE_PGM_RSRC2:TGID_Z_EN: 1
; COMPUTE_PGM_RSRC2:TIDIG_COMP_CNT: 1
	.section	.text._ZN12_GLOBAL__N_135rocblas_gemm_batched_general_kernelIfLi16ELi16ELi32ELi32ELi8ELi32ELi8ELi8ELi32ELc67ELc78EKDF16_S1_DF16_EEvlllT_PT11_llS4_llS2_PT12_llPT13_lli,"axG",@progbits,_ZN12_GLOBAL__N_135rocblas_gemm_batched_general_kernelIfLi16ELi16ELi32ELi32ELi8ELi32ELi8ELi8ELi32ELc67ELc78EKDF16_S1_DF16_EEvlllT_PT11_llS4_llS2_PT12_llPT13_lli,comdat
	.globl	_ZN12_GLOBAL__N_135rocblas_gemm_batched_general_kernelIfLi16ELi16ELi32ELi32ELi8ELi32ELi8ELi8ELi32ELc67ELc78EKDF16_S1_DF16_EEvlllT_PT11_llS4_llS2_PT12_llPT13_lli ; -- Begin function _ZN12_GLOBAL__N_135rocblas_gemm_batched_general_kernelIfLi16ELi16ELi32ELi32ELi8ELi32ELi8ELi8ELi32ELc67ELc78EKDF16_S1_DF16_EEvlllT_PT11_llS4_llS2_PT12_llPT13_lli
	.p2align	8
	.type	_ZN12_GLOBAL__N_135rocblas_gemm_batched_general_kernelIfLi16ELi16ELi32ELi32ELi8ELi32ELi8ELi8ELi32ELc67ELc78EKDF16_S1_DF16_EEvlllT_PT11_llS4_llS2_PT12_llPT13_lli,@function
_ZN12_GLOBAL__N_135rocblas_gemm_batched_general_kernelIfLi16ELi16ELi32ELi32ELi8ELi32ELi8ELi8ELi32ELc67ELc78EKDF16_S1_DF16_EEvlllT_PT11_llS4_llS2_PT12_llPT13_lli: ; @_ZN12_GLOBAL__N_135rocblas_gemm_batched_general_kernelIfLi16ELi16ELi32ELi32ELi8ELi32ELi8ELi8ELi32ELc67ELc78EKDF16_S1_DF16_EEvlllT_PT11_llS4_llS2_PT12_llPT13_lli
; %bb.0:
	s_load_b32 s33, s[0:1], 0x88
	s_bfe_u32 s2, ttmp6, 0x40014
	s_lshr_b32 s3, ttmp7, 16
	s_add_co_i32 s2, s2, 1
	s_bfe_u32 s5, ttmp6, 0x40008
	s_mul_i32 s4, s3, s2
	s_getreg_b32 s2, hwreg(HW_REG_IB_STS2, 6, 4)
	s_add_co_i32 s5, s5, s4
	s_cmp_eq_u32 s2, 0
	s_mov_b32 s35, 0
	s_cselect_b32 s34, s3, s5
	s_wait_kmcnt 0x0
	s_cmp_ge_i32 s34, s33
	s_cbranch_scc1 .LBB386_34
; %bb.1:
	v_bfe_u32 v8, v0, 10, 10
	v_and_b32_e32 v10, 0x3ff, v0
	s_bfe_u32 s3, ttmp6, 0x4000c
	s_bfe_u32 s25, ttmp6, 0x40010
	s_clause 0x2
	s_load_b256 s[16:23], s[0:1], 0x20
	s_load_b128 s[4:7], s[0:1], 0x40
	s_load_b256 s[8:15], s[0:1], 0x58
	s_add_co_i32 s3, s3, 1
	s_and_b32 s26, ttmp7, 0xffff
	s_add_co_i32 s25, s25, 1
	v_lshl_add_u32 v1, v8, 4, v10
	v_mov_b32_e32 v9, 0
	s_and_b32 s24, ttmp6, 15
	s_mul_i32 s3, ttmp9, s3
	s_mul_i32 s25, s26, s25
	s_bfe_u32 s27, ttmp6, 0x40004
	s_add_co_i32 s24, s24, s3
	s_add_co_i32 s27, s27, s25
	s_cmp_eq_u32 s2, 0
	v_dual_mov_b32 v7, v9 :: v_dual_lshrrev_b32 v6, 3, v1
	v_and_b32_e32 v4, 31, v1
	s_cselect_b32 s3, s26, s27
	s_cselect_b32 s2, ttmp9, s24
	s_lshl_b32 s36, s3, 5
	s_mov_b32 s37, s35
	s_ashr_i32 s3, s2, 31
	v_add_nc_u64_e32 v[12:13], s[36:37], v[6:7]
	s_clause 0x1
	s_load_b32 s41, s[0:1], 0x50
	s_load_b128 s[24:27], s[0:1], 0x78
	s_lshl_b64 s[2:3], s[2:3], 5
	v_add_nc_u64_e32 v[18:19], s[36:37], v[8:9]
	v_dual_mov_b32 v15, s3 :: v_dual_bitop2_b32 v14, s2, v4 bitop3:0x54
	s_wait_kmcnt 0x0
	v_mul_u64_e32 v[16:17], s[4:5], v[12:13]
	s_clause 0x1
	s_load_b128 s[28:31], s[0:1], 0x0
	s_load_b96 s[36:38], s[0:1], 0x10
	v_dual_mov_b32 v3, v9 :: v_dual_lshlrev_b32 v24, 2, v4
	v_mul_u64_e32 v[20:21], s[18:19], v[14:15]
	v_mul_u64_e32 v[22:23], s[10:11], v[18:19]
	v_dual_mov_b32 v11, v9 :: v_dual_bitop2_b32 v0, 7, v0 bitop3:0x40
	v_dual_mov_b32 v1, v9 :: v_dual_lshrrev_b32 v2, 5, v1
	v_lshl_add_u32 v30, v8, 5, 0x400
	s_delay_alu instid0(VALU_DEP_3) | instskip(SKIP_3) | instid1(VALU_DEP_3)
	v_dual_lshlrev_b32 v7, 2, v0 :: v_dual_lshlrev_b32 v8, 1, v0
	v_lshlrev_b32_e32 v31, 2, v10
	v_mul_u64_e32 v[4:5], s[24:25], v[18:19]
	s_cmp_eq_f32 s41, 0
	v_lshl_or_b32 v25, v6, 5, v7
	v_add_nc_u64_e32 v[6:7], s[2:3], v[10:11]
	v_lshl_or_b32 v28, v2, 7, v24
	s_cselect_b32 s39, -1, 0
	s_wait_kmcnt 0x0
	v_cmp_gt_i64_e64 s1, s[30:31], v[12:13]
	v_add_nc_u64_e32 v[12:13], 16, v[18:19]
	v_cmp_gt_i64_e64 s0, s[28:29], v[14:15]
	v_cmp_gt_i64_e64 s2, s[30:31], v[18:19]
	v_add_nc_u64_e32 v[10:11], 16, v[6:7]
	v_cmp_gt_i64_e64 s3, s[28:29], v[6:7]
	v_add_nc_u32_e32 v29, 0x400, v25
	s_lshl_b64 s[18:19], s[24:25], 4
	v_cmp_gt_i64_e64 s5, s[30:31], v[12:13]
	s_mov_b32 s40, s38
	s_lshl_b64 s[6:7], s[6:7], 1
	v_lshl_add_u64 v[14:15], v[16:17], 1, v[8:9]
	v_lshlrev_b32_e32 v8, 1, v2
	v_cmp_gt_i64_e64 s4, s[28:29], v[10:11]
	s_delay_alu instid0(VALU_DEP_3) | instskip(NEXT) | instid1(VALU_DEP_3)
	v_add_nc_u64_e32 v[10:11], s[22:23], v[14:15]
	v_lshl_add_u64 v[12:13], v[20:21], 1, v[8:9]
	v_cmp_gt_i64_e64 s22, s[36:37], 0
	v_lshl_add_u64 v[8:9], v[22:23], 1, s[8:9]
	s_lshl_b64 s[8:9], s[10:11], 4
	s_lshl_b64 s[10:11], s[20:21], 1
	v_add_nc_u64_e32 v[12:13], s[16:17], v[12:13]
	s_branch .LBB386_4
.LBB386_2:                              ;   in Loop: Header=BB386_4 Depth=1
	s_wait_xcnt 0x0
	s_or_b32 exec_lo, exec_lo, s20
.LBB386_3:                              ;   in Loop: Header=BB386_4 Depth=1
	s_add_co_i32 s34, s34, 0x10000
	s_delay_alu instid0(SALU_CYCLE_1)
	s_cmp_lt_i32 s34, s33
	s_cbranch_scc0 .LBB386_34
.LBB386_4:                              ; =>This Loop Header: Depth=1
                                        ;     Child Loop BB386_7 Depth 2
	v_dual_mov_b32 v17, 0 :: v_dual_mov_b32 v16, 0
	v_dual_mov_b32 v15, 0 :: v_dual_mov_b32 v14, 0
	s_and_not1_b32 vcc_lo, exec_lo, s22
	s_cbranch_vccnz .LBB386_11
; %bb.5:                                ;   in Loop: Header=BB386_4 Depth=1
	v_mad_nc_u64_u32 v[18:19], s6, s34, v[10:11]
	v_mad_nc_u64_u32 v[20:21], s10, s34, v[12:13]
	v_mov_b32_e32 v16, 0
	s_mov_b64 s[16:17], 0
	s_delay_alu instid0(VALU_DEP_1)
	v_dual_mov_b32 v17, v16 :: v_dual_mov_b32 v14, v16
	v_mov_b32_e32 v15, v16
	v_mad_u32 v19, s7, s34, v19
	v_mad_u32 v21, s11, s34, v21
	s_branch .LBB386_7
.LBB386_6:                              ;   in Loop: Header=BB386_7 Depth=2
	s_wait_xcnt 0x0
	s_or_b32 exec_lo, exec_lo, s20
	ds_store_b32 v29, v23
	s_wait_dscnt 0x0
	s_barrier_signal -1
	s_barrier_wait -1
	ds_load_b128 v[22:25], v30
	ds_load_2addr_b32 v[26:27], v31 offset1:16
	ds_load_b128 v[32:35], v30 offset:512
	ds_load_2addr_b32 v[44:45], v31 offset0:32 offset1:48
	ds_load_2addr_b32 v[46:47], v31 offset0:64 offset1:80
	;; [unrolled: 1-line block ×3, first 2 shown]
	ds_load_b128 v[36:39], v30 offset:16
	ds_load_2addr_b32 v[50:51], v31 offset0:128 offset1:144
	ds_load_b128 v[40:43], v30 offset:528
	s_add_nc_u64 s[16:17], s[16:17], 8
	v_add_nc_u64_e32 v[18:19], 16, v[18:19]
	v_cmp_lt_i64_e64 s20, s[16:17], s[36:37]
	v_add_nc_u64_e32 v[20:21], 16, v[20:21]
	s_and_b32 vcc_lo, exec_lo, s20
	s_wait_dscnt 0x7
	v_pk_fma_f32 v[16:17], v[26:27], v[22:23], v[16:17] op_sel_hi:[1,0,1]
	s_wait_dscnt 0x6
	v_pk_fma_f32 v[14:15], v[26:27], v[32:33], v[14:15] op_sel_hi:[1,0,1]
	ds_load_2addr_b32 v[26:27], v31 offset0:160 offset1:176
	s_wait_dscnt 0x6
	v_pk_fma_f32 v[16:17], v[44:45], v[22:23], v[16:17] op_sel:[0,1,0]
	v_pk_fma_f32 v[14:15], v[44:45], v[32:33], v[14:15] op_sel:[0,1,0]
	ds_load_2addr_b32 v[22:23], v31 offset0:192 offset1:208
	v_dual_mov_b32 v32, v25 :: v_dual_mov_b32 v44, v35
	s_wait_dscnt 0x6
	v_pk_fma_f32 v[16:17], v[46:47], v[24:25], v[16:17] op_sel_hi:[1,0,1]
	v_pk_fma_f32 v[14:15], v[46:47], v[34:35], v[14:15] op_sel_hi:[1,0,1]
	ds_load_2addr_b32 v[24:25], v31 offset0:224 offset1:240
	s_wait_dscnt 0x0
	s_barrier_signal -1
	v_pk_fma_f32 v[16:17], v[48:49], v[32:33], v[16:17] op_sel_hi:[1,0,1]
	v_pk_fma_f32 v[14:15], v[48:49], v[44:45], v[14:15] op_sel_hi:[1,0,1]
	s_barrier_wait -1
	v_mov_b32_e32 v32, v43
	s_delay_alu instid0(VALU_DEP_3) | instskip(NEXT) | instid1(VALU_DEP_3)
	v_pk_fma_f32 v[16:17], v[50:51], v[36:37], v[16:17] op_sel_hi:[1,0,1]
	v_pk_fma_f32 v[14:15], v[50:51], v[40:41], v[14:15] op_sel_hi:[1,0,1]
	s_delay_alu instid0(VALU_DEP_2) | instskip(NEXT) | instid1(VALU_DEP_2)
	v_pk_fma_f32 v[16:17], v[26:27], v[36:37], v[16:17] op_sel:[0,1,0]
	v_pk_fma_f32 v[14:15], v[26:27], v[40:41], v[14:15] op_sel:[0,1,0]
	v_mov_b32_e32 v26, v39
	s_delay_alu instid0(VALU_DEP_3) | instskip(NEXT) | instid1(VALU_DEP_3)
	v_pk_fma_f32 v[16:17], v[22:23], v[38:39], v[16:17] op_sel_hi:[1,0,1]
	v_pk_fma_f32 v[14:15], v[22:23], v[42:43], v[14:15] op_sel_hi:[1,0,1]
	s_delay_alu instid0(VALU_DEP_2) | instskip(NEXT) | instid1(VALU_DEP_2)
	v_pk_fma_f32 v[16:17], v[24:25], v[26:27], v[16:17] op_sel_hi:[1,0,1]
	v_pk_fma_f32 v[14:15], v[24:25], v[32:33], v[14:15] op_sel_hi:[1,0,1]
	s_cbranch_vccz .LBB386_11
.LBB386_7:                              ;   Parent Loop BB386_4 Depth=1
                                        ; =>  This Inner Loop Header: Depth=2
	v_add_nc_u64_e32 v[22:23], s[16:17], v[2:3]
	s_delay_alu instid0(VALU_DEP_1) | instskip(SKIP_2) | instid1(SALU_CYCLE_1)
	v_cmp_gt_i64_e32 vcc_lo, s[36:37], v[22:23]
	v_mov_b32_e32 v22, 0
	s_and_b32 s21, s0, vcc_lo
	s_and_saveexec_b32 s20, s21
	s_cbranch_execz .LBB386_9
; %bb.8:                                ;   in Loop: Header=BB386_7 Depth=2
	global_load_u16 v22, v[20:21], off
	s_wait_loadcnt 0x0
	v_cvt_f32_f16_e32 v22, v22
.LBB386_9:                              ;   in Loop: Header=BB386_7 Depth=2
	s_wait_xcnt 0x0
	s_or_b32 exec_lo, exec_lo, s20
	v_add_nc_u64_e32 v[24:25], s[16:17], v[0:1]
	v_mov_b32_e32 v23, 0
	ds_store_b32 v28, v22
	v_cmp_gt_i64_e32 vcc_lo, s[36:37], v[24:25]
	s_and_b32 s21, vcc_lo, s1
	s_delay_alu instid0(SALU_CYCLE_1)
	s_and_saveexec_b32 s20, s21
	s_cbranch_execz .LBB386_6
; %bb.10:                               ;   in Loop: Header=BB386_7 Depth=2
	global_load_u16 v22, v[18:19], off
	s_wait_loadcnt 0x0
	v_cvt_f32_f16_e32 v23, v22
	s_branch .LBB386_6
.LBB386_11:                             ;   in Loop: Header=BB386_4 Depth=1
	s_mul_u64 s[16:17], s[26:27], s[34:35]
	s_and_not1_b32 vcc_lo, exec_lo, s39
	s_lshl_b64 s[16:17], s[16:17], 1
	s_delay_alu instid0(SALU_CYCLE_1)
	s_add_nc_u64 s[16:17], s[14:15], s[16:17]
	s_cbranch_vccnz .LBB386_16
; %bb.12:                               ;   in Loop: Header=BB386_4 Depth=1
	s_and_saveexec_b32 s20, s2
	s_cbranch_execz .LBB386_23
; %bb.13:                               ;   in Loop: Header=BB386_4 Depth=1
	v_lshl_add_u64 v[18:19], v[4:5], 1, s[16:17]
	s_delay_alu instid0(VALU_DEP_1)
	v_lshl_add_u64 v[20:21], v[6:7], 1, v[18:19]
	s_and_saveexec_b32 s21, s3
	s_cbranch_execnz .LBB386_17
; %bb.14:                               ;   in Loop: Header=BB386_4 Depth=1
	s_or_b32 exec_lo, exec_lo, s21
	s_and_saveexec_b32 s21, s4
	s_cbranch_execnz .LBB386_18
.LBB386_15:                             ;   in Loop: Header=BB386_4 Depth=1
	s_or_b32 exec_lo, exec_lo, s21
	s_delay_alu instid0(SALU_CYCLE_1)
	s_and_b32 exec_lo, exec_lo, s5
	s_cbranch_execnz .LBB386_19
	s_branch .LBB386_23
.LBB386_16:                             ;   in Loop: Header=BB386_4 Depth=1
	s_branch .LBB386_24
.LBB386_17:                             ;   in Loop: Header=BB386_4 Depth=1
	v_fma_mixlo_f16 v22, s38, v16, 0
	global_store_b16 v[20:21], v22, off
	s_wait_xcnt 0x0
	s_or_b32 exec_lo, exec_lo, s21
	s_and_saveexec_b32 s21, s4
	s_cbranch_execz .LBB386_15
.LBB386_18:                             ;   in Loop: Header=BB386_4 Depth=1
	v_fma_mixlo_f16 v22, s38, v17, 0
	global_store_b16 v[20:21], v22, off offset:32
	s_wait_xcnt 0x0
	s_or_b32 exec_lo, exec_lo, s21
	s_delay_alu instid0(SALU_CYCLE_1)
	s_and_b32 exec_lo, exec_lo, s5
	s_cbranch_execz .LBB386_23
.LBB386_19:                             ;   in Loop: Header=BB386_4 Depth=1
	v_lshl_add_u64 v[18:19], s[18:19], 1, v[18:19]
	s_delay_alu instid0(VALU_DEP_1)
	v_lshl_add_u64 v[18:19], v[6:7], 1, v[18:19]
	s_and_saveexec_b32 s21, s3
	s_cbranch_execz .LBB386_21
; %bb.20:                               ;   in Loop: Header=BB386_4 Depth=1
	v_fma_mixlo_f16 v20, s38, v14, 0
	global_store_b16 v[18:19], v20, off
.LBB386_21:                             ;   in Loop: Header=BB386_4 Depth=1
	s_wait_xcnt 0x0
	s_or_b32 exec_lo, exec_lo, s21
	s_delay_alu instid0(SALU_CYCLE_1)
	s_and_b32 exec_lo, exec_lo, s4
	s_cbranch_execz .LBB386_23
; %bb.22:                               ;   in Loop: Header=BB386_4 Depth=1
	v_fma_mixlo_f16 v20, s38, v15, 0
	global_store_b16 v[18:19], v20, off offset:32
.LBB386_23:                             ;   in Loop: Header=BB386_4 Depth=1
	s_wait_xcnt 0x0
	s_or_b32 exec_lo, exec_lo, s20
	s_cbranch_execnz .LBB386_3
.LBB386_24:                             ;   in Loop: Header=BB386_4 Depth=1
	s_and_saveexec_b32 s20, s2
	s_cbranch_execz .LBB386_2
; %bb.25:                               ;   in Loop: Header=BB386_4 Depth=1
	s_mul_u64 s[24:25], s[12:13], s[34:35]
	v_lshlrev_b64_e32 v[18:19], 1, v[6:7]
	v_lshl_add_u64 v[20:21], s[24:25], 1, v[8:9]
	v_lshl_add_u64 v[22:23], v[4:5], 1, s[16:17]
	s_delay_alu instid0(VALU_DEP_2) | instskip(NEXT) | instid1(VALU_DEP_2)
	v_add_nc_u64_e32 v[26:27], v[20:21], v[18:19]
	v_add_nc_u64_e32 v[24:25], v[22:23], v[18:19]
	s_and_saveexec_b32 s16, s3
	s_cbranch_execnz .LBB386_28
; %bb.26:                               ;   in Loop: Header=BB386_4 Depth=1
	s_or_b32 exec_lo, exec_lo, s16
	s_and_saveexec_b32 s16, s4
	s_cbranch_execnz .LBB386_29
.LBB386_27:                             ;   in Loop: Header=BB386_4 Depth=1
	s_or_b32 exec_lo, exec_lo, s16
	s_delay_alu instid0(SALU_CYCLE_1)
	s_and_b32 exec_lo, exec_lo, s5
	s_cbranch_execz .LBB386_2
	s_branch .LBB386_30
.LBB386_28:                             ;   in Loop: Header=BB386_4 Depth=1
	global_load_u16 v33, v[26:27], off
	v_mov_b64_e32 v[34:35], s[40:41]
	v_mov_b32_e32 v32, v16
	s_wait_loadcnt 0x0
	v_cvt_f32_f16_e32 v33, v33
	s_delay_alu instid0(VALU_DEP_1) | instskip(NEXT) | instid1(VALU_DEP_1)
	v_pk_mul_f32 v[32:33], v[34:35], v[32:33]
	v_add_f32_e32 v16, v32, v33
	s_delay_alu instid0(VALU_DEP_1)
	v_cvt_f16_f32_e32 v16, v16
	global_store_b16 v[24:25], v16, off
	s_wait_xcnt 0x0
	s_or_b32 exec_lo, exec_lo, s16
	s_and_saveexec_b32 s16, s4
	s_cbranch_execz .LBB386_27
.LBB386_29:                             ;   in Loop: Header=BB386_4 Depth=1
	global_load_u16 v26, v[26:27], off offset:32
	v_mov_b32_e32 v16, v17
	s_wait_loadcnt 0x0
	v_cvt_f32_f16_e32 v17, v26
	s_wait_xcnt 0x0
	v_mov_b64_e32 v[26:27], s[40:41]
	s_delay_alu instid0(VALU_DEP_1) | instskip(NEXT) | instid1(VALU_DEP_1)
	v_pk_mul_f32 v[16:17], v[26:27], v[16:17]
	v_add_f32_e32 v16, v16, v17
	s_delay_alu instid0(VALU_DEP_1) | instskip(SKIP_3) | instid1(SALU_CYCLE_1)
	v_cvt_f16_f32_e32 v16, v16
	global_store_b16 v[24:25], v16, off offset:32
	s_wait_xcnt 0x0
	s_or_b32 exec_lo, exec_lo, s16
	s_and_b32 exec_lo, exec_lo, s5
	s_cbranch_execz .LBB386_2
.LBB386_30:                             ;   in Loop: Header=BB386_4 Depth=1
	v_lshl_add_u64 v[16:17], s[8:9], 1, v[20:21]
	v_lshl_add_u64 v[22:23], s[18:19], 1, v[22:23]
	s_delay_alu instid0(VALU_DEP_2) | instskip(NEXT) | instid1(VALU_DEP_2)
	v_add_nc_u64_e32 v[20:21], v[16:17], v[18:19]
	v_add_nc_u64_e32 v[16:17], v[22:23], v[18:19]
	s_and_saveexec_b32 s16, s3
	s_cbranch_execz .LBB386_32
; %bb.31:                               ;   in Loop: Header=BB386_4 Depth=1
	global_load_u16 v19, v[20:21], off
	v_mov_b64_e32 v[22:23], s[40:41]
	v_mov_b32_e32 v18, v14
	s_wait_loadcnt 0x0
	v_cvt_f32_f16_e32 v19, v19
	s_delay_alu instid0(VALU_DEP_1) | instskip(NEXT) | instid1(VALU_DEP_1)
	v_pk_mul_f32 v[18:19], v[22:23], v[18:19]
	v_add_f32_e32 v14, v18, v19
	s_delay_alu instid0(VALU_DEP_1)
	v_cvt_f16_f32_e32 v14, v14
	global_store_b16 v[16:17], v14, off
.LBB386_32:                             ;   in Loop: Header=BB386_4 Depth=1
	s_wait_xcnt 0x0
	s_or_b32 exec_lo, exec_lo, s16
	s_delay_alu instid0(SALU_CYCLE_1)
	s_and_b32 exec_lo, exec_lo, s4
	s_cbranch_execz .LBB386_2
; %bb.33:                               ;   in Loop: Header=BB386_4 Depth=1
	global_load_u16 v18, v[20:21], off offset:32
	v_mov_b32_e32 v14, v15
	s_wait_loadcnt 0x0
	v_cvt_f32_f16_e32 v15, v18
	v_mov_b64_e32 v[18:19], s[40:41]
	s_delay_alu instid0(VALU_DEP_1) | instskip(NEXT) | instid1(VALU_DEP_1)
	v_pk_mul_f32 v[14:15], v[18:19], v[14:15]
	v_add_f32_e32 v14, v14, v15
	s_delay_alu instid0(VALU_DEP_1)
	v_cvt_f16_f32_e32 v14, v14
	global_store_b16 v[16:17], v14, off offset:32
	s_branch .LBB386_2
.LBB386_34:
	s_endpgm
	.section	.rodata,"a",@progbits
	.p2align	6, 0x0
	.amdhsa_kernel _ZN12_GLOBAL__N_135rocblas_gemm_batched_general_kernelIfLi16ELi16ELi32ELi32ELi8ELi32ELi8ELi8ELi32ELc67ELc78EKDF16_S1_DF16_EEvlllT_PT11_llS4_llS2_PT12_llPT13_lli
		.amdhsa_group_segment_fixed_size 2048
		.amdhsa_private_segment_fixed_size 0
		.amdhsa_kernarg_size 140
		.amdhsa_user_sgpr_count 2
		.amdhsa_user_sgpr_dispatch_ptr 0
		.amdhsa_user_sgpr_queue_ptr 0
		.amdhsa_user_sgpr_kernarg_segment_ptr 1
		.amdhsa_user_sgpr_dispatch_id 0
		.amdhsa_user_sgpr_kernarg_preload_length 0
		.amdhsa_user_sgpr_kernarg_preload_offset 0
		.amdhsa_user_sgpr_private_segment_size 0
		.amdhsa_wavefront_size32 1
		.amdhsa_uses_dynamic_stack 0
		.amdhsa_enable_private_segment 0
		.amdhsa_system_sgpr_workgroup_id_x 1
		.amdhsa_system_sgpr_workgroup_id_y 1
		.amdhsa_system_sgpr_workgroup_id_z 1
		.amdhsa_system_sgpr_workgroup_info 0
		.amdhsa_system_vgpr_workitem_id 1
		.amdhsa_next_free_vgpr 52
		.amdhsa_next_free_sgpr 42
		.amdhsa_named_barrier_count 0
		.amdhsa_reserve_vcc 1
		.amdhsa_float_round_mode_32 0
		.amdhsa_float_round_mode_16_64 0
		.amdhsa_float_denorm_mode_32 3
		.amdhsa_float_denorm_mode_16_64 3
		.amdhsa_fp16_overflow 0
		.amdhsa_memory_ordered 1
		.amdhsa_forward_progress 1
		.amdhsa_inst_pref_size 15
		.amdhsa_round_robin_scheduling 0
		.amdhsa_exception_fp_ieee_invalid_op 0
		.amdhsa_exception_fp_denorm_src 0
		.amdhsa_exception_fp_ieee_div_zero 0
		.amdhsa_exception_fp_ieee_overflow 0
		.amdhsa_exception_fp_ieee_underflow 0
		.amdhsa_exception_fp_ieee_inexact 0
		.amdhsa_exception_int_div_zero 0
	.end_amdhsa_kernel
	.section	.text._ZN12_GLOBAL__N_135rocblas_gemm_batched_general_kernelIfLi16ELi16ELi32ELi32ELi8ELi32ELi8ELi8ELi32ELc67ELc78EKDF16_S1_DF16_EEvlllT_PT11_llS4_llS2_PT12_llPT13_lli,"axG",@progbits,_ZN12_GLOBAL__N_135rocblas_gemm_batched_general_kernelIfLi16ELi16ELi32ELi32ELi8ELi32ELi8ELi8ELi32ELc67ELc78EKDF16_S1_DF16_EEvlllT_PT11_llS4_llS2_PT12_llPT13_lli,comdat
.Lfunc_end386:
	.size	_ZN12_GLOBAL__N_135rocblas_gemm_batched_general_kernelIfLi16ELi16ELi32ELi32ELi8ELi32ELi8ELi8ELi32ELc67ELc78EKDF16_S1_DF16_EEvlllT_PT11_llS4_llS2_PT12_llPT13_lli, .Lfunc_end386-_ZN12_GLOBAL__N_135rocblas_gemm_batched_general_kernelIfLi16ELi16ELi32ELi32ELi8ELi32ELi8ELi8ELi32ELc67ELc78EKDF16_S1_DF16_EEvlllT_PT11_llS4_llS2_PT12_llPT13_lli
                                        ; -- End function
	.set _ZN12_GLOBAL__N_135rocblas_gemm_batched_general_kernelIfLi16ELi16ELi32ELi32ELi8ELi32ELi8ELi8ELi32ELc67ELc78EKDF16_S1_DF16_EEvlllT_PT11_llS4_llS2_PT12_llPT13_lli.num_vgpr, 52
	.set _ZN12_GLOBAL__N_135rocblas_gemm_batched_general_kernelIfLi16ELi16ELi32ELi32ELi8ELi32ELi8ELi8ELi32ELc67ELc78EKDF16_S1_DF16_EEvlllT_PT11_llS4_llS2_PT12_llPT13_lli.num_agpr, 0
	.set _ZN12_GLOBAL__N_135rocblas_gemm_batched_general_kernelIfLi16ELi16ELi32ELi32ELi8ELi32ELi8ELi8ELi32ELc67ELc78EKDF16_S1_DF16_EEvlllT_PT11_llS4_llS2_PT12_llPT13_lli.numbered_sgpr, 42
	.set _ZN12_GLOBAL__N_135rocblas_gemm_batched_general_kernelIfLi16ELi16ELi32ELi32ELi8ELi32ELi8ELi8ELi32ELc67ELc78EKDF16_S1_DF16_EEvlllT_PT11_llS4_llS2_PT12_llPT13_lli.num_named_barrier, 0
	.set _ZN12_GLOBAL__N_135rocblas_gemm_batched_general_kernelIfLi16ELi16ELi32ELi32ELi8ELi32ELi8ELi8ELi32ELc67ELc78EKDF16_S1_DF16_EEvlllT_PT11_llS4_llS2_PT12_llPT13_lli.private_seg_size, 0
	.set _ZN12_GLOBAL__N_135rocblas_gemm_batched_general_kernelIfLi16ELi16ELi32ELi32ELi8ELi32ELi8ELi8ELi32ELc67ELc78EKDF16_S1_DF16_EEvlllT_PT11_llS4_llS2_PT12_llPT13_lli.uses_vcc, 1
	.set _ZN12_GLOBAL__N_135rocblas_gemm_batched_general_kernelIfLi16ELi16ELi32ELi32ELi8ELi32ELi8ELi8ELi32ELc67ELc78EKDF16_S1_DF16_EEvlllT_PT11_llS4_llS2_PT12_llPT13_lli.uses_flat_scratch, 0
	.set _ZN12_GLOBAL__N_135rocblas_gemm_batched_general_kernelIfLi16ELi16ELi32ELi32ELi8ELi32ELi8ELi8ELi32ELc67ELc78EKDF16_S1_DF16_EEvlllT_PT11_llS4_llS2_PT12_llPT13_lli.has_dyn_sized_stack, 0
	.set _ZN12_GLOBAL__N_135rocblas_gemm_batched_general_kernelIfLi16ELi16ELi32ELi32ELi8ELi32ELi8ELi8ELi32ELc67ELc78EKDF16_S1_DF16_EEvlllT_PT11_llS4_llS2_PT12_llPT13_lli.has_recursion, 0
	.set _ZN12_GLOBAL__N_135rocblas_gemm_batched_general_kernelIfLi16ELi16ELi32ELi32ELi8ELi32ELi8ELi8ELi32ELc67ELc78EKDF16_S1_DF16_EEvlllT_PT11_llS4_llS2_PT12_llPT13_lli.has_indirect_call, 0
	.section	.AMDGPU.csdata,"",@progbits
; Kernel info:
; codeLenInByte = 1816
; TotalNumSgprs: 44
; NumVgprs: 52
; ScratchSize: 0
; MemoryBound: 0
; FloatMode: 240
; IeeeMode: 1
; LDSByteSize: 2048 bytes/workgroup (compile time only)
; SGPRBlocks: 0
; VGPRBlocks: 3
; NumSGPRsForWavesPerEU: 44
; NumVGPRsForWavesPerEU: 52
; NamedBarCnt: 0
; Occupancy: 16
; WaveLimiterHint : 0
; COMPUTE_PGM_RSRC2:SCRATCH_EN: 0
; COMPUTE_PGM_RSRC2:USER_SGPR: 2
; COMPUTE_PGM_RSRC2:TRAP_HANDLER: 0
; COMPUTE_PGM_RSRC2:TGID_X_EN: 1
; COMPUTE_PGM_RSRC2:TGID_Y_EN: 1
; COMPUTE_PGM_RSRC2:TGID_Z_EN: 1
; COMPUTE_PGM_RSRC2:TIDIG_COMP_CNT: 1
	.section	.text._ZN12_GLOBAL__N_135rocblas_gemm_batched_general_kernelIfLi16ELi16ELi32ELi32ELi8ELi32ELi8ELi8ELi32ELc67ELc84EKDF16_S1_DF16_EEvlllT_PT11_llS4_llS2_PT12_llPT13_lli,"axG",@progbits,_ZN12_GLOBAL__N_135rocblas_gemm_batched_general_kernelIfLi16ELi16ELi32ELi32ELi8ELi32ELi8ELi8ELi32ELc67ELc84EKDF16_S1_DF16_EEvlllT_PT11_llS4_llS2_PT12_llPT13_lli,comdat
	.globl	_ZN12_GLOBAL__N_135rocblas_gemm_batched_general_kernelIfLi16ELi16ELi32ELi32ELi8ELi32ELi8ELi8ELi32ELc67ELc84EKDF16_S1_DF16_EEvlllT_PT11_llS4_llS2_PT12_llPT13_lli ; -- Begin function _ZN12_GLOBAL__N_135rocblas_gemm_batched_general_kernelIfLi16ELi16ELi32ELi32ELi8ELi32ELi8ELi8ELi32ELc67ELc84EKDF16_S1_DF16_EEvlllT_PT11_llS4_llS2_PT12_llPT13_lli
	.p2align	8
	.type	_ZN12_GLOBAL__N_135rocblas_gemm_batched_general_kernelIfLi16ELi16ELi32ELi32ELi8ELi32ELi8ELi8ELi32ELc67ELc84EKDF16_S1_DF16_EEvlllT_PT11_llS4_llS2_PT12_llPT13_lli,@function
_ZN12_GLOBAL__N_135rocblas_gemm_batched_general_kernelIfLi16ELi16ELi32ELi32ELi8ELi32ELi8ELi8ELi32ELc67ELc84EKDF16_S1_DF16_EEvlllT_PT11_llS4_llS2_PT12_llPT13_lli: ; @_ZN12_GLOBAL__N_135rocblas_gemm_batched_general_kernelIfLi16ELi16ELi32ELi32ELi8ELi32ELi8ELi8ELi32ELc67ELc84EKDF16_S1_DF16_EEvlllT_PT11_llS4_llS2_PT12_llPT13_lli
; %bb.0:
	s_load_b32 s33, s[0:1], 0x88
	s_bfe_u32 s2, ttmp6, 0x40014
	s_lshr_b32 s3, ttmp7, 16
	s_add_co_i32 s2, s2, 1
	s_bfe_u32 s5, ttmp6, 0x40008
	s_mul_i32 s4, s3, s2
	s_getreg_b32 s2, hwreg(HW_REG_IB_STS2, 6, 4)
	s_add_co_i32 s5, s5, s4
	s_cmp_eq_u32 s2, 0
	s_mov_b32 s35, 0
	s_cselect_b32 s34, s3, s5
	s_wait_kmcnt 0x0
	s_cmp_ge_i32 s34, s33
	s_cbranch_scc1 .LBB387_34
; %bb.1:
	s_clause 0x4
	s_load_b128 s[4:7], s[0:1], 0x0
	s_load_b256 s[16:23], s[0:1], 0x20
	s_load_b128 s[28:31], s[0:1], 0x40
	s_load_b32 s41, s[0:1], 0x50
	s_load_b256 s[8:15], s[0:1], 0x58
	v_bfe_u32 v8, v0, 10, 10
	v_and_b32_e32 v10, 0x3ff, v0
	v_dual_mov_b32 v9, 0 :: v_dual_bitop2_b32 v0, 7, v0 bitop3:0x40
	s_bfe_u32 s3, ttmp6, 0x4000c
	s_bfe_u32 s25, ttmp6, 0x40010
	s_add_co_i32 s3, s3, 1
	s_and_b32 s26, ttmp7, 0xffff
	s_add_co_i32 s25, s25, 1
	s_and_b32 s24, ttmp6, 15
	s_mul_i32 s3, ttmp9, s3
	s_mul_i32 s25, s26, s25
	s_bfe_u32 s27, ttmp6, 0x40004
	v_lshl_add_u32 v2, v8, 4, v10
	v_mov_b32_e32 v1, v9
	s_add_co_i32 s24, s24, s3
	s_add_co_i32 s27, s27, s25
	s_cmp_eq_u32 s2, 0
	v_and_b32_e32 v3, 31, v2
	s_cselect_b32 s2, ttmp9, s24
	s_wait_kmcnt 0x0
	v_mul_u64_e32 v[12:13], s[28:29], v[0:1]
	s_cselect_b32 s40, s26, s27
	s_ashr_i32 s3, s2, 31
	s_clause 0x1
	s_load_b128 s[24:27], s[0:1], 0x78
	s_load_b96 s[36:38], s[0:1], 0x10
	s_lshl_b64 s[2:3], s[2:3], 5
	s_lshl_b32 s42, s40, 5
	v_dual_mov_b32 v5, s3 :: v_dual_bitop2_b32 v4, s2, v3 bitop3:0x54
	s_mov_b32 s43, s35
	v_dual_mov_b32 v11, v9 :: v_dual_lshrrev_b32 v16, 3, v2
	v_add_nc_u64_e32 v[14:15], s[42:43], v[8:9]
	s_delay_alu instid0(VALU_DEP_3)
	v_mul_u64_e32 v[18:19], s[18:19], v[4:5]
	v_dual_mov_b32 v17, v9 :: v_dual_lshrrev_b32 v2, 5, v2
	s_wait_xcnt 0x0
	v_cmp_gt_i64_e64 s0, s[4:5], v[4:5]
	s_cmp_eq_f32 s41, 0
	v_dual_lshlrev_b32 v22, 2, v0 :: v_dual_lshlrev_b32 v23, 2, v3
	v_mul_u64_e32 v[20:21], s[10:11], v[14:15]
	v_add_nc_u64_e32 v[6:7], s[42:43], v[16:17]
	s_cselect_b32 s39, -1, 0
	s_wait_kmcnt 0x0
	v_mul_u64_e32 v[4:5], s[24:25], v[14:15]
	v_mov_b32_e32 v3, v9
	v_lshl_add_u32 v30, v8, 5, 0x400
	v_lshlrev_b32_e32 v8, 1, v16
	v_lshl_or_b32 v17, v16, 5, v22
	v_cmp_gt_i64_e64 s1, s[6:7], v[6:7]
	v_add_nc_u64_e32 v[6:7], s[2:3], v[10:11]
	s_lshl_b32 s2, s40, 6
	s_mov_b32 s3, s35
	v_lshlrev_b32_e32 v31, 2, v10
	v_lshl_add_u64 v[12:13], v[12:13], 1, s[2:3]
	v_lshl_or_b32 v28, v2, 7, v23
	v_add_nc_u32_e32 v29, 0x400, v17
	v_add_nc_u64_e32 v[16:17], 16, v[6:7]
	v_add_nc_u64_e32 v[22:23], 16, v[14:15]
	;; [unrolled: 1-line block ×3, first 2 shown]
	v_lshlrev_b32_e32 v8, 1, v2
	v_cmp_gt_i64_e64 s2, s[6:7], v[14:15]
	v_cmp_gt_i64_e64 s3, s[4:5], v[6:7]
	s_mov_b32 s40, s38
	v_cmp_gt_i64_e64 s4, s[4:5], v[16:17]
	v_cmp_gt_i64_e64 s5, s[6:7], v[22:23]
	v_lshl_add_u64 v[12:13], v[18:19], 1, v[8:9]
	v_add_nc_u64_e32 v[10:11], s[22:23], v[10:11]
	v_cmp_gt_i64_e64 s22, s[36:37], 0
	s_lshl_b64 s[6:7], s[24:25], 4
	s_lshl_b64 s[10:11], s[10:11], 4
	v_add_nc_u64_e32 v[12:13], s[16:17], v[12:13]
	s_lshl_b64 s[16:17], s[28:29], 4
	v_lshl_add_u64 v[8:9], v[20:21], 1, s[8:9]
	s_lshl_b64 s[8:9], s[30:31], 1
	s_lshl_b64 s[18:19], s[20:21], 1
	s_branch .LBB387_4
.LBB387_2:                              ;   in Loop: Header=BB387_4 Depth=1
	s_wait_xcnt 0x0
	s_or_b32 exec_lo, exec_lo, s23
.LBB387_3:                              ;   in Loop: Header=BB387_4 Depth=1
	s_add_co_i32 s34, s34, 0x10000
	s_delay_alu instid0(SALU_CYCLE_1)
	s_cmp_lt_i32 s34, s33
	s_cbranch_scc0 .LBB387_34
.LBB387_4:                              ; =>This Loop Header: Depth=1
                                        ;     Child Loop BB387_7 Depth 2
	v_dual_mov_b32 v17, 0 :: v_dual_mov_b32 v16, 0
	v_dual_mov_b32 v15, 0 :: v_dual_mov_b32 v14, 0
	s_and_not1_b32 vcc_lo, exec_lo, s22
	s_cbranch_vccnz .LBB387_11
; %bb.5:                                ;   in Loop: Header=BB387_4 Depth=1
	v_mad_nc_u64_u32 v[18:19], s8, s34, v[10:11]
	v_mad_nc_u64_u32 v[20:21], s18, s34, v[12:13]
	v_mov_b32_e32 v16, 0
	s_mov_b64 s[20:21], 0
	s_delay_alu instid0(VALU_DEP_1)
	v_dual_mov_b32 v17, v16 :: v_dual_mov_b32 v14, v16
	v_mov_b32_e32 v15, v16
	v_mad_u32 v19, s9, s34, v19
	v_mad_u32 v21, s19, s34, v21
	s_branch .LBB387_7
.LBB387_6:                              ;   in Loop: Header=BB387_7 Depth=2
	s_wait_xcnt 0x0
	s_or_b32 exec_lo, exec_lo, s23
	ds_store_b32 v29, v23
	s_wait_dscnt 0x0
	s_barrier_signal -1
	s_barrier_wait -1
	ds_load_b128 v[22:25], v30
	ds_load_2addr_b32 v[26:27], v31 offset1:16
	ds_load_b128 v[32:35], v30 offset:512
	ds_load_2addr_b32 v[44:45], v31 offset0:32 offset1:48
	ds_load_2addr_b32 v[46:47], v31 offset0:64 offset1:80
	;; [unrolled: 1-line block ×3, first 2 shown]
	ds_load_b128 v[36:39], v30 offset:16
	ds_load_2addr_b32 v[50:51], v31 offset0:128 offset1:144
	ds_load_b128 v[40:43], v30 offset:528
	s_add_nc_u64 s[20:21], s[20:21], 8
	v_add_nc_u64_e32 v[18:19], s[16:17], v[18:19]
	v_cmp_lt_i64_e64 s23, s[20:21], s[36:37]
	v_add_nc_u64_e32 v[20:21], 16, v[20:21]
	s_and_b32 vcc_lo, exec_lo, s23
	s_wait_dscnt 0x7
	v_pk_fma_f32 v[16:17], v[26:27], v[22:23], v[16:17] op_sel_hi:[1,0,1]
	s_wait_dscnt 0x6
	v_pk_fma_f32 v[14:15], v[26:27], v[32:33], v[14:15] op_sel_hi:[1,0,1]
	ds_load_2addr_b32 v[26:27], v31 offset0:160 offset1:176
	s_wait_dscnt 0x6
	v_pk_fma_f32 v[16:17], v[44:45], v[22:23], v[16:17] op_sel:[0,1,0]
	v_pk_fma_f32 v[14:15], v[44:45], v[32:33], v[14:15] op_sel:[0,1,0]
	ds_load_2addr_b32 v[22:23], v31 offset0:192 offset1:208
	v_dual_mov_b32 v32, v25 :: v_dual_mov_b32 v44, v35
	s_wait_dscnt 0x6
	v_pk_fma_f32 v[16:17], v[46:47], v[24:25], v[16:17] op_sel_hi:[1,0,1]
	v_pk_fma_f32 v[14:15], v[46:47], v[34:35], v[14:15] op_sel_hi:[1,0,1]
	ds_load_2addr_b32 v[24:25], v31 offset0:224 offset1:240
	s_wait_dscnt 0x0
	s_barrier_signal -1
	v_pk_fma_f32 v[16:17], v[48:49], v[32:33], v[16:17] op_sel_hi:[1,0,1]
	v_pk_fma_f32 v[14:15], v[48:49], v[44:45], v[14:15] op_sel_hi:[1,0,1]
	s_barrier_wait -1
	v_mov_b32_e32 v32, v43
	s_delay_alu instid0(VALU_DEP_3) | instskip(NEXT) | instid1(VALU_DEP_3)
	v_pk_fma_f32 v[16:17], v[50:51], v[36:37], v[16:17] op_sel_hi:[1,0,1]
	v_pk_fma_f32 v[14:15], v[50:51], v[40:41], v[14:15] op_sel_hi:[1,0,1]
	s_delay_alu instid0(VALU_DEP_2) | instskip(NEXT) | instid1(VALU_DEP_2)
	v_pk_fma_f32 v[16:17], v[26:27], v[36:37], v[16:17] op_sel:[0,1,0]
	v_pk_fma_f32 v[14:15], v[26:27], v[40:41], v[14:15] op_sel:[0,1,0]
	v_mov_b32_e32 v26, v39
	s_delay_alu instid0(VALU_DEP_3) | instskip(NEXT) | instid1(VALU_DEP_3)
	v_pk_fma_f32 v[16:17], v[22:23], v[38:39], v[16:17] op_sel_hi:[1,0,1]
	v_pk_fma_f32 v[14:15], v[22:23], v[42:43], v[14:15] op_sel_hi:[1,0,1]
	s_delay_alu instid0(VALU_DEP_2) | instskip(NEXT) | instid1(VALU_DEP_2)
	v_pk_fma_f32 v[16:17], v[24:25], v[26:27], v[16:17] op_sel_hi:[1,0,1]
	v_pk_fma_f32 v[14:15], v[24:25], v[32:33], v[14:15] op_sel_hi:[1,0,1]
	s_cbranch_vccz .LBB387_11
.LBB387_7:                              ;   Parent Loop BB387_4 Depth=1
                                        ; =>  This Inner Loop Header: Depth=2
	v_add_nc_u64_e32 v[22:23], s[20:21], v[2:3]
	s_delay_alu instid0(VALU_DEP_1) | instskip(SKIP_2) | instid1(SALU_CYCLE_1)
	v_cmp_gt_i64_e32 vcc_lo, s[36:37], v[22:23]
	v_mov_b32_e32 v22, 0
	s_and_b32 s24, s0, vcc_lo
	s_and_saveexec_b32 s23, s24
	s_cbranch_execz .LBB387_9
; %bb.8:                                ;   in Loop: Header=BB387_7 Depth=2
	global_load_u16 v22, v[20:21], off
	s_wait_loadcnt 0x0
	v_cvt_f32_f16_e32 v22, v22
.LBB387_9:                              ;   in Loop: Header=BB387_7 Depth=2
	s_wait_xcnt 0x0
	s_or_b32 exec_lo, exec_lo, s23
	v_add_nc_u64_e32 v[24:25], s[20:21], v[0:1]
	v_mov_b32_e32 v23, 0
	ds_store_b32 v28, v22
	v_cmp_gt_i64_e32 vcc_lo, s[36:37], v[24:25]
	s_and_b32 s24, vcc_lo, s1
	s_delay_alu instid0(SALU_CYCLE_1)
	s_and_saveexec_b32 s23, s24
	s_cbranch_execz .LBB387_6
; %bb.10:                               ;   in Loop: Header=BB387_7 Depth=2
	global_load_u16 v22, v[18:19], off
	s_wait_loadcnt 0x0
	v_cvt_f32_f16_e32 v23, v22
	s_branch .LBB387_6
.LBB387_11:                             ;   in Loop: Header=BB387_4 Depth=1
	s_mul_u64 s[20:21], s[26:27], s[34:35]
	s_and_not1_b32 vcc_lo, exec_lo, s39
	s_lshl_b64 s[20:21], s[20:21], 1
	s_delay_alu instid0(SALU_CYCLE_1)
	s_add_nc_u64 s[20:21], s[14:15], s[20:21]
	s_cbranch_vccnz .LBB387_16
; %bb.12:                               ;   in Loop: Header=BB387_4 Depth=1
	s_and_saveexec_b32 s23, s2
	s_cbranch_execz .LBB387_23
; %bb.13:                               ;   in Loop: Header=BB387_4 Depth=1
	v_lshl_add_u64 v[18:19], v[4:5], 1, s[20:21]
	s_delay_alu instid0(VALU_DEP_1)
	v_lshl_add_u64 v[20:21], v[6:7], 1, v[18:19]
	s_and_saveexec_b32 s24, s3
	s_cbranch_execnz .LBB387_17
; %bb.14:                               ;   in Loop: Header=BB387_4 Depth=1
	s_or_b32 exec_lo, exec_lo, s24
	s_and_saveexec_b32 s24, s4
	s_cbranch_execnz .LBB387_18
.LBB387_15:                             ;   in Loop: Header=BB387_4 Depth=1
	s_or_b32 exec_lo, exec_lo, s24
	s_delay_alu instid0(SALU_CYCLE_1)
	s_and_b32 exec_lo, exec_lo, s5
	s_cbranch_execnz .LBB387_19
	s_branch .LBB387_23
.LBB387_16:                             ;   in Loop: Header=BB387_4 Depth=1
	s_branch .LBB387_24
.LBB387_17:                             ;   in Loop: Header=BB387_4 Depth=1
	v_fma_mixlo_f16 v22, s38, v16, 0
	global_store_b16 v[20:21], v22, off
	s_wait_xcnt 0x0
	s_or_b32 exec_lo, exec_lo, s24
	s_and_saveexec_b32 s24, s4
	s_cbranch_execz .LBB387_15
.LBB387_18:                             ;   in Loop: Header=BB387_4 Depth=1
	v_fma_mixlo_f16 v22, s38, v17, 0
	global_store_b16 v[20:21], v22, off offset:32
	s_wait_xcnt 0x0
	s_or_b32 exec_lo, exec_lo, s24
	s_delay_alu instid0(SALU_CYCLE_1)
	s_and_b32 exec_lo, exec_lo, s5
	s_cbranch_execz .LBB387_23
.LBB387_19:                             ;   in Loop: Header=BB387_4 Depth=1
	v_lshl_add_u64 v[18:19], s[6:7], 1, v[18:19]
	s_delay_alu instid0(VALU_DEP_1)
	v_lshl_add_u64 v[18:19], v[6:7], 1, v[18:19]
	s_and_saveexec_b32 s24, s3
	s_cbranch_execz .LBB387_21
; %bb.20:                               ;   in Loop: Header=BB387_4 Depth=1
	v_fma_mixlo_f16 v20, s38, v14, 0
	global_store_b16 v[18:19], v20, off
.LBB387_21:                             ;   in Loop: Header=BB387_4 Depth=1
	s_wait_xcnt 0x0
	s_or_b32 exec_lo, exec_lo, s24
	s_delay_alu instid0(SALU_CYCLE_1)
	s_and_b32 exec_lo, exec_lo, s4
	s_cbranch_execz .LBB387_23
; %bb.22:                               ;   in Loop: Header=BB387_4 Depth=1
	v_fma_mixlo_f16 v20, s38, v15, 0
	global_store_b16 v[18:19], v20, off offset:32
.LBB387_23:                             ;   in Loop: Header=BB387_4 Depth=1
	s_wait_xcnt 0x0
	s_or_b32 exec_lo, exec_lo, s23
	s_cbranch_execnz .LBB387_3
.LBB387_24:                             ;   in Loop: Header=BB387_4 Depth=1
	s_and_saveexec_b32 s23, s2
	s_cbranch_execz .LBB387_2
; %bb.25:                               ;   in Loop: Header=BB387_4 Depth=1
	s_mul_u64 s[24:25], s[12:13], s[34:35]
	v_lshlrev_b64_e32 v[18:19], 1, v[6:7]
	v_lshl_add_u64 v[20:21], s[24:25], 1, v[8:9]
	v_lshl_add_u64 v[22:23], v[4:5], 1, s[20:21]
	s_delay_alu instid0(VALU_DEP_2) | instskip(NEXT) | instid1(VALU_DEP_2)
	v_add_nc_u64_e32 v[26:27], v[20:21], v[18:19]
	v_add_nc_u64_e32 v[24:25], v[22:23], v[18:19]
	s_and_saveexec_b32 s20, s3
	s_cbranch_execnz .LBB387_28
; %bb.26:                               ;   in Loop: Header=BB387_4 Depth=1
	s_or_b32 exec_lo, exec_lo, s20
	s_and_saveexec_b32 s20, s4
	s_cbranch_execnz .LBB387_29
.LBB387_27:                             ;   in Loop: Header=BB387_4 Depth=1
	s_or_b32 exec_lo, exec_lo, s20
	s_delay_alu instid0(SALU_CYCLE_1)
	s_and_b32 exec_lo, exec_lo, s5
	s_cbranch_execz .LBB387_2
	s_branch .LBB387_30
.LBB387_28:                             ;   in Loop: Header=BB387_4 Depth=1
	global_load_u16 v33, v[26:27], off
	v_mov_b64_e32 v[34:35], s[40:41]
	v_mov_b32_e32 v32, v16
	s_wait_loadcnt 0x0
	v_cvt_f32_f16_e32 v33, v33
	s_delay_alu instid0(VALU_DEP_1) | instskip(NEXT) | instid1(VALU_DEP_1)
	v_pk_mul_f32 v[32:33], v[34:35], v[32:33]
	v_add_f32_e32 v16, v32, v33
	s_delay_alu instid0(VALU_DEP_1)
	v_cvt_f16_f32_e32 v16, v16
	global_store_b16 v[24:25], v16, off
	s_wait_xcnt 0x0
	s_or_b32 exec_lo, exec_lo, s20
	s_and_saveexec_b32 s20, s4
	s_cbranch_execz .LBB387_27
.LBB387_29:                             ;   in Loop: Header=BB387_4 Depth=1
	global_load_u16 v26, v[26:27], off offset:32
	v_mov_b32_e32 v16, v17
	s_wait_loadcnt 0x0
	v_cvt_f32_f16_e32 v17, v26
	s_wait_xcnt 0x0
	v_mov_b64_e32 v[26:27], s[40:41]
	s_delay_alu instid0(VALU_DEP_1) | instskip(NEXT) | instid1(VALU_DEP_1)
	v_pk_mul_f32 v[16:17], v[26:27], v[16:17]
	v_add_f32_e32 v16, v16, v17
	s_delay_alu instid0(VALU_DEP_1) | instskip(SKIP_3) | instid1(SALU_CYCLE_1)
	v_cvt_f16_f32_e32 v16, v16
	global_store_b16 v[24:25], v16, off offset:32
	s_wait_xcnt 0x0
	s_or_b32 exec_lo, exec_lo, s20
	s_and_b32 exec_lo, exec_lo, s5
	s_cbranch_execz .LBB387_2
.LBB387_30:                             ;   in Loop: Header=BB387_4 Depth=1
	v_lshl_add_u64 v[16:17], s[10:11], 1, v[20:21]
	v_lshl_add_u64 v[22:23], s[6:7], 1, v[22:23]
	s_delay_alu instid0(VALU_DEP_2) | instskip(NEXT) | instid1(VALU_DEP_2)
	v_add_nc_u64_e32 v[20:21], v[16:17], v[18:19]
	v_add_nc_u64_e32 v[16:17], v[22:23], v[18:19]
	s_and_saveexec_b32 s20, s3
	s_cbranch_execz .LBB387_32
; %bb.31:                               ;   in Loop: Header=BB387_4 Depth=1
	global_load_u16 v19, v[20:21], off
	v_mov_b64_e32 v[22:23], s[40:41]
	v_mov_b32_e32 v18, v14
	s_wait_loadcnt 0x0
	v_cvt_f32_f16_e32 v19, v19
	s_delay_alu instid0(VALU_DEP_1) | instskip(NEXT) | instid1(VALU_DEP_1)
	v_pk_mul_f32 v[18:19], v[22:23], v[18:19]
	v_add_f32_e32 v14, v18, v19
	s_delay_alu instid0(VALU_DEP_1)
	v_cvt_f16_f32_e32 v14, v14
	global_store_b16 v[16:17], v14, off
.LBB387_32:                             ;   in Loop: Header=BB387_4 Depth=1
	s_wait_xcnt 0x0
	s_or_b32 exec_lo, exec_lo, s20
	s_delay_alu instid0(SALU_CYCLE_1)
	s_and_b32 exec_lo, exec_lo, s4
	s_cbranch_execz .LBB387_2
; %bb.33:                               ;   in Loop: Header=BB387_4 Depth=1
	global_load_u16 v18, v[20:21], off offset:32
	v_mov_b32_e32 v14, v15
	s_wait_loadcnt 0x0
	v_cvt_f32_f16_e32 v15, v18
	v_mov_b64_e32 v[18:19], s[40:41]
	s_delay_alu instid0(VALU_DEP_1) | instskip(NEXT) | instid1(VALU_DEP_1)
	v_pk_mul_f32 v[14:15], v[18:19], v[14:15]
	v_add_f32_e32 v14, v14, v15
	s_delay_alu instid0(VALU_DEP_1)
	v_cvt_f16_f32_e32 v14, v14
	global_store_b16 v[16:17], v14, off offset:32
	s_branch .LBB387_2
.LBB387_34:
	s_endpgm
	.section	.rodata,"a",@progbits
	.p2align	6, 0x0
	.amdhsa_kernel _ZN12_GLOBAL__N_135rocblas_gemm_batched_general_kernelIfLi16ELi16ELi32ELi32ELi8ELi32ELi8ELi8ELi32ELc67ELc84EKDF16_S1_DF16_EEvlllT_PT11_llS4_llS2_PT12_llPT13_lli
		.amdhsa_group_segment_fixed_size 2048
		.amdhsa_private_segment_fixed_size 0
		.amdhsa_kernarg_size 140
		.amdhsa_user_sgpr_count 2
		.amdhsa_user_sgpr_dispatch_ptr 0
		.amdhsa_user_sgpr_queue_ptr 0
		.amdhsa_user_sgpr_kernarg_segment_ptr 1
		.amdhsa_user_sgpr_dispatch_id 0
		.amdhsa_user_sgpr_kernarg_preload_length 0
		.amdhsa_user_sgpr_kernarg_preload_offset 0
		.amdhsa_user_sgpr_private_segment_size 0
		.amdhsa_wavefront_size32 1
		.amdhsa_uses_dynamic_stack 0
		.amdhsa_enable_private_segment 0
		.amdhsa_system_sgpr_workgroup_id_x 1
		.amdhsa_system_sgpr_workgroup_id_y 1
		.amdhsa_system_sgpr_workgroup_id_z 1
		.amdhsa_system_sgpr_workgroup_info 0
		.amdhsa_system_vgpr_workitem_id 1
		.amdhsa_next_free_vgpr 52
		.amdhsa_next_free_sgpr 44
		.amdhsa_named_barrier_count 0
		.amdhsa_reserve_vcc 1
		.amdhsa_float_round_mode_32 0
		.amdhsa_float_round_mode_16_64 0
		.amdhsa_float_denorm_mode_32 3
		.amdhsa_float_denorm_mode_16_64 3
		.amdhsa_fp16_overflow 0
		.amdhsa_memory_ordered 1
		.amdhsa_forward_progress 1
		.amdhsa_inst_pref_size 15
		.amdhsa_round_robin_scheduling 0
		.amdhsa_exception_fp_ieee_invalid_op 0
		.amdhsa_exception_fp_denorm_src 0
		.amdhsa_exception_fp_ieee_div_zero 0
		.amdhsa_exception_fp_ieee_overflow 0
		.amdhsa_exception_fp_ieee_underflow 0
		.amdhsa_exception_fp_ieee_inexact 0
		.amdhsa_exception_int_div_zero 0
	.end_amdhsa_kernel
	.section	.text._ZN12_GLOBAL__N_135rocblas_gemm_batched_general_kernelIfLi16ELi16ELi32ELi32ELi8ELi32ELi8ELi8ELi32ELc67ELc84EKDF16_S1_DF16_EEvlllT_PT11_llS4_llS2_PT12_llPT13_lli,"axG",@progbits,_ZN12_GLOBAL__N_135rocblas_gemm_batched_general_kernelIfLi16ELi16ELi32ELi32ELi8ELi32ELi8ELi8ELi32ELc67ELc84EKDF16_S1_DF16_EEvlllT_PT11_llS4_llS2_PT12_llPT13_lli,comdat
.Lfunc_end387:
	.size	_ZN12_GLOBAL__N_135rocblas_gemm_batched_general_kernelIfLi16ELi16ELi32ELi32ELi8ELi32ELi8ELi8ELi32ELc67ELc84EKDF16_S1_DF16_EEvlllT_PT11_llS4_llS2_PT12_llPT13_lli, .Lfunc_end387-_ZN12_GLOBAL__N_135rocblas_gemm_batched_general_kernelIfLi16ELi16ELi32ELi32ELi8ELi32ELi8ELi8ELi32ELc67ELc84EKDF16_S1_DF16_EEvlllT_PT11_llS4_llS2_PT12_llPT13_lli
                                        ; -- End function
	.set _ZN12_GLOBAL__N_135rocblas_gemm_batched_general_kernelIfLi16ELi16ELi32ELi32ELi8ELi32ELi8ELi8ELi32ELc67ELc84EKDF16_S1_DF16_EEvlllT_PT11_llS4_llS2_PT12_llPT13_lli.num_vgpr, 52
	.set _ZN12_GLOBAL__N_135rocblas_gemm_batched_general_kernelIfLi16ELi16ELi32ELi32ELi8ELi32ELi8ELi8ELi32ELc67ELc84EKDF16_S1_DF16_EEvlllT_PT11_llS4_llS2_PT12_llPT13_lli.num_agpr, 0
	.set _ZN12_GLOBAL__N_135rocblas_gemm_batched_general_kernelIfLi16ELi16ELi32ELi32ELi8ELi32ELi8ELi8ELi32ELc67ELc84EKDF16_S1_DF16_EEvlllT_PT11_llS4_llS2_PT12_llPT13_lli.numbered_sgpr, 44
	.set _ZN12_GLOBAL__N_135rocblas_gemm_batched_general_kernelIfLi16ELi16ELi32ELi32ELi8ELi32ELi8ELi8ELi32ELc67ELc84EKDF16_S1_DF16_EEvlllT_PT11_llS4_llS2_PT12_llPT13_lli.num_named_barrier, 0
	.set _ZN12_GLOBAL__N_135rocblas_gemm_batched_general_kernelIfLi16ELi16ELi32ELi32ELi8ELi32ELi8ELi8ELi32ELc67ELc84EKDF16_S1_DF16_EEvlllT_PT11_llS4_llS2_PT12_llPT13_lli.private_seg_size, 0
	.set _ZN12_GLOBAL__N_135rocblas_gemm_batched_general_kernelIfLi16ELi16ELi32ELi32ELi8ELi32ELi8ELi8ELi32ELc67ELc84EKDF16_S1_DF16_EEvlllT_PT11_llS4_llS2_PT12_llPT13_lli.uses_vcc, 1
	.set _ZN12_GLOBAL__N_135rocblas_gemm_batched_general_kernelIfLi16ELi16ELi32ELi32ELi8ELi32ELi8ELi8ELi32ELc67ELc84EKDF16_S1_DF16_EEvlllT_PT11_llS4_llS2_PT12_llPT13_lli.uses_flat_scratch, 0
	.set _ZN12_GLOBAL__N_135rocblas_gemm_batched_general_kernelIfLi16ELi16ELi32ELi32ELi8ELi32ELi8ELi8ELi32ELc67ELc84EKDF16_S1_DF16_EEvlllT_PT11_llS4_llS2_PT12_llPT13_lli.has_dyn_sized_stack, 0
	.set _ZN12_GLOBAL__N_135rocblas_gemm_batched_general_kernelIfLi16ELi16ELi32ELi32ELi8ELi32ELi8ELi8ELi32ELc67ELc84EKDF16_S1_DF16_EEvlllT_PT11_llS4_llS2_PT12_llPT13_lli.has_recursion, 0
	.set _ZN12_GLOBAL__N_135rocblas_gemm_batched_general_kernelIfLi16ELi16ELi32ELi32ELi8ELi32ELi8ELi8ELi32ELc67ELc84EKDF16_S1_DF16_EEvlllT_PT11_llS4_llS2_PT12_llPT13_lli.has_indirect_call, 0
	.section	.AMDGPU.csdata,"",@progbits
; Kernel info:
; codeLenInByte = 1828
; TotalNumSgprs: 46
; NumVgprs: 52
; ScratchSize: 0
; MemoryBound: 0
; FloatMode: 240
; IeeeMode: 1
; LDSByteSize: 2048 bytes/workgroup (compile time only)
; SGPRBlocks: 0
; VGPRBlocks: 3
; NumSGPRsForWavesPerEU: 46
; NumVGPRsForWavesPerEU: 52
; NamedBarCnt: 0
; Occupancy: 16
; WaveLimiterHint : 0
; COMPUTE_PGM_RSRC2:SCRATCH_EN: 0
; COMPUTE_PGM_RSRC2:USER_SGPR: 2
; COMPUTE_PGM_RSRC2:TRAP_HANDLER: 0
; COMPUTE_PGM_RSRC2:TGID_X_EN: 1
; COMPUTE_PGM_RSRC2:TGID_Y_EN: 1
; COMPUTE_PGM_RSRC2:TGID_Z_EN: 1
; COMPUTE_PGM_RSRC2:TIDIG_COMP_CNT: 1
	.section	.text._ZN12_GLOBAL__N_135rocblas_gemm_batched_general_kernelIfLi16ELi16ELi32ELi32ELi8ELi32ELi8ELi8ELi32ELc78ELc67EKDF16_S1_DF16_EEvlllT_PT11_llS4_llS2_PT12_llPT13_lli,"axG",@progbits,_ZN12_GLOBAL__N_135rocblas_gemm_batched_general_kernelIfLi16ELi16ELi32ELi32ELi8ELi32ELi8ELi8ELi32ELc78ELc67EKDF16_S1_DF16_EEvlllT_PT11_llS4_llS2_PT12_llPT13_lli,comdat
	.globl	_ZN12_GLOBAL__N_135rocblas_gemm_batched_general_kernelIfLi16ELi16ELi32ELi32ELi8ELi32ELi8ELi8ELi32ELc78ELc67EKDF16_S1_DF16_EEvlllT_PT11_llS4_llS2_PT12_llPT13_lli ; -- Begin function _ZN12_GLOBAL__N_135rocblas_gemm_batched_general_kernelIfLi16ELi16ELi32ELi32ELi8ELi32ELi8ELi8ELi32ELc78ELc67EKDF16_S1_DF16_EEvlllT_PT11_llS4_llS2_PT12_llPT13_lli
	.p2align	8
	.type	_ZN12_GLOBAL__N_135rocblas_gemm_batched_general_kernelIfLi16ELi16ELi32ELi32ELi8ELi32ELi8ELi8ELi32ELc78ELc67EKDF16_S1_DF16_EEvlllT_PT11_llS4_llS2_PT12_llPT13_lli,@function
_ZN12_GLOBAL__N_135rocblas_gemm_batched_general_kernelIfLi16ELi16ELi32ELi32ELi8ELi32ELi8ELi8ELi32ELc78ELc67EKDF16_S1_DF16_EEvlllT_PT11_llS4_llS2_PT12_llPT13_lli: ; @_ZN12_GLOBAL__N_135rocblas_gemm_batched_general_kernelIfLi16ELi16ELi32ELi32ELi8ELi32ELi8ELi8ELi32ELc78ELc67EKDF16_S1_DF16_EEvlllT_PT11_llS4_llS2_PT12_llPT13_lli
; %bb.0:
	s_load_b32 s33, s[0:1], 0x88
	s_bfe_u32 s2, ttmp6, 0x40014
	s_lshr_b32 s3, ttmp7, 16
	s_add_co_i32 s2, s2, 1
	s_bfe_u32 s5, ttmp6, 0x40008
	s_mul_i32 s4, s3, s2
	s_getreg_b32 s2, hwreg(HW_REG_IB_STS2, 6, 4)
	s_add_co_i32 s5, s5, s4
	s_cmp_eq_u32 s2, 0
	s_mov_b32 s35, 0
	s_cselect_b32 s34, s3, s5
	s_wait_kmcnt 0x0
	s_cmp_ge_i32 s34, s33
	s_cbranch_scc1 .LBB388_34
; %bb.1:
	s_clause 0x3
	s_load_b128 s[4:7], s[0:1], 0x0
	s_load_b256 s[16:23], s[0:1], 0x20
	s_load_b128 s[28:31], s[0:1], 0x40
	s_load_b32 s41, s[0:1], 0x50
	v_bfe_u32 v8, v0, 10, 10
	v_and_b32_e32 v10, 0x3ff, v0
	s_bfe_u32 s3, ttmp6, 0x4000c
	s_clause 0x1
	s_load_b128 s[24:27], s[0:1], 0x78
	s_load_b256 s[8:15], s[0:1], 0x58
	s_add_co_i32 s3, s3, 1
	s_bfe_u32 s38, ttmp6, 0x40010
	v_lshl_add_u32 v1, v8, 4, v10
	v_dual_mov_b32 v9, 0 :: v_dual_bitop2_b32 v0, 7, v0 bitop3:0x40
	s_and_b32 s36, ttmp6, 15
	s_mul_i32 s3, ttmp9, s3
	s_delay_alu instid0(VALU_DEP_2) | instskip(NEXT) | instid1(VALU_DEP_2)
	v_dual_lshrrev_b32 v2, 5, v1 :: v_dual_bitop2_b32 v22, 31, v1 bitop3:0x40
	v_dual_mov_b32 v3, v9 :: v_dual_lshrrev_b32 v12, 3, v1
	v_dual_mov_b32 v1, v9 :: v_dual_mov_b32 v13, v9
	s_and_b32 s37, ttmp7, 0xffff
	s_add_co_i32 s38, s38, 1
	s_add_co_i32 s36, s36, s3
	s_wait_kmcnt 0x0
	v_mul_u64_e32 v[14:15], s[28:29], v[0:1]
	s_mul_i32 s3, s37, s38
	s_bfe_u32 s38, ttmp6, 0x40004
	v_mul_u64_e32 v[16:17], s[18:19], v[2:3]
	s_add_co_i32 s38, s38, s3
	s_cmp_eq_u32 s2, 0
	s_mov_b32 s43, s35
	s_cselect_b32 s40, s37, s38
	s_cselect_b32 s2, ttmp9, s36
	s_lshl_b32 s42, s40, 5
	s_ashr_i32 s3, s2, 31
	v_add_nc_u64_e32 v[18:19], s[42:43], v[8:9]
	s_lshl_b64 s[44:45], s[2:3], 5
	v_add_nc_u64_e32 v[6:7], s[42:43], v[12:13]
	v_dual_mov_b32 v5, s45 :: v_dual_bitop2_b32 v4, s44, v22 bitop3:0x54
	v_mov_b32_e32 v11, v9
	s_load_b96 s[36:38], s[0:1], 0x10
	s_delay_alu instid0(VALU_DEP_4)
	v_mul_u64_e32 v[20:21], s[10:11], v[18:19]
	s_cmp_eq_f32 s41, 0
	s_wait_xcnt 0x0
	v_cmp_gt_i64_e64 s0, s[4:5], v[4:5]
	v_mul_u64_e32 v[4:5], s[24:25], v[18:19]
	v_cmp_gt_i64_e64 s1, s[6:7], v[6:7]
	v_lshl_add_u32 v30, v8, 5, 0x400
	v_lshlrev_b32_e32 v8, 1, v12
	v_add_nc_u64_e32 v[6:7], s[44:45], v[10:11]
	v_dual_lshlrev_b32 v23, 2, v0 :: v_dual_lshlrev_b32 v13, 2, v22
	s_cselect_b32 s39, -1, 0
	s_lshl_b32 s42, s40, 6
	v_lshlrev_b32_e32 v31, 2, v10
	s_delay_alu instid0(VALU_DEP_2)
	v_lshl_or_b32 v23, v12, 5, v23
	v_lshl_add_u64 v[14:15], v[14:15], 1, s[42:43]
	v_lshl_or_b32 v28, v2, 7, v13
	v_add_nc_u64_e32 v[10:11], 16, v[6:7]
	v_add_nc_u64_e32 v[12:13], 16, v[18:19]
	s_lshl_b64 s[2:3], s[2:3], 6
	v_add_nc_u64_e32 v[14:15], v[14:15], v[8:9]
	v_lshl_add_u64 v[16:17], v[16:17], 1, s[2:3]
	v_lshlrev_b32_e32 v8, 1, v22
	v_cmp_gt_i64_e64 s3, s[4:5], v[6:7]
	v_cmp_gt_i64_e64 s4, s[4:5], v[10:11]
	;; [unrolled: 1-line block ×4, first 2 shown]
	v_add_nc_u64_e32 v[12:13], v[16:17], v[8:9]
	s_lshl_b64 s[6:7], s[24:25], 4
	v_add_nc_u64_e32 v[10:11], s[22:23], v[14:15]
	s_wait_kmcnt 0x0
	v_cmp_gt_i64_e64 s24, s[36:37], 0
	v_add_nc_u32_e32 v29, 0x400, v23
	s_mov_b32 s40, s38
	v_lshl_add_u64 v[8:9], v[20:21], 1, s[8:9]
	v_add_nc_u64_e32 v[12:13], s[16:17], v[12:13]
	s_lshl_b64 s[10:11], s[10:11], 4
	s_lshl_b64 s[8:9], s[30:31], 1
	;; [unrolled: 1-line block ×5, first 2 shown]
	s_branch .LBB388_4
.LBB388_2:                              ;   in Loop: Header=BB388_4 Depth=1
	s_wait_xcnt 0x0
	s_or_b32 exec_lo, exec_lo, s25
.LBB388_3:                              ;   in Loop: Header=BB388_4 Depth=1
	s_add_co_i32 s34, s34, 0x10000
	s_delay_alu instid0(SALU_CYCLE_1)
	s_cmp_lt_i32 s34, s33
	s_cbranch_scc0 .LBB388_34
.LBB388_4:                              ; =>This Loop Header: Depth=1
                                        ;     Child Loop BB388_7 Depth 2
	v_dual_mov_b32 v17, 0 :: v_dual_mov_b32 v16, 0
	v_dual_mov_b32 v15, 0 :: v_dual_mov_b32 v14, 0
	s_and_not1_b32 vcc_lo, exec_lo, s24
	s_cbranch_vccnz .LBB388_11
; %bb.5:                                ;   in Loop: Header=BB388_4 Depth=1
	v_mad_nc_u64_u32 v[18:19], s8, s34, v[10:11]
	v_mad_nc_u64_u32 v[20:21], s20, s34, v[12:13]
	v_mov_b32_e32 v16, 0
	s_mov_b64 s[22:23], 0
	s_delay_alu instid0(VALU_DEP_1)
	v_dual_mov_b32 v17, v16 :: v_dual_mov_b32 v14, v16
	v_mov_b32_e32 v15, v16
	v_mad_u32 v19, s9, s34, v19
	v_mad_u32 v21, s21, s34, v21
	s_branch .LBB388_7
.LBB388_6:                              ;   in Loop: Header=BB388_7 Depth=2
	s_wait_xcnt 0x0
	s_or_b32 exec_lo, exec_lo, s25
	ds_store_b32 v29, v23
	s_wait_dscnt 0x0
	s_barrier_signal -1
	s_barrier_wait -1
	ds_load_b128 v[22:25], v30
	ds_load_2addr_b32 v[26:27], v31 offset1:16
	ds_load_b128 v[32:35], v30 offset:512
	ds_load_2addr_b32 v[44:45], v31 offset0:32 offset1:48
	ds_load_2addr_b32 v[46:47], v31 offset0:64 offset1:80
	;; [unrolled: 1-line block ×3, first 2 shown]
	ds_load_b128 v[36:39], v30 offset:16
	ds_load_2addr_b32 v[50:51], v31 offset0:128 offset1:144
	ds_load_b128 v[40:43], v30 offset:528
	s_add_nc_u64 s[22:23], s[22:23], 8
	v_add_nc_u64_e32 v[18:19], s[16:17], v[18:19]
	v_cmp_lt_i64_e64 s25, s[22:23], s[36:37]
	v_add_nc_u64_e32 v[20:21], s[18:19], v[20:21]
	s_and_b32 vcc_lo, exec_lo, s25
	s_wait_dscnt 0x7
	v_pk_fma_f32 v[16:17], v[26:27], v[22:23], v[16:17] op_sel_hi:[1,0,1]
	s_wait_dscnt 0x6
	v_pk_fma_f32 v[14:15], v[26:27], v[32:33], v[14:15] op_sel_hi:[1,0,1]
	ds_load_2addr_b32 v[26:27], v31 offset0:160 offset1:176
	s_wait_dscnt 0x6
	v_pk_fma_f32 v[16:17], v[44:45], v[22:23], v[16:17] op_sel:[0,1,0]
	v_pk_fma_f32 v[14:15], v[44:45], v[32:33], v[14:15] op_sel:[0,1,0]
	ds_load_2addr_b32 v[22:23], v31 offset0:192 offset1:208
	v_dual_mov_b32 v32, v25 :: v_dual_mov_b32 v44, v35
	s_wait_dscnt 0x6
	v_pk_fma_f32 v[16:17], v[46:47], v[24:25], v[16:17] op_sel_hi:[1,0,1]
	v_pk_fma_f32 v[14:15], v[46:47], v[34:35], v[14:15] op_sel_hi:[1,0,1]
	ds_load_2addr_b32 v[24:25], v31 offset0:224 offset1:240
	s_wait_dscnt 0x0
	s_barrier_signal -1
	v_pk_fma_f32 v[16:17], v[48:49], v[32:33], v[16:17] op_sel_hi:[1,0,1]
	v_pk_fma_f32 v[14:15], v[48:49], v[44:45], v[14:15] op_sel_hi:[1,0,1]
	s_barrier_wait -1
	v_mov_b32_e32 v32, v43
	s_delay_alu instid0(VALU_DEP_3) | instskip(NEXT) | instid1(VALU_DEP_3)
	v_pk_fma_f32 v[16:17], v[50:51], v[36:37], v[16:17] op_sel_hi:[1,0,1]
	v_pk_fma_f32 v[14:15], v[50:51], v[40:41], v[14:15] op_sel_hi:[1,0,1]
	s_delay_alu instid0(VALU_DEP_2) | instskip(NEXT) | instid1(VALU_DEP_2)
	v_pk_fma_f32 v[16:17], v[26:27], v[36:37], v[16:17] op_sel:[0,1,0]
	v_pk_fma_f32 v[14:15], v[26:27], v[40:41], v[14:15] op_sel:[0,1,0]
	v_mov_b32_e32 v26, v39
	s_delay_alu instid0(VALU_DEP_3) | instskip(NEXT) | instid1(VALU_DEP_3)
	v_pk_fma_f32 v[16:17], v[22:23], v[38:39], v[16:17] op_sel_hi:[1,0,1]
	v_pk_fma_f32 v[14:15], v[22:23], v[42:43], v[14:15] op_sel_hi:[1,0,1]
	s_delay_alu instid0(VALU_DEP_2) | instskip(NEXT) | instid1(VALU_DEP_2)
	v_pk_fma_f32 v[16:17], v[24:25], v[26:27], v[16:17] op_sel_hi:[1,0,1]
	v_pk_fma_f32 v[14:15], v[24:25], v[32:33], v[14:15] op_sel_hi:[1,0,1]
	s_cbranch_vccz .LBB388_11
.LBB388_7:                              ;   Parent Loop BB388_4 Depth=1
                                        ; =>  This Inner Loop Header: Depth=2
	v_add_nc_u64_e32 v[22:23], s[22:23], v[2:3]
	s_delay_alu instid0(VALU_DEP_1) | instskip(SKIP_2) | instid1(SALU_CYCLE_1)
	v_cmp_gt_i64_e32 vcc_lo, s[36:37], v[22:23]
	v_mov_b32_e32 v22, 0
	s_and_b32 s28, s0, vcc_lo
	s_and_saveexec_b32 s25, s28
	s_cbranch_execz .LBB388_9
; %bb.8:                                ;   in Loop: Header=BB388_7 Depth=2
	global_load_u16 v22, v[20:21], off
	s_wait_loadcnt 0x0
	v_cvt_f32_f16_e32 v22, v22
.LBB388_9:                              ;   in Loop: Header=BB388_7 Depth=2
	s_wait_xcnt 0x0
	s_or_b32 exec_lo, exec_lo, s25
	v_add_nc_u64_e32 v[24:25], s[22:23], v[0:1]
	v_mov_b32_e32 v23, 0
	ds_store_b32 v28, v22
	v_cmp_gt_i64_e32 vcc_lo, s[36:37], v[24:25]
	s_and_b32 s28, vcc_lo, s1
	s_delay_alu instid0(SALU_CYCLE_1)
	s_and_saveexec_b32 s25, s28
	s_cbranch_execz .LBB388_6
; %bb.10:                               ;   in Loop: Header=BB388_7 Depth=2
	global_load_u16 v22, v[18:19], off
	s_wait_loadcnt 0x0
	v_cvt_f32_f16_e32 v23, v22
	s_branch .LBB388_6
.LBB388_11:                             ;   in Loop: Header=BB388_4 Depth=1
	s_mul_u64 s[22:23], s[26:27], s[34:35]
	s_and_not1_b32 vcc_lo, exec_lo, s39
	s_lshl_b64 s[22:23], s[22:23], 1
	s_delay_alu instid0(SALU_CYCLE_1)
	s_add_nc_u64 s[22:23], s[14:15], s[22:23]
	s_cbranch_vccnz .LBB388_16
; %bb.12:                               ;   in Loop: Header=BB388_4 Depth=1
	s_and_saveexec_b32 s25, s2
	s_cbranch_execz .LBB388_23
; %bb.13:                               ;   in Loop: Header=BB388_4 Depth=1
	v_lshl_add_u64 v[18:19], v[4:5], 1, s[22:23]
	s_delay_alu instid0(VALU_DEP_1)
	v_lshl_add_u64 v[20:21], v[6:7], 1, v[18:19]
	s_and_saveexec_b32 s28, s3
	s_cbranch_execnz .LBB388_17
; %bb.14:                               ;   in Loop: Header=BB388_4 Depth=1
	s_or_b32 exec_lo, exec_lo, s28
	s_and_saveexec_b32 s28, s4
	s_cbranch_execnz .LBB388_18
.LBB388_15:                             ;   in Loop: Header=BB388_4 Depth=1
	s_or_b32 exec_lo, exec_lo, s28
	s_delay_alu instid0(SALU_CYCLE_1)
	s_and_b32 exec_lo, exec_lo, s5
	s_cbranch_execnz .LBB388_19
	s_branch .LBB388_23
.LBB388_16:                             ;   in Loop: Header=BB388_4 Depth=1
	s_branch .LBB388_24
.LBB388_17:                             ;   in Loop: Header=BB388_4 Depth=1
	v_fma_mixlo_f16 v22, s38, v16, 0
	global_store_b16 v[20:21], v22, off
	s_wait_xcnt 0x0
	s_or_b32 exec_lo, exec_lo, s28
	s_and_saveexec_b32 s28, s4
	s_cbranch_execz .LBB388_15
.LBB388_18:                             ;   in Loop: Header=BB388_4 Depth=1
	v_fma_mixlo_f16 v22, s38, v17, 0
	global_store_b16 v[20:21], v22, off offset:32
	s_wait_xcnt 0x0
	s_or_b32 exec_lo, exec_lo, s28
	s_delay_alu instid0(SALU_CYCLE_1)
	s_and_b32 exec_lo, exec_lo, s5
	s_cbranch_execz .LBB388_23
.LBB388_19:                             ;   in Loop: Header=BB388_4 Depth=1
	v_lshl_add_u64 v[18:19], s[6:7], 1, v[18:19]
	s_delay_alu instid0(VALU_DEP_1)
	v_lshl_add_u64 v[18:19], v[6:7], 1, v[18:19]
	s_and_saveexec_b32 s28, s3
	s_cbranch_execz .LBB388_21
; %bb.20:                               ;   in Loop: Header=BB388_4 Depth=1
	v_fma_mixlo_f16 v20, s38, v14, 0
	global_store_b16 v[18:19], v20, off
.LBB388_21:                             ;   in Loop: Header=BB388_4 Depth=1
	s_wait_xcnt 0x0
	s_or_b32 exec_lo, exec_lo, s28
	s_delay_alu instid0(SALU_CYCLE_1)
	s_and_b32 exec_lo, exec_lo, s4
	s_cbranch_execz .LBB388_23
; %bb.22:                               ;   in Loop: Header=BB388_4 Depth=1
	v_fma_mixlo_f16 v20, s38, v15, 0
	global_store_b16 v[18:19], v20, off offset:32
.LBB388_23:                             ;   in Loop: Header=BB388_4 Depth=1
	s_wait_xcnt 0x0
	s_or_b32 exec_lo, exec_lo, s25
	s_cbranch_execnz .LBB388_3
.LBB388_24:                             ;   in Loop: Header=BB388_4 Depth=1
	s_and_saveexec_b32 s25, s2
	s_cbranch_execz .LBB388_2
; %bb.25:                               ;   in Loop: Header=BB388_4 Depth=1
	s_mul_u64 s[28:29], s[12:13], s[34:35]
	v_lshlrev_b64_e32 v[18:19], 1, v[6:7]
	v_lshl_add_u64 v[20:21], s[28:29], 1, v[8:9]
	v_lshl_add_u64 v[22:23], v[4:5], 1, s[22:23]
	s_delay_alu instid0(VALU_DEP_2) | instskip(NEXT) | instid1(VALU_DEP_2)
	v_add_nc_u64_e32 v[26:27], v[20:21], v[18:19]
	v_add_nc_u64_e32 v[24:25], v[22:23], v[18:19]
	s_and_saveexec_b32 s22, s3
	s_cbranch_execnz .LBB388_28
; %bb.26:                               ;   in Loop: Header=BB388_4 Depth=1
	s_or_b32 exec_lo, exec_lo, s22
	s_and_saveexec_b32 s22, s4
	s_cbranch_execnz .LBB388_29
.LBB388_27:                             ;   in Loop: Header=BB388_4 Depth=1
	s_or_b32 exec_lo, exec_lo, s22
	s_delay_alu instid0(SALU_CYCLE_1)
	s_and_b32 exec_lo, exec_lo, s5
	s_cbranch_execz .LBB388_2
	s_branch .LBB388_30
.LBB388_28:                             ;   in Loop: Header=BB388_4 Depth=1
	global_load_u16 v33, v[26:27], off
	v_mov_b64_e32 v[34:35], s[40:41]
	v_mov_b32_e32 v32, v16
	s_wait_loadcnt 0x0
	v_cvt_f32_f16_e32 v33, v33
	s_delay_alu instid0(VALU_DEP_1) | instskip(NEXT) | instid1(VALU_DEP_1)
	v_pk_mul_f32 v[32:33], v[34:35], v[32:33]
	v_add_f32_e32 v16, v32, v33
	s_delay_alu instid0(VALU_DEP_1)
	v_cvt_f16_f32_e32 v16, v16
	global_store_b16 v[24:25], v16, off
	s_wait_xcnt 0x0
	s_or_b32 exec_lo, exec_lo, s22
	s_and_saveexec_b32 s22, s4
	s_cbranch_execz .LBB388_27
.LBB388_29:                             ;   in Loop: Header=BB388_4 Depth=1
	global_load_u16 v26, v[26:27], off offset:32
	v_mov_b32_e32 v16, v17
	s_wait_loadcnt 0x0
	v_cvt_f32_f16_e32 v17, v26
	s_wait_xcnt 0x0
	v_mov_b64_e32 v[26:27], s[40:41]
	s_delay_alu instid0(VALU_DEP_1) | instskip(NEXT) | instid1(VALU_DEP_1)
	v_pk_mul_f32 v[16:17], v[26:27], v[16:17]
	v_add_f32_e32 v16, v16, v17
	s_delay_alu instid0(VALU_DEP_1) | instskip(SKIP_3) | instid1(SALU_CYCLE_1)
	v_cvt_f16_f32_e32 v16, v16
	global_store_b16 v[24:25], v16, off offset:32
	s_wait_xcnt 0x0
	s_or_b32 exec_lo, exec_lo, s22
	s_and_b32 exec_lo, exec_lo, s5
	s_cbranch_execz .LBB388_2
.LBB388_30:                             ;   in Loop: Header=BB388_4 Depth=1
	v_lshl_add_u64 v[16:17], s[10:11], 1, v[20:21]
	v_lshl_add_u64 v[22:23], s[6:7], 1, v[22:23]
	s_delay_alu instid0(VALU_DEP_2) | instskip(NEXT) | instid1(VALU_DEP_2)
	v_add_nc_u64_e32 v[20:21], v[16:17], v[18:19]
	v_add_nc_u64_e32 v[16:17], v[22:23], v[18:19]
	s_and_saveexec_b32 s22, s3
	s_cbranch_execz .LBB388_32
; %bb.31:                               ;   in Loop: Header=BB388_4 Depth=1
	global_load_u16 v19, v[20:21], off
	v_mov_b64_e32 v[22:23], s[40:41]
	v_mov_b32_e32 v18, v14
	s_wait_loadcnt 0x0
	v_cvt_f32_f16_e32 v19, v19
	s_delay_alu instid0(VALU_DEP_1) | instskip(NEXT) | instid1(VALU_DEP_1)
	v_pk_mul_f32 v[18:19], v[22:23], v[18:19]
	v_add_f32_e32 v14, v18, v19
	s_delay_alu instid0(VALU_DEP_1)
	v_cvt_f16_f32_e32 v14, v14
	global_store_b16 v[16:17], v14, off
.LBB388_32:                             ;   in Loop: Header=BB388_4 Depth=1
	s_wait_xcnt 0x0
	s_or_b32 exec_lo, exec_lo, s22
	s_delay_alu instid0(SALU_CYCLE_1)
	s_and_b32 exec_lo, exec_lo, s4
	s_cbranch_execz .LBB388_2
; %bb.33:                               ;   in Loop: Header=BB388_4 Depth=1
	global_load_u16 v18, v[20:21], off offset:32
	v_mov_b32_e32 v14, v15
	s_wait_loadcnt 0x0
	v_cvt_f32_f16_e32 v15, v18
	v_mov_b64_e32 v[18:19], s[40:41]
	s_delay_alu instid0(VALU_DEP_1) | instskip(NEXT) | instid1(VALU_DEP_1)
	v_pk_mul_f32 v[14:15], v[18:19], v[14:15]
	v_add_f32_e32 v14, v14, v15
	s_delay_alu instid0(VALU_DEP_1)
	v_cvt_f16_f32_e32 v14, v14
	global_store_b16 v[16:17], v14, off offset:32
	s_branch .LBB388_2
.LBB388_34:
	s_endpgm
	.section	.rodata,"a",@progbits
	.p2align	6, 0x0
	.amdhsa_kernel _ZN12_GLOBAL__N_135rocblas_gemm_batched_general_kernelIfLi16ELi16ELi32ELi32ELi8ELi32ELi8ELi8ELi32ELc78ELc67EKDF16_S1_DF16_EEvlllT_PT11_llS4_llS2_PT12_llPT13_lli
		.amdhsa_group_segment_fixed_size 2048
		.amdhsa_private_segment_fixed_size 0
		.amdhsa_kernarg_size 140
		.amdhsa_user_sgpr_count 2
		.amdhsa_user_sgpr_dispatch_ptr 0
		.amdhsa_user_sgpr_queue_ptr 0
		.amdhsa_user_sgpr_kernarg_segment_ptr 1
		.amdhsa_user_sgpr_dispatch_id 0
		.amdhsa_user_sgpr_kernarg_preload_length 0
		.amdhsa_user_sgpr_kernarg_preload_offset 0
		.amdhsa_user_sgpr_private_segment_size 0
		.amdhsa_wavefront_size32 1
		.amdhsa_uses_dynamic_stack 0
		.amdhsa_enable_private_segment 0
		.amdhsa_system_sgpr_workgroup_id_x 1
		.amdhsa_system_sgpr_workgroup_id_y 1
		.amdhsa_system_sgpr_workgroup_id_z 1
		.amdhsa_system_sgpr_workgroup_info 0
		.amdhsa_system_vgpr_workitem_id 1
		.amdhsa_next_free_vgpr 52
		.amdhsa_next_free_sgpr 46
		.amdhsa_named_barrier_count 0
		.amdhsa_reserve_vcc 1
		.amdhsa_float_round_mode_32 0
		.amdhsa_float_round_mode_16_64 0
		.amdhsa_float_denorm_mode_32 3
		.amdhsa_float_denorm_mode_16_64 3
		.amdhsa_fp16_overflow 0
		.amdhsa_memory_ordered 1
		.amdhsa_forward_progress 1
		.amdhsa_inst_pref_size 15
		.amdhsa_round_robin_scheduling 0
		.amdhsa_exception_fp_ieee_invalid_op 0
		.amdhsa_exception_fp_denorm_src 0
		.amdhsa_exception_fp_ieee_div_zero 0
		.amdhsa_exception_fp_ieee_overflow 0
		.amdhsa_exception_fp_ieee_underflow 0
		.amdhsa_exception_fp_ieee_inexact 0
		.amdhsa_exception_int_div_zero 0
	.end_amdhsa_kernel
	.section	.text._ZN12_GLOBAL__N_135rocblas_gemm_batched_general_kernelIfLi16ELi16ELi32ELi32ELi8ELi32ELi8ELi8ELi32ELc78ELc67EKDF16_S1_DF16_EEvlllT_PT11_llS4_llS2_PT12_llPT13_lli,"axG",@progbits,_ZN12_GLOBAL__N_135rocblas_gemm_batched_general_kernelIfLi16ELi16ELi32ELi32ELi8ELi32ELi8ELi8ELi32ELc78ELc67EKDF16_S1_DF16_EEvlllT_PT11_llS4_llS2_PT12_llPT13_lli,comdat
.Lfunc_end388:
	.size	_ZN12_GLOBAL__N_135rocblas_gemm_batched_general_kernelIfLi16ELi16ELi32ELi32ELi8ELi32ELi8ELi8ELi32ELc78ELc67EKDF16_S1_DF16_EEvlllT_PT11_llS4_llS2_PT12_llPT13_lli, .Lfunc_end388-_ZN12_GLOBAL__N_135rocblas_gemm_batched_general_kernelIfLi16ELi16ELi32ELi32ELi8ELi32ELi8ELi8ELi32ELc78ELc67EKDF16_S1_DF16_EEvlllT_PT11_llS4_llS2_PT12_llPT13_lli
                                        ; -- End function
	.set _ZN12_GLOBAL__N_135rocblas_gemm_batched_general_kernelIfLi16ELi16ELi32ELi32ELi8ELi32ELi8ELi8ELi32ELc78ELc67EKDF16_S1_DF16_EEvlllT_PT11_llS4_llS2_PT12_llPT13_lli.num_vgpr, 52
	.set _ZN12_GLOBAL__N_135rocblas_gemm_batched_general_kernelIfLi16ELi16ELi32ELi32ELi8ELi32ELi8ELi8ELi32ELc78ELc67EKDF16_S1_DF16_EEvlllT_PT11_llS4_llS2_PT12_llPT13_lli.num_agpr, 0
	.set _ZN12_GLOBAL__N_135rocblas_gemm_batched_general_kernelIfLi16ELi16ELi32ELi32ELi8ELi32ELi8ELi8ELi32ELc78ELc67EKDF16_S1_DF16_EEvlllT_PT11_llS4_llS2_PT12_llPT13_lli.numbered_sgpr, 46
	.set _ZN12_GLOBAL__N_135rocblas_gemm_batched_general_kernelIfLi16ELi16ELi32ELi32ELi8ELi32ELi8ELi8ELi32ELc78ELc67EKDF16_S1_DF16_EEvlllT_PT11_llS4_llS2_PT12_llPT13_lli.num_named_barrier, 0
	.set _ZN12_GLOBAL__N_135rocblas_gemm_batched_general_kernelIfLi16ELi16ELi32ELi32ELi8ELi32ELi8ELi8ELi32ELc78ELc67EKDF16_S1_DF16_EEvlllT_PT11_llS4_llS2_PT12_llPT13_lli.private_seg_size, 0
	.set _ZN12_GLOBAL__N_135rocblas_gemm_batched_general_kernelIfLi16ELi16ELi32ELi32ELi8ELi32ELi8ELi8ELi32ELc78ELc67EKDF16_S1_DF16_EEvlllT_PT11_llS4_llS2_PT12_llPT13_lli.uses_vcc, 1
	.set _ZN12_GLOBAL__N_135rocblas_gemm_batched_general_kernelIfLi16ELi16ELi32ELi32ELi8ELi32ELi8ELi8ELi32ELc78ELc67EKDF16_S1_DF16_EEvlllT_PT11_llS4_llS2_PT12_llPT13_lli.uses_flat_scratch, 0
	.set _ZN12_GLOBAL__N_135rocblas_gemm_batched_general_kernelIfLi16ELi16ELi32ELi32ELi8ELi32ELi8ELi8ELi32ELc78ELc67EKDF16_S1_DF16_EEvlllT_PT11_llS4_llS2_PT12_llPT13_lli.has_dyn_sized_stack, 0
	.set _ZN12_GLOBAL__N_135rocblas_gemm_batched_general_kernelIfLi16ELi16ELi32ELi32ELi8ELi32ELi8ELi8ELi32ELc78ELc67EKDF16_S1_DF16_EEvlllT_PT11_llS4_llS2_PT12_llPT13_lli.has_recursion, 0
	.set _ZN12_GLOBAL__N_135rocblas_gemm_batched_general_kernelIfLi16ELi16ELi32ELi32ELi8ELi32ELi8ELi8ELi32ELc78ELc67EKDF16_S1_DF16_EEvlllT_PT11_llS4_llS2_PT12_llPT13_lli.has_indirect_call, 0
	.section	.AMDGPU.csdata,"",@progbits
; Kernel info:
; codeLenInByte = 1852
; TotalNumSgprs: 48
; NumVgprs: 52
; ScratchSize: 0
; MemoryBound: 0
; FloatMode: 240
; IeeeMode: 1
; LDSByteSize: 2048 bytes/workgroup (compile time only)
; SGPRBlocks: 0
; VGPRBlocks: 3
; NumSGPRsForWavesPerEU: 48
; NumVGPRsForWavesPerEU: 52
; NamedBarCnt: 0
; Occupancy: 16
; WaveLimiterHint : 0
; COMPUTE_PGM_RSRC2:SCRATCH_EN: 0
; COMPUTE_PGM_RSRC2:USER_SGPR: 2
; COMPUTE_PGM_RSRC2:TRAP_HANDLER: 0
; COMPUTE_PGM_RSRC2:TGID_X_EN: 1
; COMPUTE_PGM_RSRC2:TGID_Y_EN: 1
; COMPUTE_PGM_RSRC2:TGID_Z_EN: 1
; COMPUTE_PGM_RSRC2:TIDIG_COMP_CNT: 1
	.section	.text._ZN12_GLOBAL__N_135rocblas_gemm_batched_general_kernelIfLi16ELi16ELi32ELi32ELi8ELi32ELi8ELi8ELi32ELc84ELc67EKDF16_S1_DF16_EEvlllT_PT11_llS4_llS2_PT12_llPT13_lli,"axG",@progbits,_ZN12_GLOBAL__N_135rocblas_gemm_batched_general_kernelIfLi16ELi16ELi32ELi32ELi8ELi32ELi8ELi8ELi32ELc84ELc67EKDF16_S1_DF16_EEvlllT_PT11_llS4_llS2_PT12_llPT13_lli,comdat
	.globl	_ZN12_GLOBAL__N_135rocblas_gemm_batched_general_kernelIfLi16ELi16ELi32ELi32ELi8ELi32ELi8ELi8ELi32ELc84ELc67EKDF16_S1_DF16_EEvlllT_PT11_llS4_llS2_PT12_llPT13_lli ; -- Begin function _ZN12_GLOBAL__N_135rocblas_gemm_batched_general_kernelIfLi16ELi16ELi32ELi32ELi8ELi32ELi8ELi8ELi32ELc84ELc67EKDF16_S1_DF16_EEvlllT_PT11_llS4_llS2_PT12_llPT13_lli
	.p2align	8
	.type	_ZN12_GLOBAL__N_135rocblas_gemm_batched_general_kernelIfLi16ELi16ELi32ELi32ELi8ELi32ELi8ELi8ELi32ELc84ELc67EKDF16_S1_DF16_EEvlllT_PT11_llS4_llS2_PT12_llPT13_lli,@function
_ZN12_GLOBAL__N_135rocblas_gemm_batched_general_kernelIfLi16ELi16ELi32ELi32ELi8ELi32ELi8ELi8ELi32ELc84ELc67EKDF16_S1_DF16_EEvlllT_PT11_llS4_llS2_PT12_llPT13_lli: ; @_ZN12_GLOBAL__N_135rocblas_gemm_batched_general_kernelIfLi16ELi16ELi32ELi32ELi8ELi32ELi8ELi8ELi32ELc84ELc67EKDF16_S1_DF16_EEvlllT_PT11_llS4_llS2_PT12_llPT13_lli
; %bb.0:
	s_load_b32 s33, s[0:1], 0x88
	s_bfe_u32 s2, ttmp6, 0x40014
	s_lshr_b32 s3, ttmp7, 16
	s_add_co_i32 s2, s2, 1
	s_bfe_u32 s5, ttmp6, 0x40008
	s_mul_i32 s4, s3, s2
	s_getreg_b32 s2, hwreg(HW_REG_IB_STS2, 6, 4)
	s_add_co_i32 s5, s5, s4
	s_cmp_eq_u32 s2, 0
	s_mov_b32 s35, 0
	s_cselect_b32 s34, s3, s5
	s_wait_kmcnt 0x0
	s_cmp_ge_i32 s34, s33
	s_cbranch_scc1 .LBB389_34
; %bb.1:
	s_clause 0x4
	s_load_b128 s[4:7], s[0:1], 0x0
	s_load_b256 s[16:23], s[0:1], 0x20
	s_load_b128 s[28:31], s[0:1], 0x40
	s_load_b32 s41, s[0:1], 0x50
	s_load_b256 s[8:15], s[0:1], 0x58
	v_bfe_u32 v8, v0, 10, 10
	v_and_b32_e32 v10, 0x3ff, v0
	v_dual_mov_b32 v9, 0 :: v_dual_bitop2_b32 v0, 7, v0 bitop3:0x40
	s_bfe_u32 s3, ttmp6, 0x4000c
	s_bfe_u32 s25, ttmp6, 0x40010
	s_add_co_i32 s3, s3, 1
	s_and_b32 s26, ttmp7, 0xffff
	s_add_co_i32 s25, s25, 1
	s_and_b32 s24, ttmp6, 15
	s_mul_i32 s3, ttmp9, s3
	s_mul_i32 s25, s26, s25
	s_bfe_u32 s27, ttmp6, 0x40004
	v_lshl_add_u32 v2, v8, 4, v10
	v_mov_b32_e32 v1, v9
	s_add_co_i32 s24, s24, s3
	s_add_co_i32 s27, s27, s25
	s_cmp_eq_u32 s2, 0
	v_and_b32_e32 v3, 31, v2
	s_cselect_b32 s2, ttmp9, s24
	s_wait_kmcnt 0x0
	v_mul_u64_e32 v[12:13], s[28:29], v[0:1]
	s_cselect_b32 s40, s26, s27
	s_ashr_i32 s3, s2, 31
	s_clause 0x1
	s_load_b128 s[24:27], s[0:1], 0x78
	s_load_b96 s[36:38], s[0:1], 0x10
	s_lshl_b64 s[2:3], s[2:3], 5
	s_lshl_b32 s42, s40, 5
	v_dual_mov_b32 v5, s3 :: v_dual_bitop2_b32 v4, s2, v3 bitop3:0x54
	s_mov_b32 s43, s35
	v_dual_mov_b32 v11, v9 :: v_dual_lshrrev_b32 v16, 3, v2
	v_add_nc_u64_e32 v[14:15], s[42:43], v[8:9]
	s_delay_alu instid0(VALU_DEP_3)
	v_mul_u64_e32 v[18:19], s[18:19], v[4:5]
	v_dual_mov_b32 v17, v9 :: v_dual_lshrrev_b32 v2, 5, v2
	s_wait_xcnt 0x0
	v_cmp_gt_i64_e64 s0, s[4:5], v[4:5]
	s_cmp_eq_f32 s41, 0
	v_dual_lshlrev_b32 v22, 2, v0 :: v_dual_lshlrev_b32 v23, 2, v3
	v_mul_u64_e32 v[20:21], s[10:11], v[14:15]
	v_add_nc_u64_e32 v[6:7], s[42:43], v[16:17]
	s_cselect_b32 s39, -1, 0
	s_wait_kmcnt 0x0
	v_mul_u64_e32 v[4:5], s[24:25], v[14:15]
	v_mov_b32_e32 v3, v9
	v_lshl_add_u32 v30, v8, 5, 0x400
	v_lshlrev_b32_e32 v8, 1, v16
	v_lshl_or_b32 v17, v16, 5, v22
	v_cmp_gt_i64_e64 s1, s[6:7], v[6:7]
	v_add_nc_u64_e32 v[6:7], s[2:3], v[10:11]
	s_lshl_b32 s2, s40, 6
	s_mov_b32 s3, s35
	v_lshlrev_b32_e32 v31, 2, v10
	v_lshl_add_u64 v[12:13], v[12:13], 1, s[2:3]
	v_lshl_or_b32 v28, v2, 7, v23
	v_add_nc_u32_e32 v29, 0x400, v17
	v_add_nc_u64_e32 v[16:17], 16, v[6:7]
	v_add_nc_u64_e32 v[22:23], 16, v[14:15]
	;; [unrolled: 1-line block ×3, first 2 shown]
	v_lshlrev_b32_e32 v8, 1, v2
	v_cmp_gt_i64_e64 s2, s[6:7], v[14:15]
	v_cmp_gt_i64_e64 s3, s[4:5], v[6:7]
	s_mov_b32 s40, s38
	v_cmp_gt_i64_e64 s4, s[4:5], v[16:17]
	v_cmp_gt_i64_e64 s5, s[6:7], v[22:23]
	v_lshl_add_u64 v[12:13], v[18:19], 1, v[8:9]
	v_add_nc_u64_e32 v[10:11], s[22:23], v[10:11]
	v_cmp_gt_i64_e64 s22, s[36:37], 0
	s_lshl_b64 s[6:7], s[24:25], 4
	s_lshl_b64 s[10:11], s[10:11], 4
	v_add_nc_u64_e32 v[12:13], s[16:17], v[12:13]
	s_lshl_b64 s[16:17], s[28:29], 4
	v_lshl_add_u64 v[8:9], v[20:21], 1, s[8:9]
	s_lshl_b64 s[8:9], s[30:31], 1
	s_lshl_b64 s[18:19], s[20:21], 1
	s_branch .LBB389_4
.LBB389_2:                              ;   in Loop: Header=BB389_4 Depth=1
	s_wait_xcnt 0x0
	s_or_b32 exec_lo, exec_lo, s23
.LBB389_3:                              ;   in Loop: Header=BB389_4 Depth=1
	s_add_co_i32 s34, s34, 0x10000
	s_delay_alu instid0(SALU_CYCLE_1)
	s_cmp_lt_i32 s34, s33
	s_cbranch_scc0 .LBB389_34
.LBB389_4:                              ; =>This Loop Header: Depth=1
                                        ;     Child Loop BB389_7 Depth 2
	v_dual_mov_b32 v17, 0 :: v_dual_mov_b32 v16, 0
	v_dual_mov_b32 v15, 0 :: v_dual_mov_b32 v14, 0
	s_and_not1_b32 vcc_lo, exec_lo, s22
	s_cbranch_vccnz .LBB389_11
; %bb.5:                                ;   in Loop: Header=BB389_4 Depth=1
	v_mad_nc_u64_u32 v[18:19], s8, s34, v[10:11]
	v_mad_nc_u64_u32 v[20:21], s18, s34, v[12:13]
	v_mov_b32_e32 v16, 0
	s_mov_b64 s[20:21], 0
	s_delay_alu instid0(VALU_DEP_1)
	v_dual_mov_b32 v17, v16 :: v_dual_mov_b32 v14, v16
	v_mov_b32_e32 v15, v16
	v_mad_u32 v19, s9, s34, v19
	v_mad_u32 v21, s19, s34, v21
	s_branch .LBB389_7
.LBB389_6:                              ;   in Loop: Header=BB389_7 Depth=2
	s_wait_xcnt 0x0
	s_or_b32 exec_lo, exec_lo, s23
	ds_store_b32 v29, v23
	s_wait_dscnt 0x0
	s_barrier_signal -1
	s_barrier_wait -1
	ds_load_b128 v[22:25], v30
	ds_load_2addr_b32 v[26:27], v31 offset1:16
	ds_load_b128 v[32:35], v30 offset:512
	ds_load_2addr_b32 v[44:45], v31 offset0:32 offset1:48
	ds_load_2addr_b32 v[46:47], v31 offset0:64 offset1:80
	;; [unrolled: 1-line block ×3, first 2 shown]
	ds_load_b128 v[36:39], v30 offset:16
	ds_load_2addr_b32 v[50:51], v31 offset0:128 offset1:144
	ds_load_b128 v[40:43], v30 offset:528
	s_add_nc_u64 s[20:21], s[20:21], 8
	v_add_nc_u64_e32 v[18:19], s[16:17], v[18:19]
	v_cmp_lt_i64_e64 s23, s[20:21], s[36:37]
	v_add_nc_u64_e32 v[20:21], 16, v[20:21]
	s_and_b32 vcc_lo, exec_lo, s23
	s_wait_dscnt 0x7
	v_pk_fma_f32 v[16:17], v[26:27], v[22:23], v[16:17] op_sel_hi:[1,0,1]
	s_wait_dscnt 0x6
	v_pk_fma_f32 v[14:15], v[26:27], v[32:33], v[14:15] op_sel_hi:[1,0,1]
	ds_load_2addr_b32 v[26:27], v31 offset0:160 offset1:176
	s_wait_dscnt 0x6
	v_pk_fma_f32 v[16:17], v[44:45], v[22:23], v[16:17] op_sel:[0,1,0]
	v_pk_fma_f32 v[14:15], v[44:45], v[32:33], v[14:15] op_sel:[0,1,0]
	ds_load_2addr_b32 v[22:23], v31 offset0:192 offset1:208
	v_dual_mov_b32 v32, v25 :: v_dual_mov_b32 v44, v35
	s_wait_dscnt 0x6
	v_pk_fma_f32 v[16:17], v[46:47], v[24:25], v[16:17] op_sel_hi:[1,0,1]
	v_pk_fma_f32 v[14:15], v[46:47], v[34:35], v[14:15] op_sel_hi:[1,0,1]
	ds_load_2addr_b32 v[24:25], v31 offset0:224 offset1:240
	s_wait_dscnt 0x0
	s_barrier_signal -1
	v_pk_fma_f32 v[16:17], v[48:49], v[32:33], v[16:17] op_sel_hi:[1,0,1]
	v_pk_fma_f32 v[14:15], v[48:49], v[44:45], v[14:15] op_sel_hi:[1,0,1]
	s_barrier_wait -1
	v_mov_b32_e32 v32, v43
	s_delay_alu instid0(VALU_DEP_3) | instskip(NEXT) | instid1(VALU_DEP_3)
	v_pk_fma_f32 v[16:17], v[50:51], v[36:37], v[16:17] op_sel_hi:[1,0,1]
	v_pk_fma_f32 v[14:15], v[50:51], v[40:41], v[14:15] op_sel_hi:[1,0,1]
	s_delay_alu instid0(VALU_DEP_2) | instskip(NEXT) | instid1(VALU_DEP_2)
	v_pk_fma_f32 v[16:17], v[26:27], v[36:37], v[16:17] op_sel:[0,1,0]
	v_pk_fma_f32 v[14:15], v[26:27], v[40:41], v[14:15] op_sel:[0,1,0]
	v_mov_b32_e32 v26, v39
	s_delay_alu instid0(VALU_DEP_3) | instskip(NEXT) | instid1(VALU_DEP_3)
	v_pk_fma_f32 v[16:17], v[22:23], v[38:39], v[16:17] op_sel_hi:[1,0,1]
	v_pk_fma_f32 v[14:15], v[22:23], v[42:43], v[14:15] op_sel_hi:[1,0,1]
	s_delay_alu instid0(VALU_DEP_2) | instskip(NEXT) | instid1(VALU_DEP_2)
	v_pk_fma_f32 v[16:17], v[24:25], v[26:27], v[16:17] op_sel_hi:[1,0,1]
	v_pk_fma_f32 v[14:15], v[24:25], v[32:33], v[14:15] op_sel_hi:[1,0,1]
	s_cbranch_vccz .LBB389_11
.LBB389_7:                              ;   Parent Loop BB389_4 Depth=1
                                        ; =>  This Inner Loop Header: Depth=2
	v_add_nc_u64_e32 v[22:23], s[20:21], v[2:3]
	s_delay_alu instid0(VALU_DEP_1) | instskip(SKIP_2) | instid1(SALU_CYCLE_1)
	v_cmp_gt_i64_e32 vcc_lo, s[36:37], v[22:23]
	v_mov_b32_e32 v22, 0
	s_and_b32 s24, s0, vcc_lo
	s_and_saveexec_b32 s23, s24
	s_cbranch_execz .LBB389_9
; %bb.8:                                ;   in Loop: Header=BB389_7 Depth=2
	global_load_u16 v22, v[20:21], off
	s_wait_loadcnt 0x0
	v_cvt_f32_f16_e32 v22, v22
.LBB389_9:                              ;   in Loop: Header=BB389_7 Depth=2
	s_wait_xcnt 0x0
	s_or_b32 exec_lo, exec_lo, s23
	v_add_nc_u64_e32 v[24:25], s[20:21], v[0:1]
	v_mov_b32_e32 v23, 0
	ds_store_b32 v28, v22
	v_cmp_gt_i64_e32 vcc_lo, s[36:37], v[24:25]
	s_and_b32 s24, vcc_lo, s1
	s_delay_alu instid0(SALU_CYCLE_1)
	s_and_saveexec_b32 s23, s24
	s_cbranch_execz .LBB389_6
; %bb.10:                               ;   in Loop: Header=BB389_7 Depth=2
	global_load_u16 v22, v[18:19], off
	s_wait_loadcnt 0x0
	v_cvt_f32_f16_e32 v23, v22
	s_branch .LBB389_6
.LBB389_11:                             ;   in Loop: Header=BB389_4 Depth=1
	s_mul_u64 s[20:21], s[26:27], s[34:35]
	s_and_not1_b32 vcc_lo, exec_lo, s39
	s_lshl_b64 s[20:21], s[20:21], 1
	s_delay_alu instid0(SALU_CYCLE_1)
	s_add_nc_u64 s[20:21], s[14:15], s[20:21]
	s_cbranch_vccnz .LBB389_16
; %bb.12:                               ;   in Loop: Header=BB389_4 Depth=1
	s_and_saveexec_b32 s23, s2
	s_cbranch_execz .LBB389_23
; %bb.13:                               ;   in Loop: Header=BB389_4 Depth=1
	v_lshl_add_u64 v[18:19], v[4:5], 1, s[20:21]
	s_delay_alu instid0(VALU_DEP_1)
	v_lshl_add_u64 v[20:21], v[6:7], 1, v[18:19]
	s_and_saveexec_b32 s24, s3
	s_cbranch_execnz .LBB389_17
; %bb.14:                               ;   in Loop: Header=BB389_4 Depth=1
	s_or_b32 exec_lo, exec_lo, s24
	s_and_saveexec_b32 s24, s4
	s_cbranch_execnz .LBB389_18
.LBB389_15:                             ;   in Loop: Header=BB389_4 Depth=1
	s_or_b32 exec_lo, exec_lo, s24
	s_delay_alu instid0(SALU_CYCLE_1)
	s_and_b32 exec_lo, exec_lo, s5
	s_cbranch_execnz .LBB389_19
	s_branch .LBB389_23
.LBB389_16:                             ;   in Loop: Header=BB389_4 Depth=1
	s_branch .LBB389_24
.LBB389_17:                             ;   in Loop: Header=BB389_4 Depth=1
	v_fma_mixlo_f16 v22, s38, v16, 0
	global_store_b16 v[20:21], v22, off
	s_wait_xcnt 0x0
	s_or_b32 exec_lo, exec_lo, s24
	s_and_saveexec_b32 s24, s4
	s_cbranch_execz .LBB389_15
.LBB389_18:                             ;   in Loop: Header=BB389_4 Depth=1
	v_fma_mixlo_f16 v22, s38, v17, 0
	global_store_b16 v[20:21], v22, off offset:32
	s_wait_xcnt 0x0
	s_or_b32 exec_lo, exec_lo, s24
	s_delay_alu instid0(SALU_CYCLE_1)
	s_and_b32 exec_lo, exec_lo, s5
	s_cbranch_execz .LBB389_23
.LBB389_19:                             ;   in Loop: Header=BB389_4 Depth=1
	v_lshl_add_u64 v[18:19], s[6:7], 1, v[18:19]
	s_delay_alu instid0(VALU_DEP_1)
	v_lshl_add_u64 v[18:19], v[6:7], 1, v[18:19]
	s_and_saveexec_b32 s24, s3
	s_cbranch_execz .LBB389_21
; %bb.20:                               ;   in Loop: Header=BB389_4 Depth=1
	v_fma_mixlo_f16 v20, s38, v14, 0
	global_store_b16 v[18:19], v20, off
.LBB389_21:                             ;   in Loop: Header=BB389_4 Depth=1
	s_wait_xcnt 0x0
	s_or_b32 exec_lo, exec_lo, s24
	s_delay_alu instid0(SALU_CYCLE_1)
	s_and_b32 exec_lo, exec_lo, s4
	s_cbranch_execz .LBB389_23
; %bb.22:                               ;   in Loop: Header=BB389_4 Depth=1
	v_fma_mixlo_f16 v20, s38, v15, 0
	global_store_b16 v[18:19], v20, off offset:32
.LBB389_23:                             ;   in Loop: Header=BB389_4 Depth=1
	s_wait_xcnt 0x0
	s_or_b32 exec_lo, exec_lo, s23
	s_cbranch_execnz .LBB389_3
.LBB389_24:                             ;   in Loop: Header=BB389_4 Depth=1
	s_and_saveexec_b32 s23, s2
	s_cbranch_execz .LBB389_2
; %bb.25:                               ;   in Loop: Header=BB389_4 Depth=1
	s_mul_u64 s[24:25], s[12:13], s[34:35]
	v_lshlrev_b64_e32 v[18:19], 1, v[6:7]
	v_lshl_add_u64 v[20:21], s[24:25], 1, v[8:9]
	v_lshl_add_u64 v[22:23], v[4:5], 1, s[20:21]
	s_delay_alu instid0(VALU_DEP_2) | instskip(NEXT) | instid1(VALU_DEP_2)
	v_add_nc_u64_e32 v[26:27], v[20:21], v[18:19]
	v_add_nc_u64_e32 v[24:25], v[22:23], v[18:19]
	s_and_saveexec_b32 s20, s3
	s_cbranch_execnz .LBB389_28
; %bb.26:                               ;   in Loop: Header=BB389_4 Depth=1
	s_or_b32 exec_lo, exec_lo, s20
	s_and_saveexec_b32 s20, s4
	s_cbranch_execnz .LBB389_29
.LBB389_27:                             ;   in Loop: Header=BB389_4 Depth=1
	s_or_b32 exec_lo, exec_lo, s20
	s_delay_alu instid0(SALU_CYCLE_1)
	s_and_b32 exec_lo, exec_lo, s5
	s_cbranch_execz .LBB389_2
	s_branch .LBB389_30
.LBB389_28:                             ;   in Loop: Header=BB389_4 Depth=1
	global_load_u16 v33, v[26:27], off
	v_mov_b64_e32 v[34:35], s[40:41]
	v_mov_b32_e32 v32, v16
	s_wait_loadcnt 0x0
	v_cvt_f32_f16_e32 v33, v33
	s_delay_alu instid0(VALU_DEP_1) | instskip(NEXT) | instid1(VALU_DEP_1)
	v_pk_mul_f32 v[32:33], v[34:35], v[32:33]
	v_add_f32_e32 v16, v32, v33
	s_delay_alu instid0(VALU_DEP_1)
	v_cvt_f16_f32_e32 v16, v16
	global_store_b16 v[24:25], v16, off
	s_wait_xcnt 0x0
	s_or_b32 exec_lo, exec_lo, s20
	s_and_saveexec_b32 s20, s4
	s_cbranch_execz .LBB389_27
.LBB389_29:                             ;   in Loop: Header=BB389_4 Depth=1
	global_load_u16 v26, v[26:27], off offset:32
	v_mov_b32_e32 v16, v17
	s_wait_loadcnt 0x0
	v_cvt_f32_f16_e32 v17, v26
	s_wait_xcnt 0x0
	v_mov_b64_e32 v[26:27], s[40:41]
	s_delay_alu instid0(VALU_DEP_1) | instskip(NEXT) | instid1(VALU_DEP_1)
	v_pk_mul_f32 v[16:17], v[26:27], v[16:17]
	v_add_f32_e32 v16, v16, v17
	s_delay_alu instid0(VALU_DEP_1) | instskip(SKIP_3) | instid1(SALU_CYCLE_1)
	v_cvt_f16_f32_e32 v16, v16
	global_store_b16 v[24:25], v16, off offset:32
	s_wait_xcnt 0x0
	s_or_b32 exec_lo, exec_lo, s20
	s_and_b32 exec_lo, exec_lo, s5
	s_cbranch_execz .LBB389_2
.LBB389_30:                             ;   in Loop: Header=BB389_4 Depth=1
	v_lshl_add_u64 v[16:17], s[10:11], 1, v[20:21]
	v_lshl_add_u64 v[22:23], s[6:7], 1, v[22:23]
	s_delay_alu instid0(VALU_DEP_2) | instskip(NEXT) | instid1(VALU_DEP_2)
	v_add_nc_u64_e32 v[20:21], v[16:17], v[18:19]
	v_add_nc_u64_e32 v[16:17], v[22:23], v[18:19]
	s_and_saveexec_b32 s20, s3
	s_cbranch_execz .LBB389_32
; %bb.31:                               ;   in Loop: Header=BB389_4 Depth=1
	global_load_u16 v19, v[20:21], off
	v_mov_b64_e32 v[22:23], s[40:41]
	v_mov_b32_e32 v18, v14
	s_wait_loadcnt 0x0
	v_cvt_f32_f16_e32 v19, v19
	s_delay_alu instid0(VALU_DEP_1) | instskip(NEXT) | instid1(VALU_DEP_1)
	v_pk_mul_f32 v[18:19], v[22:23], v[18:19]
	v_add_f32_e32 v14, v18, v19
	s_delay_alu instid0(VALU_DEP_1)
	v_cvt_f16_f32_e32 v14, v14
	global_store_b16 v[16:17], v14, off
.LBB389_32:                             ;   in Loop: Header=BB389_4 Depth=1
	s_wait_xcnt 0x0
	s_or_b32 exec_lo, exec_lo, s20
	s_delay_alu instid0(SALU_CYCLE_1)
	s_and_b32 exec_lo, exec_lo, s4
	s_cbranch_execz .LBB389_2
; %bb.33:                               ;   in Loop: Header=BB389_4 Depth=1
	global_load_u16 v18, v[20:21], off offset:32
	v_mov_b32_e32 v14, v15
	s_wait_loadcnt 0x0
	v_cvt_f32_f16_e32 v15, v18
	v_mov_b64_e32 v[18:19], s[40:41]
	s_delay_alu instid0(VALU_DEP_1) | instskip(NEXT) | instid1(VALU_DEP_1)
	v_pk_mul_f32 v[14:15], v[18:19], v[14:15]
	v_add_f32_e32 v14, v14, v15
	s_delay_alu instid0(VALU_DEP_1)
	v_cvt_f16_f32_e32 v14, v14
	global_store_b16 v[16:17], v14, off offset:32
	s_branch .LBB389_2
.LBB389_34:
	s_endpgm
	.section	.rodata,"a",@progbits
	.p2align	6, 0x0
	.amdhsa_kernel _ZN12_GLOBAL__N_135rocblas_gemm_batched_general_kernelIfLi16ELi16ELi32ELi32ELi8ELi32ELi8ELi8ELi32ELc84ELc67EKDF16_S1_DF16_EEvlllT_PT11_llS4_llS2_PT12_llPT13_lli
		.amdhsa_group_segment_fixed_size 2048
		.amdhsa_private_segment_fixed_size 0
		.amdhsa_kernarg_size 140
		.amdhsa_user_sgpr_count 2
		.amdhsa_user_sgpr_dispatch_ptr 0
		.amdhsa_user_sgpr_queue_ptr 0
		.amdhsa_user_sgpr_kernarg_segment_ptr 1
		.amdhsa_user_sgpr_dispatch_id 0
		.amdhsa_user_sgpr_kernarg_preload_length 0
		.amdhsa_user_sgpr_kernarg_preload_offset 0
		.amdhsa_user_sgpr_private_segment_size 0
		.amdhsa_wavefront_size32 1
		.amdhsa_uses_dynamic_stack 0
		.amdhsa_enable_private_segment 0
		.amdhsa_system_sgpr_workgroup_id_x 1
		.amdhsa_system_sgpr_workgroup_id_y 1
		.amdhsa_system_sgpr_workgroup_id_z 1
		.amdhsa_system_sgpr_workgroup_info 0
		.amdhsa_system_vgpr_workitem_id 1
		.amdhsa_next_free_vgpr 52
		.amdhsa_next_free_sgpr 44
		.amdhsa_named_barrier_count 0
		.amdhsa_reserve_vcc 1
		.amdhsa_float_round_mode_32 0
		.amdhsa_float_round_mode_16_64 0
		.amdhsa_float_denorm_mode_32 3
		.amdhsa_float_denorm_mode_16_64 3
		.amdhsa_fp16_overflow 0
		.amdhsa_memory_ordered 1
		.amdhsa_forward_progress 1
		.amdhsa_inst_pref_size 15
		.amdhsa_round_robin_scheduling 0
		.amdhsa_exception_fp_ieee_invalid_op 0
		.amdhsa_exception_fp_denorm_src 0
		.amdhsa_exception_fp_ieee_div_zero 0
		.amdhsa_exception_fp_ieee_overflow 0
		.amdhsa_exception_fp_ieee_underflow 0
		.amdhsa_exception_fp_ieee_inexact 0
		.amdhsa_exception_int_div_zero 0
	.end_amdhsa_kernel
	.section	.text._ZN12_GLOBAL__N_135rocblas_gemm_batched_general_kernelIfLi16ELi16ELi32ELi32ELi8ELi32ELi8ELi8ELi32ELc84ELc67EKDF16_S1_DF16_EEvlllT_PT11_llS4_llS2_PT12_llPT13_lli,"axG",@progbits,_ZN12_GLOBAL__N_135rocblas_gemm_batched_general_kernelIfLi16ELi16ELi32ELi32ELi8ELi32ELi8ELi8ELi32ELc84ELc67EKDF16_S1_DF16_EEvlllT_PT11_llS4_llS2_PT12_llPT13_lli,comdat
.Lfunc_end389:
	.size	_ZN12_GLOBAL__N_135rocblas_gemm_batched_general_kernelIfLi16ELi16ELi32ELi32ELi8ELi32ELi8ELi8ELi32ELc84ELc67EKDF16_S1_DF16_EEvlllT_PT11_llS4_llS2_PT12_llPT13_lli, .Lfunc_end389-_ZN12_GLOBAL__N_135rocblas_gemm_batched_general_kernelIfLi16ELi16ELi32ELi32ELi8ELi32ELi8ELi8ELi32ELc84ELc67EKDF16_S1_DF16_EEvlllT_PT11_llS4_llS2_PT12_llPT13_lli
                                        ; -- End function
	.set _ZN12_GLOBAL__N_135rocblas_gemm_batched_general_kernelIfLi16ELi16ELi32ELi32ELi8ELi32ELi8ELi8ELi32ELc84ELc67EKDF16_S1_DF16_EEvlllT_PT11_llS4_llS2_PT12_llPT13_lli.num_vgpr, 52
	.set _ZN12_GLOBAL__N_135rocblas_gemm_batched_general_kernelIfLi16ELi16ELi32ELi32ELi8ELi32ELi8ELi8ELi32ELc84ELc67EKDF16_S1_DF16_EEvlllT_PT11_llS4_llS2_PT12_llPT13_lli.num_agpr, 0
	.set _ZN12_GLOBAL__N_135rocblas_gemm_batched_general_kernelIfLi16ELi16ELi32ELi32ELi8ELi32ELi8ELi8ELi32ELc84ELc67EKDF16_S1_DF16_EEvlllT_PT11_llS4_llS2_PT12_llPT13_lli.numbered_sgpr, 44
	.set _ZN12_GLOBAL__N_135rocblas_gemm_batched_general_kernelIfLi16ELi16ELi32ELi32ELi8ELi32ELi8ELi8ELi32ELc84ELc67EKDF16_S1_DF16_EEvlllT_PT11_llS4_llS2_PT12_llPT13_lli.num_named_barrier, 0
	.set _ZN12_GLOBAL__N_135rocblas_gemm_batched_general_kernelIfLi16ELi16ELi32ELi32ELi8ELi32ELi8ELi8ELi32ELc84ELc67EKDF16_S1_DF16_EEvlllT_PT11_llS4_llS2_PT12_llPT13_lli.private_seg_size, 0
	.set _ZN12_GLOBAL__N_135rocblas_gemm_batched_general_kernelIfLi16ELi16ELi32ELi32ELi8ELi32ELi8ELi8ELi32ELc84ELc67EKDF16_S1_DF16_EEvlllT_PT11_llS4_llS2_PT12_llPT13_lli.uses_vcc, 1
	.set _ZN12_GLOBAL__N_135rocblas_gemm_batched_general_kernelIfLi16ELi16ELi32ELi32ELi8ELi32ELi8ELi8ELi32ELc84ELc67EKDF16_S1_DF16_EEvlllT_PT11_llS4_llS2_PT12_llPT13_lli.uses_flat_scratch, 0
	.set _ZN12_GLOBAL__N_135rocblas_gemm_batched_general_kernelIfLi16ELi16ELi32ELi32ELi8ELi32ELi8ELi8ELi32ELc84ELc67EKDF16_S1_DF16_EEvlllT_PT11_llS4_llS2_PT12_llPT13_lli.has_dyn_sized_stack, 0
	.set _ZN12_GLOBAL__N_135rocblas_gemm_batched_general_kernelIfLi16ELi16ELi32ELi32ELi8ELi32ELi8ELi8ELi32ELc84ELc67EKDF16_S1_DF16_EEvlllT_PT11_llS4_llS2_PT12_llPT13_lli.has_recursion, 0
	.set _ZN12_GLOBAL__N_135rocblas_gemm_batched_general_kernelIfLi16ELi16ELi32ELi32ELi8ELi32ELi8ELi8ELi32ELc84ELc67EKDF16_S1_DF16_EEvlllT_PT11_llS4_llS2_PT12_llPT13_lli.has_indirect_call, 0
	.section	.AMDGPU.csdata,"",@progbits
; Kernel info:
; codeLenInByte = 1828
; TotalNumSgprs: 46
; NumVgprs: 52
; ScratchSize: 0
; MemoryBound: 0
; FloatMode: 240
; IeeeMode: 1
; LDSByteSize: 2048 bytes/workgroup (compile time only)
; SGPRBlocks: 0
; VGPRBlocks: 3
; NumSGPRsForWavesPerEU: 46
; NumVGPRsForWavesPerEU: 52
; NamedBarCnt: 0
; Occupancy: 16
; WaveLimiterHint : 0
; COMPUTE_PGM_RSRC2:SCRATCH_EN: 0
; COMPUTE_PGM_RSRC2:USER_SGPR: 2
; COMPUTE_PGM_RSRC2:TRAP_HANDLER: 0
; COMPUTE_PGM_RSRC2:TGID_X_EN: 1
; COMPUTE_PGM_RSRC2:TGID_Y_EN: 1
; COMPUTE_PGM_RSRC2:TGID_Z_EN: 1
; COMPUTE_PGM_RSRC2:TIDIG_COMP_CNT: 1
	.section	.text._ZN12_GLOBAL__N_127rocblas_gemm_batched_kernelIfLi16ELi16ELi64ELi64ELi4ELi64ELi4ELi4ELi64ELc78ELc78EKDF16_KffEEvlllT_PT11_llS5_llS3_PT12_llPT13_lli,"axG",@progbits,_ZN12_GLOBAL__N_127rocblas_gemm_batched_kernelIfLi16ELi16ELi64ELi64ELi4ELi64ELi4ELi4ELi64ELc78ELc78EKDF16_KffEEvlllT_PT11_llS5_llS3_PT12_llPT13_lli,comdat
	.globl	_ZN12_GLOBAL__N_127rocblas_gemm_batched_kernelIfLi16ELi16ELi64ELi64ELi4ELi64ELi4ELi4ELi64ELc78ELc78EKDF16_KffEEvlllT_PT11_llS5_llS3_PT12_llPT13_lli ; -- Begin function _ZN12_GLOBAL__N_127rocblas_gemm_batched_kernelIfLi16ELi16ELi64ELi64ELi4ELi64ELi4ELi4ELi64ELc78ELc78EKDF16_KffEEvlllT_PT11_llS5_llS3_PT12_llPT13_lli
	.p2align	8
	.type	_ZN12_GLOBAL__N_127rocblas_gemm_batched_kernelIfLi16ELi16ELi64ELi64ELi4ELi64ELi4ELi4ELi64ELc78ELc78EKDF16_KffEEvlllT_PT11_llS5_llS3_PT12_llPT13_lli,@function
_ZN12_GLOBAL__N_127rocblas_gemm_batched_kernelIfLi16ELi16ELi64ELi64ELi4ELi64ELi4ELi4ELi64ELc78ELc78EKDF16_KffEEvlllT_PT11_llS5_llS3_PT12_llPT13_lli: ; @_ZN12_GLOBAL__N_127rocblas_gemm_batched_kernelIfLi16ELi16ELi64ELi64ELi4ELi64ELi4ELi4ELi64ELc78ELc78EKDF16_KffEEvlllT_PT11_llS5_llS3_PT12_llPT13_lli
; %bb.0:
	s_load_b32 s31, s[0:1], 0x88
	s_bfe_u32 s2, ttmp6, 0x40014
	s_lshr_b32 s3, ttmp7, 16
	s_add_co_i32 s2, s2, 1
	s_bfe_u32 s4, ttmp6, 0x40008
	s_mul_i32 s2, s3, s2
	s_getreg_b32 s20, hwreg(HW_REG_IB_STS2, 6, 4)
	s_add_co_i32 s4, s4, s2
	s_cmp_eq_u32 s20, 0
	s_cselect_b32 s2, s3, s4
	s_mov_b32 s3, 0
	s_wait_kmcnt 0x0
	s_cmp_ge_i32 s2, s31
	s_cbranch_scc1 .LBB390_10
; %bb.1:
	v_bfe_u32 v2, v0, 10, 10
	v_and_b32_e32 v4, 0x3ff, v0
	s_bfe_u32 s22, ttmp6, 0x4000c
	s_bfe_u32 s28, ttmp6, 0x40010
	s_clause 0x2
	s_load_b256 s[12:19], s[0:1], 0x20
	s_load_b128 s[24:27], s[0:1], 0x40
	s_load_b256 s[4:11], s[0:1], 0x58
	v_dual_mov_b32 v3, 0 :: v_dual_lshlrev_b32 v16, 4, v2
	s_and_b32 s23, ttmp7, 0xffff
	s_add_co_i32 s22, s22, 1
	s_add_co_i32 s28, s28, 1
	s_delay_alu instid0(VALU_DEP_1)
	v_dual_add_nc_u32 v17, v16, v4 :: v_dual_mov_b32 v7, v3
	s_and_b32 s21, ttmp6, 15
	s_mul_i32 s22, ttmp9, s22
	s_mul_i32 s28, s23, s28
	s_bfe_u32 s29, ttmp6, 0x40004
	s_add_co_i32 s21, s21, s22
	s_add_co_i32 s29, s29, s28
	s_cmp_eq_u32 s20, 0
	v_dual_lshrrev_b32 v6, 2, v17 :: v_dual_lshrrev_b32 v18, 6, v17
	s_cselect_b32 s20, s23, s29
	s_cselect_b32 s28, ttmp9, s21
	s_lshl_b32 s34, s20, 6
	s_mov_b32 s35, s3
	s_load_b128 s[20:23], s[0:1], 0x78
	v_add_nc_u64_e32 v[8:9], s[34:35], v[6:7]
	v_add_nc_u64_e32 v[10:11], s[34:35], v[2:3]
	s_ashr_i32 s29, s28, 31
	s_load_b32 s33, s[0:1], 0x50
	v_dual_mov_b32 v5, v3 :: v_dual_bitop2_b32 v2, 3, v0 bitop3:0x40
	v_add_nc_u32_e32 v31, 0x400, v16
	s_wait_kmcnt 0x0
	v_mul_u64_e32 v[8:9], s[24:25], v[8:9]
	s_lshl_b64 s[24:25], s[28:29], 6
	v_mul_u64_e32 v[12:13], s[6:7], v[10:11]
	s_load_b96 s[28:30], s[0:1], 0x10
	v_mad_nc_u64_u32 v[14:15], s14, v18, s[24:25]
	v_dual_lshlrev_b32 v7, 2, v2 :: v_dual_lshlrev_b32 v2, 1, v2
	v_lshlrev_b32_e32 v30, 2, v4
	s_delay_alu instid0(VALU_DEP_2)
	v_lshl_or_b32 v20, v6, 4, v7
	v_mul_u64_e32 v[0:1], s[20:21], v[10:11]
	v_dual_mov_b32 v11, v3 :: v_dual_bitop2_b32 v10, 63, v17 bitop3:0x40
	v_mad_u32 v15, s15, v18, v15
	v_add_nc_u64_e32 v[16:17], s[24:25], v[4:5]
	s_cmp_eq_f32 s33, 0
	v_add_nc_u32_e32 v33, 0x400, v20
	v_lshlrev_b32_e32 v19, 2, v10
	s_wait_xcnt 0x0
	s_cselect_b32 s1, -1, 0
	s_lshl_b64 s[20:21], s[20:21], 4
	s_wait_kmcnt 0x0
	v_cmp_gt_i64_e64 s0, s[28:29], 0
	v_lshl_or_b32 v32, v18, 8, v19
	s_lshl_b64 s[24:25], s[6:7], 4
	v_add_nc_u64_e32 v[4:5], v[14:15], v[10:11]
	s_lshl_b64 s[6:7], s[26:27], 1
	v_cndmask_b32_e64 v21, 0, 1, s0
	v_lshl_add_u64 v[6:7], v[8:9], 1, v[2:3]
	v_lshlrev_b64_e32 v[8:9], 2, v[16:17]
	s_delay_alu instid0(VALU_DEP_4)
	v_lshl_add_u64 v[2:3], v[4:5], 1, s[12:13]
	v_lshl_add_u64 v[4:5], v[12:13], 2, s[4:5]
	v_cmp_ne_u32_e64 s0, 1, v21
	v_add_nc_u64_e32 v[6:7], s[18:19], v[6:7]
	s_lshl_b64 s[4:5], s[16:17], 1
	s_lshl_b64 s[12:13], s[14:15], 3
	s_lshl_b64 s[14:15], s[20:21], 2
	s_lshl_b64 s[16:17], s[24:25], 2
	s_branch .LBB390_3
.LBB390_2:                              ;   in Loop: Header=BB390_3 Depth=1
	s_add_co_i32 s2, s2, 0x10000
	s_delay_alu instid0(SALU_CYCLE_1)
	s_cmp_lt_i32 s2, s31
	s_cbranch_scc0 .LBB390_10
.LBB390_3:                              ; =>This Loop Header: Depth=1
                                        ;     Child Loop BB390_5 Depth 2
	v_dual_mov_b32 v25, 0 :: v_dual_mov_b32 v24, 0
	v_dual_mov_b32 v23, 0 :: v_dual_mov_b32 v22, 0
	;; [unrolled: 1-line block ×3, first 2 shown]
	s_wait_xcnt 0x6
	v_dual_mov_b32 v19, 0 :: v_dual_mov_b32 v18, 0
	s_wait_xcnt 0x1
	v_dual_mov_b32 v17, 0 :: v_dual_mov_b32 v16, 0
	;; [unrolled: 2-line block ×3, first 2 shown]
	v_dual_mov_b32 v13, 0 :: v_dual_mov_b32 v12, 0
	v_dual_mov_b32 v11, 0 :: v_dual_mov_b32 v10, 0
	s_and_b32 vcc_lo, exec_lo, s0
	s_cbranch_vccnz .LBB390_6
; %bb.4:                                ;   in Loop: Header=BB390_3 Depth=1
	v_mad_nc_u64_u32 v[26:27], s6, s2, v[6:7]
	v_mad_nc_u64_u32 v[28:29], s4, s2, v[2:3]
	v_mov_b32_e32 v10, 0
	s_mov_b64 s[18:19], 0
	s_delay_alu instid0(VALU_DEP_1)
	v_dual_mov_b32 v11, v10 :: v_dual_mov_b32 v12, v10
	v_dual_mov_b32 v13, v10 :: v_dual_mov_b32 v14, v10
	v_mad_u32 v27, s7, s2, v27
	v_mad_u32 v29, s5, s2, v29
	v_dual_mov_b32 v15, v10 :: v_dual_mov_b32 v16, v10
	v_dual_mov_b32 v17, v10 :: v_dual_mov_b32 v18, v10
	;; [unrolled: 1-line block ×5, first 2 shown]
	v_mov_b32_e32 v25, v10
.LBB390_5:                              ;   Parent Loop BB390_3 Depth=1
                                        ; =>  This Inner Loop Header: Depth=2
	global_load_u16 v34, v[28:29], off
	global_load_u16 v35, v[26:27], off
	s_add_nc_u64 s[18:19], s[18:19], 4
	s_wait_xcnt 0x0
	v_add_nc_u64_e32 v[26:27], 8, v[26:27]
	v_cmp_lt_i64_e64 s20, s[18:19], s[28:29]
	v_add_nc_u64_e32 v[28:29], s[12:13], v[28:29]
	s_and_b32 vcc_lo, exec_lo, s20
	s_wait_loadcnt 0x1
	v_cvt_f32_f16_e32 v34, v34
	s_wait_loadcnt 0x0
	v_cvt_f32_f16_e32 v35, v35
	ds_store_b32 v32, v34
	ds_store_b32 v33, v35
	s_wait_dscnt 0x0
	s_barrier_signal -1
	s_barrier_wait -1
	ds_load_2addr_b32 v[50:51], v30 offset1:16
	ds_load_2addr_b32 v[52:53], v30 offset0:64 offset1:80
	ds_load_2addr_b32 v[54:55], v30 offset0:128 offset1:144
	;; [unrolled: 1-line block ×6, first 2 shown]
	ds_load_b128 v[34:37], v31
	ds_load_b128 v[38:41], v31 offset:256
	ds_load_2addr_b32 v[64:65], v30 offset0:224 offset1:240
	ds_load_b128 v[42:45], v31 offset:512
	ds_load_b128 v[46:49], v31 offset:768
	s_wait_dscnt 0x0
	s_barrier_signal -1
	s_barrier_wait -1
	v_dual_mov_b32 v66, v51 :: v_dual_mov_b32 v67, v50
	v_dual_mov_b32 v50, v53 :: v_dual_mov_b32 v51, v52
	;; [unrolled: 1-line block ×6, first 2 shown]
	v_pk_fma_f32 v[24:25], v[66:67], v[34:35], v[24:25] op_sel_hi:[1,0,1]
	v_pk_fma_f32 v[20:21], v[66:67], v[38:39], v[20:21] op_sel_hi:[1,0,1]
	s_delay_alu instid0(VALU_DEP_4)
	v_pk_fma_f32 v[22:23], v[56:57], v[34:35], v[22:23] op_sel_hi:[1,0,1]
	v_pk_fma_f32 v[16:17], v[66:67], v[42:43], v[16:17] op_sel_hi:[1,0,1]
	;; [unrolled: 1-line block ×6, first 2 shown]
	v_dual_mov_b32 v60, v63 :: v_dual_mov_b32 v61, v62
	v_pk_fma_f32 v[24:25], v[50:51], v[34:35], v[24:25] op_sel:[0,1,0]
	v_pk_fma_f32 v[22:23], v[58:59], v[34:35], v[22:23] op_sel:[0,1,0]
	;; [unrolled: 1-line block ×8, first 2 shown]
	v_dual_mov_b32 v62, v37 :: v_dual_mov_b32 v68, v65
	v_dual_mov_b32 v69, v64 :: v_dual_mov_b32 v64, v41
	;; [unrolled: 1-line block ×3, first 2 shown]
	v_pk_fma_f32 v[24:25], v[52:53], v[36:37], v[24:25] op_sel_hi:[1,0,1]
	v_pk_fma_f32 v[22:23], v[60:61], v[36:37], v[22:23] op_sel_hi:[1,0,1]
	;; [unrolled: 1-line block ×16, first 2 shown]
	s_cbranch_vccnz .LBB390_5
.LBB390_6:                              ;   in Loop: Header=BB390_3 Depth=1
	s_mul_u64 s[18:19], s[22:23], s[2:3]
	s_and_not1_b32 vcc_lo, exec_lo, s1
	s_lshl_b64 s[18:19], s[18:19], 2
	s_delay_alu instid0(SALU_CYCLE_1) | instskip(NEXT) | instid1(SALU_CYCLE_1)
	s_add_nc_u64 s[18:19], s[10:11], s[18:19]
	v_lshl_add_u64 v[26:27], v[0:1], 2, s[18:19]
	s_delay_alu instid0(VALU_DEP_1)
	v_add_nc_u64_e32 v[28:29], v[26:27], v[8:9]
	v_add_nc_u64_e32 v[26:27], s[14:15], v[26:27]
	s_cbranch_vccnz .LBB390_8
; %bb.7:                                ;   in Loop: Header=BB390_3 Depth=1
	v_dual_mul_f32 v36, s30, v25 :: v_dual_mul_f32 v37, s30, v24
	s_delay_alu instid0(VALU_DEP_2)
	v_add_nc_u64_e32 v[34:35], s[14:15], v[26:27]
	v_dual_mul_f32 v38, s30, v23 :: v_dual_mul_f32 v39, s30, v22
	s_clause 0x3
	global_store_b32 v[28:29], v36, off
	global_store_b32 v[28:29], v37, off offset:64
	global_store_b32 v[28:29], v38, off offset:128
	;; [unrolled: 1-line block ×3, first 2 shown]
	s_wait_xcnt 0x2
	v_add_nc_u64_e32 v[36:37], v[26:27], v[8:9]
	v_dual_mul_f32 v40, s30, v21 :: v_dual_mul_f32 v41, s30, v20
	s_wait_xcnt 0x0
	v_add_nc_u64_e32 v[38:39], v[34:35], v[8:9]
	v_add_nc_u64_e32 v[34:35], s[14:15], v[34:35]
	v_dual_mul_f32 v42, s30, v19 :: v_dual_mul_f32 v43, s30, v18
	s_clause 0x3
	global_store_b32 v[36:37], v40, off
	global_store_b32 v[36:37], v41, off offset:64
	global_store_b32 v[36:37], v42, off offset:128
	;; [unrolled: 1-line block ×3, first 2 shown]
	s_wait_xcnt 0x0
	v_dual_mul_f32 v36, s30, v17 :: v_dual_mul_f32 v37, s30, v16
	v_dual_mul_f32 v40, s30, v15 :: v_dual_mul_f32 v41, s30, v14
	v_add_nc_u64_e32 v[34:35], v[34:35], v[8:9]
	s_clause 0x3
	global_store_b32 v[38:39], v36, off
	global_store_b32 v[38:39], v37, off offset:64
	global_store_b32 v[38:39], v40, off offset:128
	;; [unrolled: 1-line block ×3, first 2 shown]
	s_wait_xcnt 0x2
	v_dual_mul_f32 v36, s30, v13 :: v_dual_mul_f32 v37, s30, v12
	s_wait_xcnt 0x0
	v_dual_mul_f32 v38, s30, v11 :: v_dual_mul_f32 v39, s30, v10
	s_clause 0x3
	global_store_b32 v[34:35], v36, off
	global_store_b32 v[34:35], v37, off offset:64
	global_store_b32 v[34:35], v38, off offset:128
	;; [unrolled: 1-line block ×3, first 2 shown]
	s_cbranch_execnz .LBB390_2
	s_branch .LBB390_9
.LBB390_8:                              ;   in Loop: Header=BB390_3 Depth=1
.LBB390_9:                              ;   in Loop: Header=BB390_3 Depth=1
	s_mul_u64 s[18:19], s[8:9], s[2:3]
	s_wait_xcnt 0x0
	v_lshl_add_u64 v[34:35], s[18:19], 2, v[4:5]
	s_delay_alu instid0(VALU_DEP_1) | instskip(SKIP_3) | instid1(VALU_DEP_1)
	v_add_nc_u64_e32 v[36:37], v[34:35], v[8:9]
	global_load_b32 v38, v[36:37], off
	s_wait_loadcnt 0x0
	v_mul_f32_e32 v38, s33, v38
	v_fmac_f32_e32 v38, s30, v25
	global_store_b32 v[28:29], v38, off
	global_load_b32 v25, v[36:37], off offset:64
	s_wait_loadcnt 0x0
	v_mul_f32_e32 v25, s33, v25
	s_delay_alu instid0(VALU_DEP_1) | instskip(SKIP_4) | instid1(VALU_DEP_1)
	v_fmac_f32_e32 v25, s30, v24
	global_store_b32 v[28:29], v25, off offset:64
	global_load_b32 v24, v[36:37], off offset:128
	s_wait_loadcnt 0x0
	v_mul_f32_e32 v24, s33, v24
	v_fmac_f32_e32 v24, s30, v23
	global_store_b32 v[28:29], v24, off offset:128
	global_load_b32 v23, v[36:37], off offset:192
	s_wait_xcnt 0x1
	v_add_nc_u64_e32 v[24:25], s[16:17], v[34:35]
	s_delay_alu instid0(VALU_DEP_1) | instskip(SKIP_2) | instid1(VALU_DEP_1)
	v_add_nc_u64_e32 v[34:35], v[24:25], v[8:9]
	s_wait_loadcnt 0x0
	v_mul_f32_e32 v23, s33, v23
	v_fmac_f32_e32 v23, s30, v22
	global_store_b32 v[28:29], v23, off offset:192
	global_load_b32 v22, v[34:35], off
	s_wait_loadcnt 0x0
	s_wait_xcnt 0x1
	v_mul_f32_e32 v28, s33, v22
	v_add_nc_u64_e32 v[22:23], v[26:27], v[8:9]
	s_delay_alu instid0(VALU_DEP_2) | instskip(SKIP_4) | instid1(VALU_DEP_1)
	v_fmac_f32_e32 v28, s30, v21
	global_store_b32 v[22:23], v28, off
	global_load_b32 v21, v[34:35], off offset:64
	s_wait_loadcnt 0x0
	v_mul_f32_e32 v21, s33, v21
	v_fmac_f32_e32 v21, s30, v20
	global_store_b32 v[22:23], v21, off offset:64
	global_load_b32 v20, v[34:35], off offset:128
	s_wait_loadcnt 0x0
	v_mul_f32_e32 v20, s33, v20
	s_delay_alu instid0(VALU_DEP_1) | instskip(SKIP_4) | instid1(VALU_DEP_1)
	v_fmac_f32_e32 v20, s30, v19
	global_store_b32 v[22:23], v20, off offset:128
	global_load_b32 v19, v[34:35], off offset:192
	s_wait_xcnt 0x1
	v_add_nc_u64_e32 v[20:21], s[16:17], v[24:25]
	v_add_nc_u64_e32 v[24:25], v[20:21], v[8:9]
	s_wait_loadcnt 0x0
	v_mul_f32_e32 v19, s33, v19
	s_delay_alu instid0(VALU_DEP_1)
	v_fmac_f32_e32 v19, s30, v18
	global_store_b32 v[22:23], v19, off offset:192
	global_load_b32 v22, v[24:25], off
	v_add_nc_u64_e32 v[18:19], s[14:15], v[26:27]
	s_wait_loadcnt 0x0
	v_mul_f32_e32 v26, s33, v22
	s_delay_alu instid0(VALU_DEP_2) | instskip(NEXT) | instid1(VALU_DEP_2)
	v_add_nc_u64_e32 v[22:23], v[18:19], v[8:9]
	v_fmac_f32_e32 v26, s30, v17
	global_store_b32 v[22:23], v26, off
	global_load_b32 v17, v[24:25], off offset:64
	s_wait_loadcnt 0x0
	v_mul_f32_e32 v17, s33, v17
	s_delay_alu instid0(VALU_DEP_1) | instskip(SKIP_4) | instid1(VALU_DEP_1)
	v_fmac_f32_e32 v17, s30, v16
	global_store_b32 v[22:23], v17, off offset:64
	global_load_b32 v16, v[24:25], off offset:128
	s_wait_loadcnt 0x0
	v_mul_f32_e32 v16, s33, v16
	v_fmac_f32_e32 v16, s30, v15
	global_store_b32 v[22:23], v16, off offset:128
	global_load_b32 v15, v[24:25], off offset:192
	s_wait_xcnt 0x1
	v_add_nc_u64_e32 v[16:17], s[16:17], v[20:21]
	s_delay_alu instid0(VALU_DEP_1) | instskip(SKIP_2) | instid1(VALU_DEP_1)
	v_add_nc_u64_e32 v[16:17], v[16:17], v[8:9]
	s_wait_loadcnt 0x0
	v_mul_f32_e32 v15, s33, v15
	v_fmac_f32_e32 v15, s30, v14
	global_store_b32 v[22:23], v15, off offset:192
	global_load_b32 v20, v[16:17], off
	s_wait_xcnt 0x1
	v_add_nc_u64_e32 v[14:15], s[14:15], v[18:19]
	s_delay_alu instid0(VALU_DEP_1) | instskip(SKIP_2) | instid1(VALU_DEP_1)
	v_add_nc_u64_e32 v[14:15], v[14:15], v[8:9]
	s_wait_loadcnt 0x0
	v_mul_f32_e32 v18, s33, v20
	v_fmac_f32_e32 v18, s30, v13
	global_store_b32 v[14:15], v18, off
	global_load_b32 v13, v[16:17], off offset:64
	s_wait_loadcnt 0x0
	v_mul_f32_e32 v13, s33, v13
	s_delay_alu instid0(VALU_DEP_1) | instskip(SKIP_4) | instid1(VALU_DEP_1)
	v_fmac_f32_e32 v13, s30, v12
	global_store_b32 v[14:15], v13, off offset:64
	global_load_b32 v12, v[16:17], off offset:128
	s_wait_loadcnt 0x0
	v_mul_f32_e32 v12, s33, v12
	v_fmac_f32_e32 v12, s30, v11
	global_store_b32 v[14:15], v12, off offset:128
	global_load_b32 v11, v[16:17], off offset:192
	s_wait_loadcnt 0x0
	v_mul_f32_e32 v11, s33, v11
	s_delay_alu instid0(VALU_DEP_1)
	v_fmac_f32_e32 v11, s30, v10
	global_store_b32 v[14:15], v11, off offset:192
	s_branch .LBB390_2
.LBB390_10:
	s_sendmsg sendmsg(MSG_DEALLOC_VGPRS)
	s_endpgm
	.section	.rodata,"a",@progbits
	.p2align	6, 0x0
	.amdhsa_kernel _ZN12_GLOBAL__N_127rocblas_gemm_batched_kernelIfLi16ELi16ELi64ELi64ELi4ELi64ELi4ELi4ELi64ELc78ELc78EKDF16_KffEEvlllT_PT11_llS5_llS3_PT12_llPT13_lli
		.amdhsa_group_segment_fixed_size 2048
		.amdhsa_private_segment_fixed_size 0
		.amdhsa_kernarg_size 140
		.amdhsa_user_sgpr_count 2
		.amdhsa_user_sgpr_dispatch_ptr 0
		.amdhsa_user_sgpr_queue_ptr 0
		.amdhsa_user_sgpr_kernarg_segment_ptr 1
		.amdhsa_user_sgpr_dispatch_id 0
		.amdhsa_user_sgpr_kernarg_preload_length 0
		.amdhsa_user_sgpr_kernarg_preload_offset 0
		.amdhsa_user_sgpr_private_segment_size 0
		.amdhsa_wavefront_size32 1
		.amdhsa_uses_dynamic_stack 0
		.amdhsa_enable_private_segment 0
		.amdhsa_system_sgpr_workgroup_id_x 1
		.amdhsa_system_sgpr_workgroup_id_y 1
		.amdhsa_system_sgpr_workgroup_id_z 1
		.amdhsa_system_sgpr_workgroup_info 0
		.amdhsa_system_vgpr_workitem_id 1
		.amdhsa_next_free_vgpr 74
		.amdhsa_next_free_sgpr 36
		.amdhsa_named_barrier_count 0
		.amdhsa_reserve_vcc 1
		.amdhsa_float_round_mode_32 0
		.amdhsa_float_round_mode_16_64 0
		.amdhsa_float_denorm_mode_32 3
		.amdhsa_float_denorm_mode_16_64 3
		.amdhsa_fp16_overflow 0
		.amdhsa_memory_ordered 1
		.amdhsa_forward_progress 1
		.amdhsa_inst_pref_size 19
		.amdhsa_round_robin_scheduling 0
		.amdhsa_exception_fp_ieee_invalid_op 0
		.amdhsa_exception_fp_denorm_src 0
		.amdhsa_exception_fp_ieee_div_zero 0
		.amdhsa_exception_fp_ieee_overflow 0
		.amdhsa_exception_fp_ieee_underflow 0
		.amdhsa_exception_fp_ieee_inexact 0
		.amdhsa_exception_int_div_zero 0
	.end_amdhsa_kernel
	.section	.text._ZN12_GLOBAL__N_127rocblas_gemm_batched_kernelIfLi16ELi16ELi64ELi64ELi4ELi64ELi4ELi4ELi64ELc78ELc78EKDF16_KffEEvlllT_PT11_llS5_llS3_PT12_llPT13_lli,"axG",@progbits,_ZN12_GLOBAL__N_127rocblas_gemm_batched_kernelIfLi16ELi16ELi64ELi64ELi4ELi64ELi4ELi4ELi64ELc78ELc78EKDF16_KffEEvlllT_PT11_llS5_llS3_PT12_llPT13_lli,comdat
.Lfunc_end390:
	.size	_ZN12_GLOBAL__N_127rocblas_gemm_batched_kernelIfLi16ELi16ELi64ELi64ELi4ELi64ELi4ELi4ELi64ELc78ELc78EKDF16_KffEEvlllT_PT11_llS5_llS3_PT12_llPT13_lli, .Lfunc_end390-_ZN12_GLOBAL__N_127rocblas_gemm_batched_kernelIfLi16ELi16ELi64ELi64ELi4ELi64ELi4ELi4ELi64ELc78ELc78EKDF16_KffEEvlllT_PT11_llS5_llS3_PT12_llPT13_lli
                                        ; -- End function
	.set _ZN12_GLOBAL__N_127rocblas_gemm_batched_kernelIfLi16ELi16ELi64ELi64ELi4ELi64ELi4ELi4ELi64ELc78ELc78EKDF16_KffEEvlllT_PT11_llS5_llS3_PT12_llPT13_lli.num_vgpr, 74
	.set _ZN12_GLOBAL__N_127rocblas_gemm_batched_kernelIfLi16ELi16ELi64ELi64ELi4ELi64ELi4ELi4ELi64ELc78ELc78EKDF16_KffEEvlllT_PT11_llS5_llS3_PT12_llPT13_lli.num_agpr, 0
	.set _ZN12_GLOBAL__N_127rocblas_gemm_batched_kernelIfLi16ELi16ELi64ELi64ELi4ELi64ELi4ELi4ELi64ELc78ELc78EKDF16_KffEEvlllT_PT11_llS5_llS3_PT12_llPT13_lli.numbered_sgpr, 36
	.set _ZN12_GLOBAL__N_127rocblas_gemm_batched_kernelIfLi16ELi16ELi64ELi64ELi4ELi64ELi4ELi4ELi64ELc78ELc78EKDF16_KffEEvlllT_PT11_llS5_llS3_PT12_llPT13_lli.num_named_barrier, 0
	.set _ZN12_GLOBAL__N_127rocblas_gemm_batched_kernelIfLi16ELi16ELi64ELi64ELi4ELi64ELi4ELi4ELi64ELc78ELc78EKDF16_KffEEvlllT_PT11_llS5_llS3_PT12_llPT13_lli.private_seg_size, 0
	.set _ZN12_GLOBAL__N_127rocblas_gemm_batched_kernelIfLi16ELi16ELi64ELi64ELi4ELi64ELi4ELi4ELi64ELc78ELc78EKDF16_KffEEvlllT_PT11_llS5_llS3_PT12_llPT13_lli.uses_vcc, 1
	.set _ZN12_GLOBAL__N_127rocblas_gemm_batched_kernelIfLi16ELi16ELi64ELi64ELi4ELi64ELi4ELi4ELi64ELc78ELc78EKDF16_KffEEvlllT_PT11_llS5_llS3_PT12_llPT13_lli.uses_flat_scratch, 0
	.set _ZN12_GLOBAL__N_127rocblas_gemm_batched_kernelIfLi16ELi16ELi64ELi64ELi4ELi64ELi4ELi4ELi64ELc78ELc78EKDF16_KffEEvlllT_PT11_llS5_llS3_PT12_llPT13_lli.has_dyn_sized_stack, 0
	.set _ZN12_GLOBAL__N_127rocblas_gemm_batched_kernelIfLi16ELi16ELi64ELi64ELi4ELi64ELi4ELi4ELi64ELc78ELc78EKDF16_KffEEvlllT_PT11_llS5_llS3_PT12_llPT13_lli.has_recursion, 0
	.set _ZN12_GLOBAL__N_127rocblas_gemm_batched_kernelIfLi16ELi16ELi64ELi64ELi4ELi64ELi4ELi4ELi64ELc78ELc78EKDF16_KffEEvlllT_PT11_llS5_llS3_PT12_llPT13_lli.has_indirect_call, 0
	.section	.AMDGPU.csdata,"",@progbits
; Kernel info:
; codeLenInByte = 2348
; TotalNumSgprs: 38
; NumVgprs: 74
; ScratchSize: 0
; MemoryBound: 0
; FloatMode: 240
; IeeeMode: 1
; LDSByteSize: 2048 bytes/workgroup (compile time only)
; SGPRBlocks: 0
; VGPRBlocks: 4
; NumSGPRsForWavesPerEU: 38
; NumVGPRsForWavesPerEU: 74
; NamedBarCnt: 0
; Occupancy: 12
; WaveLimiterHint : 0
; COMPUTE_PGM_RSRC2:SCRATCH_EN: 0
; COMPUTE_PGM_RSRC2:USER_SGPR: 2
; COMPUTE_PGM_RSRC2:TRAP_HANDLER: 0
; COMPUTE_PGM_RSRC2:TGID_X_EN: 1
; COMPUTE_PGM_RSRC2:TGID_Y_EN: 1
; COMPUTE_PGM_RSRC2:TGID_Z_EN: 1
; COMPUTE_PGM_RSRC2:TIDIG_COMP_CNT: 1
	.section	.text._ZN12_GLOBAL__N_127rocblas_gemm_batched_kernelIfLi16ELi16ELi64ELi64ELi4ELi64ELi4ELi4ELi64ELc84ELc78EKDF16_KffEEvlllT_PT11_llS5_llS3_PT12_llPT13_lli,"axG",@progbits,_ZN12_GLOBAL__N_127rocblas_gemm_batched_kernelIfLi16ELi16ELi64ELi64ELi4ELi64ELi4ELi4ELi64ELc84ELc78EKDF16_KffEEvlllT_PT11_llS5_llS3_PT12_llPT13_lli,comdat
	.globl	_ZN12_GLOBAL__N_127rocblas_gemm_batched_kernelIfLi16ELi16ELi64ELi64ELi4ELi64ELi4ELi4ELi64ELc84ELc78EKDF16_KffEEvlllT_PT11_llS5_llS3_PT12_llPT13_lli ; -- Begin function _ZN12_GLOBAL__N_127rocblas_gemm_batched_kernelIfLi16ELi16ELi64ELi64ELi4ELi64ELi4ELi4ELi64ELc84ELc78EKDF16_KffEEvlllT_PT11_llS5_llS3_PT12_llPT13_lli
	.p2align	8
	.type	_ZN12_GLOBAL__N_127rocblas_gemm_batched_kernelIfLi16ELi16ELi64ELi64ELi4ELi64ELi4ELi4ELi64ELc84ELc78EKDF16_KffEEvlllT_PT11_llS5_llS3_PT12_llPT13_lli,@function
_ZN12_GLOBAL__N_127rocblas_gemm_batched_kernelIfLi16ELi16ELi64ELi64ELi4ELi64ELi4ELi4ELi64ELc84ELc78EKDF16_KffEEvlllT_PT11_llS5_llS3_PT12_llPT13_lli: ; @_ZN12_GLOBAL__N_127rocblas_gemm_batched_kernelIfLi16ELi16ELi64ELi64ELi4ELi64ELi4ELi4ELi64ELc84ELc78EKDF16_KffEEvlllT_PT11_llS5_llS3_PT12_llPT13_lli
; %bb.0:
	s_load_b32 s31, s[0:1], 0x88
	s_bfe_u32 s2, ttmp6, 0x40014
	s_lshr_b32 s3, ttmp7, 16
	s_add_co_i32 s2, s2, 1
	s_bfe_u32 s4, ttmp6, 0x40008
	s_mul_i32 s2, s3, s2
	s_getreg_b32 s20, hwreg(HW_REG_IB_STS2, 6, 4)
	s_add_co_i32 s4, s4, s2
	s_cmp_eq_u32 s20, 0
	s_cselect_b32 s2, s3, s4
	s_mov_b32 s3, 0
	s_wait_kmcnt 0x0
	s_cmp_ge_i32 s2, s31
	s_cbranch_scc1 .LBB391_10
; %bb.1:
	v_bfe_u32 v2, v0, 10, 10
	v_and_b32_e32 v4, 0x3ff, v0
	s_bfe_u32 s22, ttmp6, 0x4000c
	s_bfe_u32 s28, ttmp6, 0x40010
	s_clause 0x2
	s_load_b256 s[12:19], s[0:1], 0x20
	s_load_b128 s[24:27], s[0:1], 0x40
	s_load_b256 s[4:11], s[0:1], 0x58
	v_dual_mov_b32 v3, 0 :: v_dual_lshlrev_b32 v16, 4, v2
	s_and_b32 s23, ttmp7, 0xffff
	s_add_co_i32 s22, s22, 1
	s_add_co_i32 s28, s28, 1
	s_delay_alu instid0(VALU_DEP_1)
	v_dual_add_nc_u32 v17, v16, v4 :: v_dual_mov_b32 v7, v3
	s_and_b32 s21, ttmp6, 15
	s_mul_i32 s22, ttmp9, s22
	s_mul_i32 s28, s23, s28
	s_bfe_u32 s29, ttmp6, 0x40004
	s_add_co_i32 s21, s21, s22
	s_add_co_i32 s29, s29, s28
	s_cmp_eq_u32 s20, 0
	v_lshrrev_b32_e32 v6, 2, v17
	s_cselect_b32 s20, s23, s29
	s_cselect_b32 s28, ttmp9, s21
	s_lshl_b32 s34, s20, 6
	s_mov_b32 s35, s3
	s_ashr_i32 s29, s28, 31
	v_add_nc_u64_e32 v[8:9], s[34:35], v[6:7]
	v_and_b32_e32 v7, 63, v17
	s_load_b128 s[20:23], s[0:1], 0x78
	s_lshl_b64 s[36:37], s[28:29], 6
	v_add_nc_u64_e32 v[12:13], s[34:35], v[2:3]
	s_delay_alu instid0(VALU_DEP_2)
	v_dual_mov_b32 v11, s37 :: v_dual_bitop2_b32 v10, s36, v7 bitop3:0x54
	s_wait_kmcnt 0x0
	v_mul_u64_e32 v[8:9], s[24:25], v[8:9]
	s_clause 0x1
	s_load_b32 s33, s[0:1], 0x50
	s_load_b96 s[28:30], s[0:1], 0x10
	v_dual_mov_b32 v5, v3 :: v_dual_bitop2_b32 v2, 3, v0 bitop3:0x40
	v_mul_u64_e32 v[10:11], s[14:15], v[10:11]
	v_mul_u64_e32 v[14:15], s[6:7], v[12:13]
	v_add_nc_u32_e32 v31, 0x400, v16
	s_delay_alu instid0(VALU_DEP_4) | instskip(SKIP_2) | instid1(VALU_DEP_3)
	v_dual_lshlrev_b32 v18, 2, v2 :: v_dual_lshlrev_b32 v30, 2, v4
	v_dual_lshlrev_b32 v2, 1, v2 :: v_dual_lshrrev_b32 v16, 6, v17
	v_lshlrev_b32_e32 v17, 2, v7
	v_lshl_or_b32 v18, v6, 4, v18
	v_mul_u64_e32 v[0:1], s[20:21], v[12:13]
	v_add_nc_u64_e32 v[12:13], s[36:37], v[4:5]
	s_delay_alu instid0(VALU_DEP_3)
	v_add_nc_u32_e32 v33, 0x400, v18
	s_wait_kmcnt 0x0
	s_cmp_eq_f32 s33, 0
	v_cmp_gt_i64_e64 s0, s[28:29], 0
	s_cselect_b32 s1, -1, 0
	s_lshl_b64 s[14:15], s[20:21], 4
	s_lshl_b64 s[20:21], s[6:7], 4
	;; [unrolled: 1-line block ×3, first 2 shown]
	v_cndmask_b32_e64 v19, 0, 1, s0
	v_lshl_add_u64 v[4:5], v[8:9], 1, v[2:3]
	v_lshlrev_b32_e32 v2, 1, v16
	v_lshlrev_b64_e32 v[8:9], 2, v[12:13]
	v_lshl_or_b32 v32, v16, 8, v17
	v_cmp_ne_u32_e64 s0, 1, v19
	v_add_nc_u64_e32 v[4:5], s[18:19], v[4:5]
	v_lshl_add_u64 v[6:7], v[10:11], 1, v[2:3]
	v_lshl_add_u64 v[2:3], v[14:15], 2, s[4:5]
	s_lshl_b64 s[4:5], s[26:27], 1
	s_delay_alu instid0(VALU_DEP_2)
	v_add_nc_u64_e32 v[6:7], s[12:13], v[6:7]
	s_lshl_b64 s[12:13], s[14:15], 2
	s_lshl_b64 s[14:15], s[20:21], 2
	s_branch .LBB391_3
.LBB391_2:                              ;   in Loop: Header=BB391_3 Depth=1
	s_add_co_i32 s2, s2, 0x10000
	s_delay_alu instid0(SALU_CYCLE_1)
	s_cmp_lt_i32 s2, s31
	s_cbranch_scc0 .LBB391_10
.LBB391_3:                              ; =>This Loop Header: Depth=1
                                        ;     Child Loop BB391_5 Depth 2
	v_dual_mov_b32 v25, 0 :: v_dual_mov_b32 v24, 0
	v_dual_mov_b32 v23, 0 :: v_dual_mov_b32 v22, 0
	;; [unrolled: 1-line block ×3, first 2 shown]
	s_wait_xcnt 0x6
	v_dual_mov_b32 v19, 0 :: v_dual_mov_b32 v18, 0
	s_wait_xcnt 0x1
	v_dual_mov_b32 v17, 0 :: v_dual_mov_b32 v16, 0
	;; [unrolled: 2-line block ×3, first 2 shown]
	v_dual_mov_b32 v13, 0 :: v_dual_mov_b32 v12, 0
	v_dual_mov_b32 v11, 0 :: v_dual_mov_b32 v10, 0
	s_and_b32 vcc_lo, exec_lo, s0
	s_cbranch_vccnz .LBB391_6
; %bb.4:                                ;   in Loop: Header=BB391_3 Depth=1
	v_mad_nc_u64_u32 v[26:27], s4, s2, v[4:5]
	v_mad_nc_u64_u32 v[28:29], s6, s2, v[6:7]
	v_mov_b32_e32 v10, 0
	s_mov_b64 s[16:17], 0
	s_delay_alu instid0(VALU_DEP_1)
	v_dual_mov_b32 v11, v10 :: v_dual_mov_b32 v12, v10
	v_dual_mov_b32 v13, v10 :: v_dual_mov_b32 v14, v10
	v_mad_u32 v27, s5, s2, v27
	v_mad_u32 v29, s7, s2, v29
	v_dual_mov_b32 v15, v10 :: v_dual_mov_b32 v16, v10
	v_dual_mov_b32 v17, v10 :: v_dual_mov_b32 v18, v10
	;; [unrolled: 1-line block ×5, first 2 shown]
	v_mov_b32_e32 v25, v10
.LBB391_5:                              ;   Parent Loop BB391_3 Depth=1
                                        ; =>  This Inner Loop Header: Depth=2
	global_load_u16 v34, v[28:29], off
	global_load_u16 v35, v[26:27], off
	s_add_nc_u64 s[16:17], s[16:17], 4
	s_wait_xcnt 0x0
	v_add_nc_u64_e32 v[26:27], 8, v[26:27]
	v_cmp_lt_i64_e64 s18, s[16:17], s[28:29]
	v_add_nc_u64_e32 v[28:29], 8, v[28:29]
	s_and_b32 vcc_lo, exec_lo, s18
	s_wait_loadcnt 0x1
	v_cvt_f32_f16_e32 v34, v34
	s_wait_loadcnt 0x0
	v_cvt_f32_f16_e32 v35, v35
	ds_store_b32 v32, v34
	ds_store_b32 v33, v35
	s_wait_dscnt 0x0
	s_barrier_signal -1
	s_barrier_wait -1
	ds_load_2addr_b32 v[50:51], v30 offset1:16
	ds_load_2addr_b32 v[52:53], v30 offset0:64 offset1:80
	ds_load_2addr_b32 v[54:55], v30 offset0:128 offset1:144
	ds_load_2addr_b32 v[56:57], v30 offset0:192 offset1:208
	ds_load_2addr_b32 v[58:59], v30 offset0:32 offset1:48
	ds_load_2addr_b32 v[60:61], v30 offset0:96 offset1:112
	ds_load_2addr_b32 v[62:63], v30 offset0:160 offset1:176
	ds_load_b128 v[34:37], v31
	ds_load_b128 v[38:41], v31 offset:256
	ds_load_2addr_b32 v[64:65], v30 offset0:224 offset1:240
	ds_load_b128 v[42:45], v31 offset:512
	ds_load_b128 v[46:49], v31 offset:768
	s_wait_dscnt 0x0
	s_barrier_signal -1
	s_barrier_wait -1
	v_dual_mov_b32 v66, v51 :: v_dual_mov_b32 v67, v50
	v_dual_mov_b32 v50, v53 :: v_dual_mov_b32 v51, v52
	;; [unrolled: 1-line block ×6, first 2 shown]
	v_pk_fma_f32 v[24:25], v[66:67], v[34:35], v[24:25] op_sel_hi:[1,0,1]
	v_pk_fma_f32 v[20:21], v[66:67], v[38:39], v[20:21] op_sel_hi:[1,0,1]
	s_delay_alu instid0(VALU_DEP_4)
	v_pk_fma_f32 v[22:23], v[56:57], v[34:35], v[22:23] op_sel_hi:[1,0,1]
	v_pk_fma_f32 v[16:17], v[66:67], v[42:43], v[16:17] op_sel_hi:[1,0,1]
	;; [unrolled: 1-line block ×6, first 2 shown]
	v_dual_mov_b32 v60, v63 :: v_dual_mov_b32 v61, v62
	v_pk_fma_f32 v[24:25], v[50:51], v[34:35], v[24:25] op_sel:[0,1,0]
	v_pk_fma_f32 v[22:23], v[58:59], v[34:35], v[22:23] op_sel:[0,1,0]
	;; [unrolled: 1-line block ×8, first 2 shown]
	v_dual_mov_b32 v62, v37 :: v_dual_mov_b32 v68, v65
	v_dual_mov_b32 v69, v64 :: v_dual_mov_b32 v64, v41
	;; [unrolled: 1-line block ×3, first 2 shown]
	v_pk_fma_f32 v[24:25], v[52:53], v[36:37], v[24:25] op_sel_hi:[1,0,1]
	v_pk_fma_f32 v[22:23], v[60:61], v[36:37], v[22:23] op_sel_hi:[1,0,1]
	;; [unrolled: 1-line block ×16, first 2 shown]
	s_cbranch_vccnz .LBB391_5
.LBB391_6:                              ;   in Loop: Header=BB391_3 Depth=1
	s_mul_u64 s[16:17], s[22:23], s[2:3]
	s_and_not1_b32 vcc_lo, exec_lo, s1
	s_lshl_b64 s[16:17], s[16:17], 2
	s_delay_alu instid0(SALU_CYCLE_1) | instskip(NEXT) | instid1(SALU_CYCLE_1)
	s_add_nc_u64 s[16:17], s[10:11], s[16:17]
	v_lshl_add_u64 v[26:27], v[0:1], 2, s[16:17]
	s_delay_alu instid0(VALU_DEP_1)
	v_add_nc_u64_e32 v[28:29], v[26:27], v[8:9]
	v_add_nc_u64_e32 v[26:27], s[12:13], v[26:27]
	s_cbranch_vccnz .LBB391_8
; %bb.7:                                ;   in Loop: Header=BB391_3 Depth=1
	v_dual_mul_f32 v36, s30, v25 :: v_dual_mul_f32 v37, s30, v24
	s_delay_alu instid0(VALU_DEP_2)
	v_add_nc_u64_e32 v[34:35], s[12:13], v[26:27]
	v_dual_mul_f32 v38, s30, v23 :: v_dual_mul_f32 v39, s30, v22
	s_clause 0x3
	global_store_b32 v[28:29], v36, off
	global_store_b32 v[28:29], v37, off offset:64
	global_store_b32 v[28:29], v38, off offset:128
	;; [unrolled: 1-line block ×3, first 2 shown]
	s_wait_xcnt 0x2
	v_add_nc_u64_e32 v[36:37], v[26:27], v[8:9]
	v_dual_mul_f32 v40, s30, v21 :: v_dual_mul_f32 v41, s30, v20
	s_wait_xcnt 0x0
	v_add_nc_u64_e32 v[38:39], v[34:35], v[8:9]
	v_add_nc_u64_e32 v[34:35], s[12:13], v[34:35]
	v_dual_mul_f32 v42, s30, v19 :: v_dual_mul_f32 v43, s30, v18
	s_clause 0x3
	global_store_b32 v[36:37], v40, off
	global_store_b32 v[36:37], v41, off offset:64
	global_store_b32 v[36:37], v42, off offset:128
	;; [unrolled: 1-line block ×3, first 2 shown]
	s_wait_xcnt 0x0
	v_dual_mul_f32 v36, s30, v17 :: v_dual_mul_f32 v37, s30, v16
	v_dual_mul_f32 v40, s30, v15 :: v_dual_mul_f32 v41, s30, v14
	v_add_nc_u64_e32 v[34:35], v[34:35], v[8:9]
	s_clause 0x3
	global_store_b32 v[38:39], v36, off
	global_store_b32 v[38:39], v37, off offset:64
	global_store_b32 v[38:39], v40, off offset:128
	;; [unrolled: 1-line block ×3, first 2 shown]
	s_wait_xcnt 0x2
	v_dual_mul_f32 v36, s30, v13 :: v_dual_mul_f32 v37, s30, v12
	s_wait_xcnt 0x0
	v_dual_mul_f32 v38, s30, v11 :: v_dual_mul_f32 v39, s30, v10
	s_clause 0x3
	global_store_b32 v[34:35], v36, off
	global_store_b32 v[34:35], v37, off offset:64
	global_store_b32 v[34:35], v38, off offset:128
	global_store_b32 v[34:35], v39, off offset:192
	s_cbranch_execnz .LBB391_2
	s_branch .LBB391_9
.LBB391_8:                              ;   in Loop: Header=BB391_3 Depth=1
.LBB391_9:                              ;   in Loop: Header=BB391_3 Depth=1
	s_mul_u64 s[16:17], s[8:9], s[2:3]
	s_wait_xcnt 0x0
	v_lshl_add_u64 v[34:35], s[16:17], 2, v[2:3]
	s_delay_alu instid0(VALU_DEP_1) | instskip(SKIP_3) | instid1(VALU_DEP_1)
	v_add_nc_u64_e32 v[36:37], v[34:35], v[8:9]
	global_load_b32 v38, v[36:37], off
	s_wait_loadcnt 0x0
	v_mul_f32_e32 v38, s33, v38
	v_fmac_f32_e32 v38, s30, v25
	global_store_b32 v[28:29], v38, off
	global_load_b32 v25, v[36:37], off offset:64
	s_wait_loadcnt 0x0
	v_mul_f32_e32 v25, s33, v25
	s_delay_alu instid0(VALU_DEP_1) | instskip(SKIP_4) | instid1(VALU_DEP_1)
	v_fmac_f32_e32 v25, s30, v24
	global_store_b32 v[28:29], v25, off offset:64
	global_load_b32 v24, v[36:37], off offset:128
	s_wait_loadcnt 0x0
	v_mul_f32_e32 v24, s33, v24
	v_fmac_f32_e32 v24, s30, v23
	global_store_b32 v[28:29], v24, off offset:128
	global_load_b32 v23, v[36:37], off offset:192
	s_wait_xcnt 0x1
	v_add_nc_u64_e32 v[24:25], s[14:15], v[34:35]
	s_delay_alu instid0(VALU_DEP_1) | instskip(SKIP_2) | instid1(VALU_DEP_1)
	v_add_nc_u64_e32 v[34:35], v[24:25], v[8:9]
	s_wait_loadcnt 0x0
	v_mul_f32_e32 v23, s33, v23
	v_fmac_f32_e32 v23, s30, v22
	global_store_b32 v[28:29], v23, off offset:192
	global_load_b32 v22, v[34:35], off
	s_wait_loadcnt 0x0
	s_wait_xcnt 0x1
	v_mul_f32_e32 v28, s33, v22
	v_add_nc_u64_e32 v[22:23], v[26:27], v[8:9]
	s_delay_alu instid0(VALU_DEP_2) | instskip(SKIP_4) | instid1(VALU_DEP_1)
	v_fmac_f32_e32 v28, s30, v21
	global_store_b32 v[22:23], v28, off
	global_load_b32 v21, v[34:35], off offset:64
	s_wait_loadcnt 0x0
	v_mul_f32_e32 v21, s33, v21
	v_fmac_f32_e32 v21, s30, v20
	global_store_b32 v[22:23], v21, off offset:64
	global_load_b32 v20, v[34:35], off offset:128
	s_wait_loadcnt 0x0
	v_mul_f32_e32 v20, s33, v20
	s_delay_alu instid0(VALU_DEP_1) | instskip(SKIP_4) | instid1(VALU_DEP_1)
	v_fmac_f32_e32 v20, s30, v19
	global_store_b32 v[22:23], v20, off offset:128
	global_load_b32 v19, v[34:35], off offset:192
	s_wait_xcnt 0x1
	v_add_nc_u64_e32 v[20:21], s[14:15], v[24:25]
	v_add_nc_u64_e32 v[24:25], v[20:21], v[8:9]
	s_wait_loadcnt 0x0
	v_mul_f32_e32 v19, s33, v19
	s_delay_alu instid0(VALU_DEP_1)
	v_fmac_f32_e32 v19, s30, v18
	global_store_b32 v[22:23], v19, off offset:192
	global_load_b32 v22, v[24:25], off
	v_add_nc_u64_e32 v[18:19], s[12:13], v[26:27]
	s_wait_loadcnt 0x0
	v_mul_f32_e32 v26, s33, v22
	s_delay_alu instid0(VALU_DEP_2) | instskip(NEXT) | instid1(VALU_DEP_2)
	v_add_nc_u64_e32 v[22:23], v[18:19], v[8:9]
	v_fmac_f32_e32 v26, s30, v17
	global_store_b32 v[22:23], v26, off
	global_load_b32 v17, v[24:25], off offset:64
	s_wait_loadcnt 0x0
	v_mul_f32_e32 v17, s33, v17
	s_delay_alu instid0(VALU_DEP_1) | instskip(SKIP_4) | instid1(VALU_DEP_1)
	v_fmac_f32_e32 v17, s30, v16
	global_store_b32 v[22:23], v17, off offset:64
	global_load_b32 v16, v[24:25], off offset:128
	s_wait_loadcnt 0x0
	v_mul_f32_e32 v16, s33, v16
	v_fmac_f32_e32 v16, s30, v15
	global_store_b32 v[22:23], v16, off offset:128
	global_load_b32 v15, v[24:25], off offset:192
	s_wait_xcnt 0x1
	v_add_nc_u64_e32 v[16:17], s[14:15], v[20:21]
	s_delay_alu instid0(VALU_DEP_1) | instskip(SKIP_2) | instid1(VALU_DEP_1)
	v_add_nc_u64_e32 v[16:17], v[16:17], v[8:9]
	s_wait_loadcnt 0x0
	v_mul_f32_e32 v15, s33, v15
	v_fmac_f32_e32 v15, s30, v14
	global_store_b32 v[22:23], v15, off offset:192
	global_load_b32 v20, v[16:17], off
	s_wait_xcnt 0x1
	v_add_nc_u64_e32 v[14:15], s[12:13], v[18:19]
	s_delay_alu instid0(VALU_DEP_1) | instskip(SKIP_2) | instid1(VALU_DEP_1)
	v_add_nc_u64_e32 v[14:15], v[14:15], v[8:9]
	s_wait_loadcnt 0x0
	v_mul_f32_e32 v18, s33, v20
	v_fmac_f32_e32 v18, s30, v13
	global_store_b32 v[14:15], v18, off
	global_load_b32 v13, v[16:17], off offset:64
	s_wait_loadcnt 0x0
	v_mul_f32_e32 v13, s33, v13
	s_delay_alu instid0(VALU_DEP_1) | instskip(SKIP_4) | instid1(VALU_DEP_1)
	v_fmac_f32_e32 v13, s30, v12
	global_store_b32 v[14:15], v13, off offset:64
	global_load_b32 v12, v[16:17], off offset:128
	s_wait_loadcnt 0x0
	v_mul_f32_e32 v12, s33, v12
	v_fmac_f32_e32 v12, s30, v11
	global_store_b32 v[14:15], v12, off offset:128
	global_load_b32 v11, v[16:17], off offset:192
	s_wait_loadcnt 0x0
	v_mul_f32_e32 v11, s33, v11
	s_delay_alu instid0(VALU_DEP_1)
	v_fmac_f32_e32 v11, s30, v10
	global_store_b32 v[14:15], v11, off offset:192
	s_branch .LBB391_2
.LBB391_10:
	s_sendmsg sendmsg(MSG_DEALLOC_VGPRS)
	s_endpgm
	.section	.rodata,"a",@progbits
	.p2align	6, 0x0
	.amdhsa_kernel _ZN12_GLOBAL__N_127rocblas_gemm_batched_kernelIfLi16ELi16ELi64ELi64ELi4ELi64ELi4ELi4ELi64ELc84ELc78EKDF16_KffEEvlllT_PT11_llS5_llS3_PT12_llPT13_lli
		.amdhsa_group_segment_fixed_size 2048
		.amdhsa_private_segment_fixed_size 0
		.amdhsa_kernarg_size 140
		.amdhsa_user_sgpr_count 2
		.amdhsa_user_sgpr_dispatch_ptr 0
		.amdhsa_user_sgpr_queue_ptr 0
		.amdhsa_user_sgpr_kernarg_segment_ptr 1
		.amdhsa_user_sgpr_dispatch_id 0
		.amdhsa_user_sgpr_kernarg_preload_length 0
		.amdhsa_user_sgpr_kernarg_preload_offset 0
		.amdhsa_user_sgpr_private_segment_size 0
		.amdhsa_wavefront_size32 1
		.amdhsa_uses_dynamic_stack 0
		.amdhsa_enable_private_segment 0
		.amdhsa_system_sgpr_workgroup_id_x 1
		.amdhsa_system_sgpr_workgroup_id_y 1
		.amdhsa_system_sgpr_workgroup_id_z 1
		.amdhsa_system_sgpr_workgroup_info 0
		.amdhsa_system_vgpr_workitem_id 1
		.amdhsa_next_free_vgpr 74
		.amdhsa_next_free_sgpr 38
		.amdhsa_named_barrier_count 0
		.amdhsa_reserve_vcc 1
		.amdhsa_float_round_mode_32 0
		.amdhsa_float_round_mode_16_64 0
		.amdhsa_float_denorm_mode_32 3
		.amdhsa_float_denorm_mode_16_64 3
		.amdhsa_fp16_overflow 0
		.amdhsa_memory_ordered 1
		.amdhsa_forward_progress 1
		.amdhsa_inst_pref_size 19
		.amdhsa_round_robin_scheduling 0
		.amdhsa_exception_fp_ieee_invalid_op 0
		.amdhsa_exception_fp_denorm_src 0
		.amdhsa_exception_fp_ieee_div_zero 0
		.amdhsa_exception_fp_ieee_overflow 0
		.amdhsa_exception_fp_ieee_underflow 0
		.amdhsa_exception_fp_ieee_inexact 0
		.amdhsa_exception_int_div_zero 0
	.end_amdhsa_kernel
	.section	.text._ZN12_GLOBAL__N_127rocblas_gemm_batched_kernelIfLi16ELi16ELi64ELi64ELi4ELi64ELi4ELi4ELi64ELc84ELc78EKDF16_KffEEvlllT_PT11_llS5_llS3_PT12_llPT13_lli,"axG",@progbits,_ZN12_GLOBAL__N_127rocblas_gemm_batched_kernelIfLi16ELi16ELi64ELi64ELi4ELi64ELi4ELi4ELi64ELc84ELc78EKDF16_KffEEvlllT_PT11_llS5_llS3_PT12_llPT13_lli,comdat
.Lfunc_end391:
	.size	_ZN12_GLOBAL__N_127rocblas_gemm_batched_kernelIfLi16ELi16ELi64ELi64ELi4ELi64ELi4ELi4ELi64ELc84ELc78EKDF16_KffEEvlllT_PT11_llS5_llS3_PT12_llPT13_lli, .Lfunc_end391-_ZN12_GLOBAL__N_127rocblas_gemm_batched_kernelIfLi16ELi16ELi64ELi64ELi4ELi64ELi4ELi4ELi64ELc84ELc78EKDF16_KffEEvlllT_PT11_llS5_llS3_PT12_llPT13_lli
                                        ; -- End function
	.set _ZN12_GLOBAL__N_127rocblas_gemm_batched_kernelIfLi16ELi16ELi64ELi64ELi4ELi64ELi4ELi4ELi64ELc84ELc78EKDF16_KffEEvlllT_PT11_llS5_llS3_PT12_llPT13_lli.num_vgpr, 74
	.set _ZN12_GLOBAL__N_127rocblas_gemm_batched_kernelIfLi16ELi16ELi64ELi64ELi4ELi64ELi4ELi4ELi64ELc84ELc78EKDF16_KffEEvlllT_PT11_llS5_llS3_PT12_llPT13_lli.num_agpr, 0
	.set _ZN12_GLOBAL__N_127rocblas_gemm_batched_kernelIfLi16ELi16ELi64ELi64ELi4ELi64ELi4ELi4ELi64ELc84ELc78EKDF16_KffEEvlllT_PT11_llS5_llS3_PT12_llPT13_lli.numbered_sgpr, 38
	.set _ZN12_GLOBAL__N_127rocblas_gemm_batched_kernelIfLi16ELi16ELi64ELi64ELi4ELi64ELi4ELi4ELi64ELc84ELc78EKDF16_KffEEvlllT_PT11_llS5_llS3_PT12_llPT13_lli.num_named_barrier, 0
	.set _ZN12_GLOBAL__N_127rocblas_gemm_batched_kernelIfLi16ELi16ELi64ELi64ELi4ELi64ELi4ELi4ELi64ELc84ELc78EKDF16_KffEEvlllT_PT11_llS5_llS3_PT12_llPT13_lli.private_seg_size, 0
	.set _ZN12_GLOBAL__N_127rocblas_gemm_batched_kernelIfLi16ELi16ELi64ELi64ELi4ELi64ELi4ELi4ELi64ELc84ELc78EKDF16_KffEEvlllT_PT11_llS5_llS3_PT12_llPT13_lli.uses_vcc, 1
	.set _ZN12_GLOBAL__N_127rocblas_gemm_batched_kernelIfLi16ELi16ELi64ELi64ELi4ELi64ELi4ELi4ELi64ELc84ELc78EKDF16_KffEEvlllT_PT11_llS5_llS3_PT12_llPT13_lli.uses_flat_scratch, 0
	.set _ZN12_GLOBAL__N_127rocblas_gemm_batched_kernelIfLi16ELi16ELi64ELi64ELi4ELi64ELi4ELi4ELi64ELc84ELc78EKDF16_KffEEvlllT_PT11_llS5_llS3_PT12_llPT13_lli.has_dyn_sized_stack, 0
	.set _ZN12_GLOBAL__N_127rocblas_gemm_batched_kernelIfLi16ELi16ELi64ELi64ELi4ELi64ELi4ELi4ELi64ELc84ELc78EKDF16_KffEEvlllT_PT11_llS5_llS3_PT12_llPT13_lli.has_recursion, 0
	.set _ZN12_GLOBAL__N_127rocblas_gemm_batched_kernelIfLi16ELi16ELi64ELi64ELi4ELi64ELi4ELi4ELi64ELc84ELc78EKDF16_KffEEvlllT_PT11_llS5_llS3_PT12_llPT13_lli.has_indirect_call, 0
	.section	.AMDGPU.csdata,"",@progbits
; Kernel info:
; codeLenInByte = 2348
; TotalNumSgprs: 40
; NumVgprs: 74
; ScratchSize: 0
; MemoryBound: 0
; FloatMode: 240
; IeeeMode: 1
; LDSByteSize: 2048 bytes/workgroup (compile time only)
; SGPRBlocks: 0
; VGPRBlocks: 4
; NumSGPRsForWavesPerEU: 40
; NumVGPRsForWavesPerEU: 74
; NamedBarCnt: 0
; Occupancy: 12
; WaveLimiterHint : 0
; COMPUTE_PGM_RSRC2:SCRATCH_EN: 0
; COMPUTE_PGM_RSRC2:USER_SGPR: 2
; COMPUTE_PGM_RSRC2:TRAP_HANDLER: 0
; COMPUTE_PGM_RSRC2:TGID_X_EN: 1
; COMPUTE_PGM_RSRC2:TGID_Y_EN: 1
; COMPUTE_PGM_RSRC2:TGID_Z_EN: 1
; COMPUTE_PGM_RSRC2:TIDIG_COMP_CNT: 1
	.section	.text._ZN12_GLOBAL__N_127rocblas_gemm_batched_kernelIfLi16ELi16ELi64ELi64ELi4ELi64ELi4ELi4ELi64ELc78ELc84EKDF16_KffEEvlllT_PT11_llS5_llS3_PT12_llPT13_lli,"axG",@progbits,_ZN12_GLOBAL__N_127rocblas_gemm_batched_kernelIfLi16ELi16ELi64ELi64ELi4ELi64ELi4ELi4ELi64ELc78ELc84EKDF16_KffEEvlllT_PT11_llS5_llS3_PT12_llPT13_lli,comdat
	.globl	_ZN12_GLOBAL__N_127rocblas_gemm_batched_kernelIfLi16ELi16ELi64ELi64ELi4ELi64ELi4ELi4ELi64ELc78ELc84EKDF16_KffEEvlllT_PT11_llS5_llS3_PT12_llPT13_lli ; -- Begin function _ZN12_GLOBAL__N_127rocblas_gemm_batched_kernelIfLi16ELi16ELi64ELi64ELi4ELi64ELi4ELi4ELi64ELc78ELc84EKDF16_KffEEvlllT_PT11_llS5_llS3_PT12_llPT13_lli
	.p2align	8
	.type	_ZN12_GLOBAL__N_127rocblas_gemm_batched_kernelIfLi16ELi16ELi64ELi64ELi4ELi64ELi4ELi4ELi64ELc78ELc84EKDF16_KffEEvlllT_PT11_llS5_llS3_PT12_llPT13_lli,@function
_ZN12_GLOBAL__N_127rocblas_gemm_batched_kernelIfLi16ELi16ELi64ELi64ELi4ELi64ELi4ELi4ELi64ELc78ELc84EKDF16_KffEEvlllT_PT11_llS5_llS3_PT12_llPT13_lli: ; @_ZN12_GLOBAL__N_127rocblas_gemm_batched_kernelIfLi16ELi16ELi64ELi64ELi4ELi64ELi4ELi4ELi64ELc78ELc84EKDF16_KffEEvlllT_PT11_llS5_llS3_PT12_llPT13_lli
; %bb.0:
	s_load_b32 s31, s[0:1], 0x88
	s_bfe_u32 s2, ttmp6, 0x40014
	s_lshr_b32 s3, ttmp7, 16
	s_add_co_i32 s2, s2, 1
	s_bfe_u32 s4, ttmp6, 0x40008
	s_mul_i32 s2, s3, s2
	s_getreg_b32 s20, hwreg(HW_REG_IB_STS2, 6, 4)
	s_add_co_i32 s4, s4, s2
	s_cmp_eq_u32 s20, 0
	s_cselect_b32 s2, s3, s4
	s_mov_b32 s3, 0
	s_wait_kmcnt 0x0
	s_cmp_ge_i32 s2, s31
	s_cbranch_scc1 .LBB392_10
; %bb.1:
	s_bfe_u32 s21, ttmp6, 0x4000c
	s_bfe_u32 s23, ttmp6, 0x40010
	s_clause 0x2
	s_load_b256 s[12:19], s[0:1], 0x20
	s_load_b128 s[24:27], s[0:1], 0x40
	s_load_b256 s[4:11], s[0:1], 0x58
	s_add_co_i32 s21, s21, 1
	s_and_b32 s28, ttmp7, 0xffff
	s_add_co_i32 s23, s23, 1
	s_and_b32 s22, ttmp6, 15
	s_mul_i32 s21, ttmp9, s21
	s_mul_i32 s23, s28, s23
	s_bfe_u32 s29, ttmp6, 0x40004
	s_add_co_i32 s22, s22, s21
	s_add_co_i32 s29, s29, s23
	s_cmp_eq_u32 s20, 0
	v_bfe_u32 v2, v0, 10, 10
	v_mov_b32_e32 v3, 0
	s_cselect_b32 s20, s28, s29
	s_cselect_b32 s28, ttmp9, s22
	s_lshl_b32 s34, s20, 6
	s_load_b128 s[20:23], s[0:1], 0x78
	s_mov_b32 s35, s3
	v_and_b32_e32 v4, 0x3ff, v0
	v_lshlrev_b32_e32 v16, 4, v2
	v_add_nc_u64_e32 v[6:7], s[34:35], v[2:3]
	v_mov_b32_e32 v9, v3
	s_ashr_i32 s29, s28, 31
	s_load_b32 s33, s[0:1], 0x50
	v_add_nc_u32_e32 v1, v16, v4
	v_and_b32_e32 v5, 3, v0
	s_lshl_b64 s[36:37], s[28:29], 6
	s_wait_kmcnt 0x0
	v_mul_u64_e32 v[10:11], s[6:7], v[6:7]
	s_load_b96 s[28:30], s[0:1], 0x10
	v_dual_lshrrev_b32 v8, 2, v1 :: v_dual_lshrrev_b32 v17, 6, v1
	v_dual_lshlrev_b32 v32, 2, v4 :: v_dual_bitop2_b32 v2, 63, v1 bitop3:0x40
	v_add_nc_u32_e32 v33, 0x400, v16
	s_delay_alu instid0(VALU_DEP_3) | instskip(NEXT) | instid1(VALU_DEP_4)
	v_mad_nc_u64_u32 v[12:13], s24, v5, v[8:9]
	v_mad_nc_u64_u32 v[14:15], s14, v17, s[36:37]
	v_mul_u64_e32 v[0:1], s[20:21], v[6:7]
	v_dual_lshlrev_b32 v9, 2, v5 :: v_dual_lshlrev_b32 v6, 2, v2
	s_delay_alu instid0(VALU_DEP_1) | instskip(NEXT) | instid1(VALU_DEP_2)
	v_lshl_or_b32 v7, v8, 4, v9
	v_lshl_or_b32 v30, v17, 8, v6
	s_cmp_eq_f32 s33, 0
	v_mad_u32 v13, s25, v5, v13
	v_mad_u32 v15, s15, v17, v15
	v_mov_b32_e32 v5, v3
	s_wait_kmcnt 0x0
	v_cmp_gt_i64_e64 s0, s[28:29], 0
	v_add_nc_u32_e32 v31, 0x400, v7
	s_cselect_b32 s1, -1, 0
	s_lshl_b64 s[20:21], s[20:21], 4
	v_add_nc_u64_e32 v[8:9], s[36:37], v[4:5]
	s_lshl_b64 s[14:15], s[14:15], 3
	v_add_nc_u64_e32 v[6:7], s[34:35], v[12:13]
	v_add_nc_u64_e32 v[12:13], v[14:15], v[2:3]
	s_lshl_b64 s[34:35], s[6:7], 4
	v_lshl_add_u64 v[2:3], v[10:11], 2, s[4:5]
	v_cndmask_b32_e64 v10, 0, 1, s0
	v_lshlrev_b64_e32 v[8:9], 2, v[8:9]
	s_lshl_b64 s[4:5], s[26:27], 1
	v_lshl_add_u64 v[4:5], v[6:7], 1, s[18:19]
	v_lshl_add_u64 v[6:7], v[12:13], 1, s[12:13]
	v_cmp_ne_u32_e64 s0, 1, v10
	s_lshl_b64 s[6:7], s[24:25], 3
	s_lshl_b64 s[12:13], s[16:17], 1
	;; [unrolled: 1-line block ×4, first 2 shown]
	s_branch .LBB392_3
.LBB392_2:                              ;   in Loop: Header=BB392_3 Depth=1
	s_add_co_i32 s2, s2, 0x10000
	s_delay_alu instid0(SALU_CYCLE_1)
	s_cmp_lt_i32 s2, s31
	s_cbranch_scc0 .LBB392_10
.LBB392_3:                              ; =>This Loop Header: Depth=1
                                        ;     Child Loop BB392_5 Depth 2
	v_dual_mov_b32 v25, 0 :: v_dual_mov_b32 v24, 0
	v_dual_mov_b32 v23, 0 :: v_dual_mov_b32 v22, 0
	;; [unrolled: 1-line block ×3, first 2 shown]
	s_wait_xcnt 0x6
	v_dual_mov_b32 v19, 0 :: v_dual_mov_b32 v18, 0
	s_wait_xcnt 0x1
	v_dual_mov_b32 v17, 0 :: v_dual_mov_b32 v16, 0
	;; [unrolled: 2-line block ×3, first 2 shown]
	v_dual_mov_b32 v13, 0 :: v_dual_mov_b32 v12, 0
	v_dual_mov_b32 v11, 0 :: v_dual_mov_b32 v10, 0
	s_and_b32 vcc_lo, exec_lo, s0
	s_cbranch_vccnz .LBB392_6
; %bb.4:                                ;   in Loop: Header=BB392_3 Depth=1
	v_mad_nc_u64_u32 v[26:27], s4, s2, v[4:5]
	v_mad_nc_u64_u32 v[28:29], s12, s2, v[6:7]
	v_mov_b32_e32 v10, 0
	s_mov_b64 s[20:21], 0
	s_delay_alu instid0(VALU_DEP_1)
	v_dual_mov_b32 v11, v10 :: v_dual_mov_b32 v12, v10
	v_dual_mov_b32 v13, v10 :: v_dual_mov_b32 v14, v10
	v_mad_u32 v27, s5, s2, v27
	v_mad_u32 v29, s13, s2, v29
	v_dual_mov_b32 v15, v10 :: v_dual_mov_b32 v16, v10
	v_dual_mov_b32 v17, v10 :: v_dual_mov_b32 v18, v10
	;; [unrolled: 1-line block ×5, first 2 shown]
	v_mov_b32_e32 v25, v10
.LBB392_5:                              ;   Parent Loop BB392_3 Depth=1
                                        ; =>  This Inner Loop Header: Depth=2
	global_load_u16 v34, v[28:29], off
	global_load_u16 v35, v[26:27], off
	s_add_nc_u64 s[20:21], s[20:21], 4
	s_wait_xcnt 0x0
	v_add_nc_u64_e32 v[26:27], s[6:7], v[26:27]
	v_cmp_lt_i64_e64 s24, s[20:21], s[28:29]
	v_add_nc_u64_e32 v[28:29], s[14:15], v[28:29]
	s_and_b32 vcc_lo, exec_lo, s24
	s_wait_loadcnt 0x1
	v_cvt_f32_f16_e32 v34, v34
	s_wait_loadcnt 0x0
	v_cvt_f32_f16_e32 v35, v35
	ds_store_b32 v30, v34
	ds_store_b32 v31, v35
	s_wait_dscnt 0x0
	s_barrier_signal -1
	s_barrier_wait -1
	ds_load_2addr_b32 v[50:51], v32 offset1:16
	ds_load_2addr_b32 v[52:53], v32 offset0:64 offset1:80
	ds_load_2addr_b32 v[54:55], v32 offset0:128 offset1:144
	;; [unrolled: 1-line block ×6, first 2 shown]
	ds_load_b128 v[34:37], v33
	ds_load_b128 v[38:41], v33 offset:256
	ds_load_2addr_b32 v[64:65], v32 offset0:224 offset1:240
	ds_load_b128 v[42:45], v33 offset:512
	ds_load_b128 v[46:49], v33 offset:768
	s_wait_dscnt 0x0
	s_barrier_signal -1
	s_barrier_wait -1
	v_dual_mov_b32 v66, v51 :: v_dual_mov_b32 v67, v50
	v_dual_mov_b32 v50, v53 :: v_dual_mov_b32 v51, v52
	v_dual_mov_b32 v52, v55 :: v_dual_mov_b32 v53, v54
	v_dual_mov_b32 v54, v57 :: v_dual_mov_b32 v55, v56
	v_dual_mov_b32 v56, v59 :: v_dual_mov_b32 v57, v58
	v_dual_mov_b32 v58, v61 :: v_dual_mov_b32 v59, v60
	v_pk_fma_f32 v[24:25], v[66:67], v[34:35], v[24:25] op_sel_hi:[1,0,1]
	v_pk_fma_f32 v[20:21], v[66:67], v[38:39], v[20:21] op_sel_hi:[1,0,1]
	s_delay_alu instid0(VALU_DEP_4)
	v_pk_fma_f32 v[22:23], v[56:57], v[34:35], v[22:23] op_sel_hi:[1,0,1]
	v_pk_fma_f32 v[16:17], v[66:67], v[42:43], v[16:17] op_sel_hi:[1,0,1]
	;; [unrolled: 1-line block ×6, first 2 shown]
	v_dual_mov_b32 v60, v63 :: v_dual_mov_b32 v61, v62
	v_pk_fma_f32 v[24:25], v[50:51], v[34:35], v[24:25] op_sel:[0,1,0]
	v_pk_fma_f32 v[22:23], v[58:59], v[34:35], v[22:23] op_sel:[0,1,0]
	;; [unrolled: 1-line block ×8, first 2 shown]
	v_dual_mov_b32 v62, v37 :: v_dual_mov_b32 v68, v65
	v_dual_mov_b32 v69, v64 :: v_dual_mov_b32 v64, v41
	;; [unrolled: 1-line block ×3, first 2 shown]
	v_pk_fma_f32 v[24:25], v[52:53], v[36:37], v[24:25] op_sel_hi:[1,0,1]
	v_pk_fma_f32 v[22:23], v[60:61], v[36:37], v[22:23] op_sel_hi:[1,0,1]
	;; [unrolled: 1-line block ×16, first 2 shown]
	s_cbranch_vccnz .LBB392_5
.LBB392_6:                              ;   in Loop: Header=BB392_3 Depth=1
	s_mul_u64 s[20:21], s[22:23], s[2:3]
	s_and_not1_b32 vcc_lo, exec_lo, s1
	s_lshl_b64 s[20:21], s[20:21], 2
	s_delay_alu instid0(SALU_CYCLE_1) | instskip(NEXT) | instid1(SALU_CYCLE_1)
	s_add_nc_u64 s[20:21], s[10:11], s[20:21]
	v_lshl_add_u64 v[26:27], v[0:1], 2, s[20:21]
	s_delay_alu instid0(VALU_DEP_1)
	v_add_nc_u64_e32 v[28:29], v[26:27], v[8:9]
	v_add_nc_u64_e32 v[26:27], s[16:17], v[26:27]
	s_cbranch_vccnz .LBB392_8
; %bb.7:                                ;   in Loop: Header=BB392_3 Depth=1
	v_dual_mul_f32 v36, s30, v25 :: v_dual_mul_f32 v37, s30, v24
	s_delay_alu instid0(VALU_DEP_2)
	v_add_nc_u64_e32 v[34:35], s[16:17], v[26:27]
	v_dual_mul_f32 v38, s30, v23 :: v_dual_mul_f32 v39, s30, v22
	s_clause 0x3
	global_store_b32 v[28:29], v36, off
	global_store_b32 v[28:29], v37, off offset:64
	global_store_b32 v[28:29], v38, off offset:128
	global_store_b32 v[28:29], v39, off offset:192
	s_wait_xcnt 0x2
	v_add_nc_u64_e32 v[36:37], v[26:27], v[8:9]
	v_dual_mul_f32 v40, s30, v21 :: v_dual_mul_f32 v41, s30, v20
	s_wait_xcnt 0x0
	v_add_nc_u64_e32 v[38:39], v[34:35], v[8:9]
	v_add_nc_u64_e32 v[34:35], s[16:17], v[34:35]
	v_dual_mul_f32 v42, s30, v19 :: v_dual_mul_f32 v43, s30, v18
	s_clause 0x3
	global_store_b32 v[36:37], v40, off
	global_store_b32 v[36:37], v41, off offset:64
	global_store_b32 v[36:37], v42, off offset:128
	;; [unrolled: 1-line block ×3, first 2 shown]
	s_wait_xcnt 0x0
	v_dual_mul_f32 v36, s30, v17 :: v_dual_mul_f32 v37, s30, v16
	v_dual_mul_f32 v40, s30, v15 :: v_dual_mul_f32 v41, s30, v14
	v_add_nc_u64_e32 v[34:35], v[34:35], v[8:9]
	s_clause 0x3
	global_store_b32 v[38:39], v36, off
	global_store_b32 v[38:39], v37, off offset:64
	global_store_b32 v[38:39], v40, off offset:128
	;; [unrolled: 1-line block ×3, first 2 shown]
	s_wait_xcnt 0x2
	v_dual_mul_f32 v36, s30, v13 :: v_dual_mul_f32 v37, s30, v12
	s_wait_xcnt 0x0
	v_dual_mul_f32 v38, s30, v11 :: v_dual_mul_f32 v39, s30, v10
	s_clause 0x3
	global_store_b32 v[34:35], v36, off
	global_store_b32 v[34:35], v37, off offset:64
	global_store_b32 v[34:35], v38, off offset:128
	;; [unrolled: 1-line block ×3, first 2 shown]
	s_cbranch_execnz .LBB392_2
	s_branch .LBB392_9
.LBB392_8:                              ;   in Loop: Header=BB392_3 Depth=1
.LBB392_9:                              ;   in Loop: Header=BB392_3 Depth=1
	s_mul_u64 s[20:21], s[8:9], s[2:3]
	s_wait_xcnt 0x0
	v_lshl_add_u64 v[34:35], s[20:21], 2, v[2:3]
	s_delay_alu instid0(VALU_DEP_1) | instskip(SKIP_3) | instid1(VALU_DEP_1)
	v_add_nc_u64_e32 v[36:37], v[34:35], v[8:9]
	global_load_b32 v38, v[36:37], off
	s_wait_loadcnt 0x0
	v_mul_f32_e32 v38, s33, v38
	v_fmac_f32_e32 v38, s30, v25
	global_store_b32 v[28:29], v38, off
	global_load_b32 v25, v[36:37], off offset:64
	s_wait_loadcnt 0x0
	v_mul_f32_e32 v25, s33, v25
	s_delay_alu instid0(VALU_DEP_1) | instskip(SKIP_4) | instid1(VALU_DEP_1)
	v_fmac_f32_e32 v25, s30, v24
	global_store_b32 v[28:29], v25, off offset:64
	global_load_b32 v24, v[36:37], off offset:128
	s_wait_loadcnt 0x0
	v_mul_f32_e32 v24, s33, v24
	v_fmac_f32_e32 v24, s30, v23
	global_store_b32 v[28:29], v24, off offset:128
	global_load_b32 v23, v[36:37], off offset:192
	s_wait_xcnt 0x1
	v_add_nc_u64_e32 v[24:25], s[18:19], v[34:35]
	s_delay_alu instid0(VALU_DEP_1) | instskip(SKIP_2) | instid1(VALU_DEP_1)
	v_add_nc_u64_e32 v[34:35], v[24:25], v[8:9]
	s_wait_loadcnt 0x0
	v_mul_f32_e32 v23, s33, v23
	v_fmac_f32_e32 v23, s30, v22
	global_store_b32 v[28:29], v23, off offset:192
	global_load_b32 v22, v[34:35], off
	s_wait_loadcnt 0x0
	s_wait_xcnt 0x1
	v_mul_f32_e32 v28, s33, v22
	v_add_nc_u64_e32 v[22:23], v[26:27], v[8:9]
	s_delay_alu instid0(VALU_DEP_2) | instskip(SKIP_4) | instid1(VALU_DEP_1)
	v_fmac_f32_e32 v28, s30, v21
	global_store_b32 v[22:23], v28, off
	global_load_b32 v21, v[34:35], off offset:64
	s_wait_loadcnt 0x0
	v_mul_f32_e32 v21, s33, v21
	v_fmac_f32_e32 v21, s30, v20
	global_store_b32 v[22:23], v21, off offset:64
	global_load_b32 v20, v[34:35], off offset:128
	s_wait_loadcnt 0x0
	v_mul_f32_e32 v20, s33, v20
	s_delay_alu instid0(VALU_DEP_1) | instskip(SKIP_4) | instid1(VALU_DEP_1)
	v_fmac_f32_e32 v20, s30, v19
	global_store_b32 v[22:23], v20, off offset:128
	global_load_b32 v19, v[34:35], off offset:192
	s_wait_xcnt 0x1
	v_add_nc_u64_e32 v[20:21], s[18:19], v[24:25]
	v_add_nc_u64_e32 v[24:25], v[20:21], v[8:9]
	s_wait_loadcnt 0x0
	v_mul_f32_e32 v19, s33, v19
	s_delay_alu instid0(VALU_DEP_1)
	v_fmac_f32_e32 v19, s30, v18
	global_store_b32 v[22:23], v19, off offset:192
	global_load_b32 v22, v[24:25], off
	v_add_nc_u64_e32 v[18:19], s[16:17], v[26:27]
	s_wait_loadcnt 0x0
	v_mul_f32_e32 v26, s33, v22
	s_delay_alu instid0(VALU_DEP_2) | instskip(NEXT) | instid1(VALU_DEP_2)
	v_add_nc_u64_e32 v[22:23], v[18:19], v[8:9]
	v_fmac_f32_e32 v26, s30, v17
	global_store_b32 v[22:23], v26, off
	global_load_b32 v17, v[24:25], off offset:64
	s_wait_loadcnt 0x0
	v_mul_f32_e32 v17, s33, v17
	s_delay_alu instid0(VALU_DEP_1) | instskip(SKIP_4) | instid1(VALU_DEP_1)
	v_fmac_f32_e32 v17, s30, v16
	global_store_b32 v[22:23], v17, off offset:64
	global_load_b32 v16, v[24:25], off offset:128
	s_wait_loadcnt 0x0
	v_mul_f32_e32 v16, s33, v16
	v_fmac_f32_e32 v16, s30, v15
	global_store_b32 v[22:23], v16, off offset:128
	global_load_b32 v15, v[24:25], off offset:192
	s_wait_xcnt 0x1
	v_add_nc_u64_e32 v[16:17], s[18:19], v[20:21]
	s_delay_alu instid0(VALU_DEP_1) | instskip(SKIP_2) | instid1(VALU_DEP_1)
	v_add_nc_u64_e32 v[16:17], v[16:17], v[8:9]
	s_wait_loadcnt 0x0
	v_mul_f32_e32 v15, s33, v15
	v_fmac_f32_e32 v15, s30, v14
	global_store_b32 v[22:23], v15, off offset:192
	global_load_b32 v20, v[16:17], off
	s_wait_xcnt 0x1
	v_add_nc_u64_e32 v[14:15], s[16:17], v[18:19]
	s_delay_alu instid0(VALU_DEP_1) | instskip(SKIP_2) | instid1(VALU_DEP_1)
	v_add_nc_u64_e32 v[14:15], v[14:15], v[8:9]
	s_wait_loadcnt 0x0
	v_mul_f32_e32 v18, s33, v20
	v_fmac_f32_e32 v18, s30, v13
	global_store_b32 v[14:15], v18, off
	global_load_b32 v13, v[16:17], off offset:64
	s_wait_loadcnt 0x0
	v_mul_f32_e32 v13, s33, v13
	s_delay_alu instid0(VALU_DEP_1) | instskip(SKIP_4) | instid1(VALU_DEP_1)
	v_fmac_f32_e32 v13, s30, v12
	global_store_b32 v[14:15], v13, off offset:64
	global_load_b32 v12, v[16:17], off offset:128
	s_wait_loadcnt 0x0
	v_mul_f32_e32 v12, s33, v12
	v_fmac_f32_e32 v12, s30, v11
	global_store_b32 v[14:15], v12, off offset:128
	global_load_b32 v11, v[16:17], off offset:192
	s_wait_loadcnt 0x0
	v_mul_f32_e32 v11, s33, v11
	s_delay_alu instid0(VALU_DEP_1)
	v_fmac_f32_e32 v11, s30, v10
	global_store_b32 v[14:15], v11, off offset:192
	s_branch .LBB392_2
.LBB392_10:
	s_sendmsg sendmsg(MSG_DEALLOC_VGPRS)
	s_endpgm
	.section	.rodata,"a",@progbits
	.p2align	6, 0x0
	.amdhsa_kernel _ZN12_GLOBAL__N_127rocblas_gemm_batched_kernelIfLi16ELi16ELi64ELi64ELi4ELi64ELi4ELi4ELi64ELc78ELc84EKDF16_KffEEvlllT_PT11_llS5_llS3_PT12_llPT13_lli
		.amdhsa_group_segment_fixed_size 2048
		.amdhsa_private_segment_fixed_size 0
		.amdhsa_kernarg_size 140
		.amdhsa_user_sgpr_count 2
		.amdhsa_user_sgpr_dispatch_ptr 0
		.amdhsa_user_sgpr_queue_ptr 0
		.amdhsa_user_sgpr_kernarg_segment_ptr 1
		.amdhsa_user_sgpr_dispatch_id 0
		.amdhsa_user_sgpr_kernarg_preload_length 0
		.amdhsa_user_sgpr_kernarg_preload_offset 0
		.amdhsa_user_sgpr_private_segment_size 0
		.amdhsa_wavefront_size32 1
		.amdhsa_uses_dynamic_stack 0
		.amdhsa_enable_private_segment 0
		.amdhsa_system_sgpr_workgroup_id_x 1
		.amdhsa_system_sgpr_workgroup_id_y 1
		.amdhsa_system_sgpr_workgroup_id_z 1
		.amdhsa_system_sgpr_workgroup_info 0
		.amdhsa_system_vgpr_workitem_id 1
		.amdhsa_next_free_vgpr 74
		.amdhsa_next_free_sgpr 38
		.amdhsa_named_barrier_count 0
		.amdhsa_reserve_vcc 1
		.amdhsa_float_round_mode_32 0
		.amdhsa_float_round_mode_16_64 0
		.amdhsa_float_denorm_mode_32 3
		.amdhsa_float_denorm_mode_16_64 3
		.amdhsa_fp16_overflow 0
		.amdhsa_memory_ordered 1
		.amdhsa_forward_progress 1
		.amdhsa_inst_pref_size 19
		.amdhsa_round_robin_scheduling 0
		.amdhsa_exception_fp_ieee_invalid_op 0
		.amdhsa_exception_fp_denorm_src 0
		.amdhsa_exception_fp_ieee_div_zero 0
		.amdhsa_exception_fp_ieee_overflow 0
		.amdhsa_exception_fp_ieee_underflow 0
		.amdhsa_exception_fp_ieee_inexact 0
		.amdhsa_exception_int_div_zero 0
	.end_amdhsa_kernel
	.section	.text._ZN12_GLOBAL__N_127rocblas_gemm_batched_kernelIfLi16ELi16ELi64ELi64ELi4ELi64ELi4ELi4ELi64ELc78ELc84EKDF16_KffEEvlllT_PT11_llS5_llS3_PT12_llPT13_lli,"axG",@progbits,_ZN12_GLOBAL__N_127rocblas_gemm_batched_kernelIfLi16ELi16ELi64ELi64ELi4ELi64ELi4ELi4ELi64ELc78ELc84EKDF16_KffEEvlllT_PT11_llS5_llS3_PT12_llPT13_lli,comdat
.Lfunc_end392:
	.size	_ZN12_GLOBAL__N_127rocblas_gemm_batched_kernelIfLi16ELi16ELi64ELi64ELi4ELi64ELi4ELi4ELi64ELc78ELc84EKDF16_KffEEvlllT_PT11_llS5_llS3_PT12_llPT13_lli, .Lfunc_end392-_ZN12_GLOBAL__N_127rocblas_gemm_batched_kernelIfLi16ELi16ELi64ELi64ELi4ELi64ELi4ELi4ELi64ELc78ELc84EKDF16_KffEEvlllT_PT11_llS5_llS3_PT12_llPT13_lli
                                        ; -- End function
	.set _ZN12_GLOBAL__N_127rocblas_gemm_batched_kernelIfLi16ELi16ELi64ELi64ELi4ELi64ELi4ELi4ELi64ELc78ELc84EKDF16_KffEEvlllT_PT11_llS5_llS3_PT12_llPT13_lli.num_vgpr, 74
	.set _ZN12_GLOBAL__N_127rocblas_gemm_batched_kernelIfLi16ELi16ELi64ELi64ELi4ELi64ELi4ELi4ELi64ELc78ELc84EKDF16_KffEEvlllT_PT11_llS5_llS3_PT12_llPT13_lli.num_agpr, 0
	.set _ZN12_GLOBAL__N_127rocblas_gemm_batched_kernelIfLi16ELi16ELi64ELi64ELi4ELi64ELi4ELi4ELi64ELc78ELc84EKDF16_KffEEvlllT_PT11_llS5_llS3_PT12_llPT13_lli.numbered_sgpr, 38
	.set _ZN12_GLOBAL__N_127rocblas_gemm_batched_kernelIfLi16ELi16ELi64ELi64ELi4ELi64ELi4ELi4ELi64ELc78ELc84EKDF16_KffEEvlllT_PT11_llS5_llS3_PT12_llPT13_lli.num_named_barrier, 0
	.set _ZN12_GLOBAL__N_127rocblas_gemm_batched_kernelIfLi16ELi16ELi64ELi64ELi4ELi64ELi4ELi4ELi64ELc78ELc84EKDF16_KffEEvlllT_PT11_llS5_llS3_PT12_llPT13_lli.private_seg_size, 0
	.set _ZN12_GLOBAL__N_127rocblas_gemm_batched_kernelIfLi16ELi16ELi64ELi64ELi4ELi64ELi4ELi4ELi64ELc78ELc84EKDF16_KffEEvlllT_PT11_llS5_llS3_PT12_llPT13_lli.uses_vcc, 1
	.set _ZN12_GLOBAL__N_127rocblas_gemm_batched_kernelIfLi16ELi16ELi64ELi64ELi4ELi64ELi4ELi4ELi64ELc78ELc84EKDF16_KffEEvlllT_PT11_llS5_llS3_PT12_llPT13_lli.uses_flat_scratch, 0
	.set _ZN12_GLOBAL__N_127rocblas_gemm_batched_kernelIfLi16ELi16ELi64ELi64ELi4ELi64ELi4ELi4ELi64ELc78ELc84EKDF16_KffEEvlllT_PT11_llS5_llS3_PT12_llPT13_lli.has_dyn_sized_stack, 0
	.set _ZN12_GLOBAL__N_127rocblas_gemm_batched_kernelIfLi16ELi16ELi64ELi64ELi4ELi64ELi4ELi4ELi64ELc78ELc84EKDF16_KffEEvlllT_PT11_llS5_llS3_PT12_llPT13_lli.has_recursion, 0
	.set _ZN12_GLOBAL__N_127rocblas_gemm_batched_kernelIfLi16ELi16ELi64ELi64ELi4ELi64ELi4ELi4ELi64ELc78ELc84EKDF16_KffEEvlllT_PT11_llS5_llS3_PT12_llPT13_lli.has_indirect_call, 0
	.section	.AMDGPU.csdata,"",@progbits
; Kernel info:
; codeLenInByte = 2336
; TotalNumSgprs: 40
; NumVgprs: 74
; ScratchSize: 0
; MemoryBound: 0
; FloatMode: 240
; IeeeMode: 1
; LDSByteSize: 2048 bytes/workgroup (compile time only)
; SGPRBlocks: 0
; VGPRBlocks: 4
; NumSGPRsForWavesPerEU: 40
; NumVGPRsForWavesPerEU: 74
; NamedBarCnt: 0
; Occupancy: 12
; WaveLimiterHint : 0
; COMPUTE_PGM_RSRC2:SCRATCH_EN: 0
; COMPUTE_PGM_RSRC2:USER_SGPR: 2
; COMPUTE_PGM_RSRC2:TRAP_HANDLER: 0
; COMPUTE_PGM_RSRC2:TGID_X_EN: 1
; COMPUTE_PGM_RSRC2:TGID_Y_EN: 1
; COMPUTE_PGM_RSRC2:TGID_Z_EN: 1
; COMPUTE_PGM_RSRC2:TIDIG_COMP_CNT: 1
	.section	.text._ZN12_GLOBAL__N_127rocblas_gemm_batched_kernelIfLi16ELi16ELi64ELi64ELi4ELi64ELi4ELi4ELi64ELc84ELc84EKDF16_KffEEvlllT_PT11_llS5_llS3_PT12_llPT13_lli,"axG",@progbits,_ZN12_GLOBAL__N_127rocblas_gemm_batched_kernelIfLi16ELi16ELi64ELi64ELi4ELi64ELi4ELi4ELi64ELc84ELc84EKDF16_KffEEvlllT_PT11_llS5_llS3_PT12_llPT13_lli,comdat
	.globl	_ZN12_GLOBAL__N_127rocblas_gemm_batched_kernelIfLi16ELi16ELi64ELi64ELi4ELi64ELi4ELi4ELi64ELc84ELc84EKDF16_KffEEvlllT_PT11_llS5_llS3_PT12_llPT13_lli ; -- Begin function _ZN12_GLOBAL__N_127rocblas_gemm_batched_kernelIfLi16ELi16ELi64ELi64ELi4ELi64ELi4ELi4ELi64ELc84ELc84EKDF16_KffEEvlllT_PT11_llS5_llS3_PT12_llPT13_lli
	.p2align	8
	.type	_ZN12_GLOBAL__N_127rocblas_gemm_batched_kernelIfLi16ELi16ELi64ELi64ELi4ELi64ELi4ELi4ELi64ELc84ELc84EKDF16_KffEEvlllT_PT11_llS5_llS3_PT12_llPT13_lli,@function
_ZN12_GLOBAL__N_127rocblas_gemm_batched_kernelIfLi16ELi16ELi64ELi64ELi4ELi64ELi4ELi4ELi64ELc84ELc84EKDF16_KffEEvlllT_PT11_llS5_llS3_PT12_llPT13_lli: ; @_ZN12_GLOBAL__N_127rocblas_gemm_batched_kernelIfLi16ELi16ELi64ELi64ELi4ELi64ELi4ELi4ELi64ELc84ELc84EKDF16_KffEEvlllT_PT11_llS5_llS3_PT12_llPT13_lli
; %bb.0:
	s_load_b32 s31, s[0:1], 0x88
	s_bfe_u32 s2, ttmp6, 0x40014
	s_lshr_b32 s3, ttmp7, 16
	s_add_co_i32 s2, s2, 1
	s_bfe_u32 s4, ttmp6, 0x40008
	s_mul_i32 s2, s3, s2
	s_getreg_b32 s20, hwreg(HW_REG_IB_STS2, 6, 4)
	s_add_co_i32 s4, s4, s2
	s_cmp_eq_u32 s20, 0
	s_cselect_b32 s2, s3, s4
	s_mov_b32 s3, 0
	s_wait_kmcnt 0x0
	s_cmp_ge_i32 s2, s31
	s_cbranch_scc1 .LBB393_10
; %bb.1:
	s_bfe_u32 s21, ttmp6, 0x4000c
	s_bfe_u32 s23, ttmp6, 0x40010
	s_add_co_i32 s21, s21, 1
	s_and_b32 s28, ttmp7, 0xffff
	s_add_co_i32 s23, s23, 1
	v_bfe_u32 v4, v0, 10, 10
	s_and_b32 s22, ttmp6, 15
	s_mul_i32 s21, ttmp9, s21
	s_mul_i32 s23, s28, s23
	s_bfe_u32 s29, ttmp6, 0x40004
	s_add_co_i32 s22, s22, s21
	s_add_co_i32 s29, s29, s23
	s_cmp_eq_u32 s20, 0
	v_and_b32_e32 v2, 0x3ff, v0
	v_dual_mov_b32 v5, 0 :: v_dual_lshlrev_b32 v16, 4, v4
	s_cselect_b32 s20, ttmp9, s22
	s_clause 0x2
	s_load_b256 s[12:19], s[0:1], 0x20
	s_load_b128 s[24:27], s[0:1], 0x40
	s_load_b256 s[4:11], s[0:1], 0x58
	s_cselect_b32 s22, s28, s29
	s_ashr_i32 s21, s20, 31
	s_lshl_b32 s34, s22, 6
	s_lshl_b64 s[36:37], s[20:21], 6
	v_add_nc_u32_e32 v1, v16, v2
	s_load_b128 s[20:23], s[0:1], 0x78
	s_mov_b32 s35, s3
	v_mov_b32_e32 v9, s37
	v_add_nc_u64_e32 v[6:7], s[34:35], v[4:5]
	v_and_b32_e32 v3, 63, v1
	s_clause 0x1
	s_load_b32 s33, s[0:1], 0x50
	s_load_b96 s[28:30], s[0:1], 0x10
	v_add_nc_u32_e32 v33, 0x400, v16
	v_dual_lshlrev_b32 v32, 2, v2 :: v_dual_bitop2_b32 v8, s36, v3 bitop3:0x54
	v_dual_lshrrev_b32 v10, 2, v1 :: v_dual_bitop2_b32 v4, 3, v0 bitop3:0x40
	v_mov_b32_e32 v11, v5
	s_wait_kmcnt 0x0
	s_delay_alu instid0(VALU_DEP_3)
	v_mul_u64_e32 v[8:9], s[14:15], v[8:9]
	v_mul_u64_e32 v[12:13], s[6:7], v[6:7]
	v_lshlrev_b32_e32 v17, 2, v4
	v_mad_nc_u64_u32 v[14:15], s24, v4, v[10:11]
	v_lshrrev_b32_e32 v11, 6, v1
	v_mul_u64_e32 v[0:1], s[20:21], v[6:7]
	v_dual_mov_b32 v3, v5 :: v_dual_lshlrev_b32 v6, 2, v3
	s_cmp_eq_f32 s33, 0
	v_cmp_gt_i64_e64 s0, s[28:29], 0
	s_delay_alu instid0(VALU_DEP_2)
	v_lshl_or_b32 v30, v11, 8, v6
	v_mad_u32 v15, s25, v4, v15
	v_lshl_or_b32 v4, v10, 4, v17
	s_cselect_b32 s1, -1, 0
	s_lshl_b64 s[14:15], s[20:21], 4
	s_lshl_b64 s[20:21], s[6:7], 4
	s_lshl_b64 s[6:7], s[24:25], 3
	v_add_nc_u32_e32 v31, 0x400, v4
	v_lshlrev_b32_e32 v4, 1, v11
	v_add_nc_u64_e32 v[10:11], s[36:37], v[2:3]
	s_lshl_b64 s[14:15], s[14:15], 2
	v_add_nc_u64_e32 v[6:7], s[34:35], v[14:15]
	s_delay_alu instid0(VALU_DEP_3) | instskip(SKIP_2) | instid1(VALU_DEP_4)
	v_lshl_add_u64 v[8:9], v[8:9], 1, v[4:5]
	v_lshl_add_u64 v[2:3], v[12:13], 2, s[4:5]
	v_cndmask_b32_e64 v12, 0, 1, s0
	v_lshl_add_u64 v[4:5], v[6:7], 1, s[18:19]
	s_lshl_b64 s[4:5], s[26:27], 1
	v_add_nc_u64_e32 v[6:7], s[12:13], v[8:9]
	v_lshlrev_b64_e32 v[8:9], 2, v[10:11]
	v_cmp_ne_u32_e64 s0, 1, v12
	s_lshl_b64 s[12:13], s[16:17], 1
	s_lshl_b64 s[16:17], s[20:21], 2
	s_branch .LBB393_3
.LBB393_2:                              ;   in Loop: Header=BB393_3 Depth=1
	s_add_co_i32 s2, s2, 0x10000
	s_delay_alu instid0(SALU_CYCLE_1)
	s_cmp_lt_i32 s2, s31
	s_cbranch_scc0 .LBB393_10
.LBB393_3:                              ; =>This Loop Header: Depth=1
                                        ;     Child Loop BB393_5 Depth 2
	v_dual_mov_b32 v25, 0 :: v_dual_mov_b32 v24, 0
	v_dual_mov_b32 v23, 0 :: v_dual_mov_b32 v22, 0
	v_dual_mov_b32 v21, 0 :: v_dual_mov_b32 v20, 0
	s_wait_xcnt 0x6
	v_dual_mov_b32 v19, 0 :: v_dual_mov_b32 v18, 0
	s_wait_xcnt 0x1
	v_dual_mov_b32 v17, 0 :: v_dual_mov_b32 v16, 0
	;; [unrolled: 2-line block ×3, first 2 shown]
	v_dual_mov_b32 v13, 0 :: v_dual_mov_b32 v12, 0
	v_dual_mov_b32 v11, 0 :: v_dual_mov_b32 v10, 0
	s_and_b32 vcc_lo, exec_lo, s0
	s_cbranch_vccnz .LBB393_6
; %bb.4:                                ;   in Loop: Header=BB393_3 Depth=1
	v_mad_nc_u64_u32 v[26:27], s4, s2, v[4:5]
	v_mad_nc_u64_u32 v[28:29], s12, s2, v[6:7]
	v_mov_b32_e32 v10, 0
	s_mov_b64 s[18:19], 0
	s_delay_alu instid0(VALU_DEP_1)
	v_dual_mov_b32 v11, v10 :: v_dual_mov_b32 v12, v10
	v_dual_mov_b32 v13, v10 :: v_dual_mov_b32 v14, v10
	v_mad_u32 v27, s5, s2, v27
	v_mad_u32 v29, s13, s2, v29
	v_dual_mov_b32 v15, v10 :: v_dual_mov_b32 v16, v10
	v_dual_mov_b32 v17, v10 :: v_dual_mov_b32 v18, v10
	;; [unrolled: 1-line block ×5, first 2 shown]
	v_mov_b32_e32 v25, v10
.LBB393_5:                              ;   Parent Loop BB393_3 Depth=1
                                        ; =>  This Inner Loop Header: Depth=2
	global_load_u16 v34, v[28:29], off
	global_load_u16 v35, v[26:27], off
	s_add_nc_u64 s[18:19], s[18:19], 4
	s_wait_xcnt 0x0
	v_add_nc_u64_e32 v[26:27], s[6:7], v[26:27]
	v_cmp_lt_i64_e64 s20, s[18:19], s[28:29]
	v_add_nc_u64_e32 v[28:29], 8, v[28:29]
	s_and_b32 vcc_lo, exec_lo, s20
	s_wait_loadcnt 0x1
	v_cvt_f32_f16_e32 v34, v34
	s_wait_loadcnt 0x0
	v_cvt_f32_f16_e32 v35, v35
	ds_store_b32 v30, v34
	ds_store_b32 v31, v35
	s_wait_dscnt 0x0
	s_barrier_signal -1
	s_barrier_wait -1
	ds_load_2addr_b32 v[50:51], v32 offset1:16
	ds_load_2addr_b32 v[52:53], v32 offset0:64 offset1:80
	ds_load_2addr_b32 v[54:55], v32 offset0:128 offset1:144
	;; [unrolled: 1-line block ×6, first 2 shown]
	ds_load_b128 v[34:37], v33
	ds_load_b128 v[38:41], v33 offset:256
	ds_load_2addr_b32 v[64:65], v32 offset0:224 offset1:240
	ds_load_b128 v[42:45], v33 offset:512
	ds_load_b128 v[46:49], v33 offset:768
	s_wait_dscnt 0x0
	s_barrier_signal -1
	s_barrier_wait -1
	v_dual_mov_b32 v66, v51 :: v_dual_mov_b32 v67, v50
	v_dual_mov_b32 v50, v53 :: v_dual_mov_b32 v51, v52
	;; [unrolled: 1-line block ×6, first 2 shown]
	v_pk_fma_f32 v[24:25], v[66:67], v[34:35], v[24:25] op_sel_hi:[1,0,1]
	v_pk_fma_f32 v[20:21], v[66:67], v[38:39], v[20:21] op_sel_hi:[1,0,1]
	s_delay_alu instid0(VALU_DEP_4)
	v_pk_fma_f32 v[22:23], v[56:57], v[34:35], v[22:23] op_sel_hi:[1,0,1]
	v_pk_fma_f32 v[16:17], v[66:67], v[42:43], v[16:17] op_sel_hi:[1,0,1]
	;; [unrolled: 1-line block ×6, first 2 shown]
	v_dual_mov_b32 v60, v63 :: v_dual_mov_b32 v61, v62
	v_pk_fma_f32 v[24:25], v[50:51], v[34:35], v[24:25] op_sel:[0,1,0]
	v_pk_fma_f32 v[22:23], v[58:59], v[34:35], v[22:23] op_sel:[0,1,0]
	;; [unrolled: 1-line block ×8, first 2 shown]
	v_dual_mov_b32 v62, v37 :: v_dual_mov_b32 v68, v65
	v_dual_mov_b32 v69, v64 :: v_dual_mov_b32 v64, v41
	;; [unrolled: 1-line block ×3, first 2 shown]
	v_pk_fma_f32 v[24:25], v[52:53], v[36:37], v[24:25] op_sel_hi:[1,0,1]
	v_pk_fma_f32 v[22:23], v[60:61], v[36:37], v[22:23] op_sel_hi:[1,0,1]
	;; [unrolled: 1-line block ×16, first 2 shown]
	s_cbranch_vccnz .LBB393_5
.LBB393_6:                              ;   in Loop: Header=BB393_3 Depth=1
	s_mul_u64 s[18:19], s[22:23], s[2:3]
	s_and_not1_b32 vcc_lo, exec_lo, s1
	s_lshl_b64 s[18:19], s[18:19], 2
	s_delay_alu instid0(SALU_CYCLE_1) | instskip(NEXT) | instid1(SALU_CYCLE_1)
	s_add_nc_u64 s[18:19], s[10:11], s[18:19]
	v_lshl_add_u64 v[26:27], v[0:1], 2, s[18:19]
	s_delay_alu instid0(VALU_DEP_1)
	v_add_nc_u64_e32 v[28:29], v[26:27], v[8:9]
	v_add_nc_u64_e32 v[26:27], s[14:15], v[26:27]
	s_cbranch_vccnz .LBB393_8
; %bb.7:                                ;   in Loop: Header=BB393_3 Depth=1
	v_dual_mul_f32 v36, s30, v25 :: v_dual_mul_f32 v37, s30, v24
	s_delay_alu instid0(VALU_DEP_2)
	v_add_nc_u64_e32 v[34:35], s[14:15], v[26:27]
	v_dual_mul_f32 v38, s30, v23 :: v_dual_mul_f32 v39, s30, v22
	s_clause 0x3
	global_store_b32 v[28:29], v36, off
	global_store_b32 v[28:29], v37, off offset:64
	global_store_b32 v[28:29], v38, off offset:128
	;; [unrolled: 1-line block ×3, first 2 shown]
	s_wait_xcnt 0x2
	v_add_nc_u64_e32 v[36:37], v[26:27], v[8:9]
	v_dual_mul_f32 v40, s30, v21 :: v_dual_mul_f32 v41, s30, v20
	s_wait_xcnt 0x0
	v_add_nc_u64_e32 v[38:39], v[34:35], v[8:9]
	v_add_nc_u64_e32 v[34:35], s[14:15], v[34:35]
	v_dual_mul_f32 v42, s30, v19 :: v_dual_mul_f32 v43, s30, v18
	s_clause 0x3
	global_store_b32 v[36:37], v40, off
	global_store_b32 v[36:37], v41, off offset:64
	global_store_b32 v[36:37], v42, off offset:128
	;; [unrolled: 1-line block ×3, first 2 shown]
	s_wait_xcnt 0x0
	v_dual_mul_f32 v36, s30, v17 :: v_dual_mul_f32 v37, s30, v16
	v_dual_mul_f32 v40, s30, v15 :: v_dual_mul_f32 v41, s30, v14
	v_add_nc_u64_e32 v[34:35], v[34:35], v[8:9]
	s_clause 0x3
	global_store_b32 v[38:39], v36, off
	global_store_b32 v[38:39], v37, off offset:64
	global_store_b32 v[38:39], v40, off offset:128
	global_store_b32 v[38:39], v41, off offset:192
	s_wait_xcnt 0x2
	v_dual_mul_f32 v36, s30, v13 :: v_dual_mul_f32 v37, s30, v12
	s_wait_xcnt 0x0
	v_dual_mul_f32 v38, s30, v11 :: v_dual_mul_f32 v39, s30, v10
	s_clause 0x3
	global_store_b32 v[34:35], v36, off
	global_store_b32 v[34:35], v37, off offset:64
	global_store_b32 v[34:35], v38, off offset:128
	;; [unrolled: 1-line block ×3, first 2 shown]
	s_cbranch_execnz .LBB393_2
	s_branch .LBB393_9
.LBB393_8:                              ;   in Loop: Header=BB393_3 Depth=1
.LBB393_9:                              ;   in Loop: Header=BB393_3 Depth=1
	s_mul_u64 s[18:19], s[8:9], s[2:3]
	s_wait_xcnt 0x0
	v_lshl_add_u64 v[34:35], s[18:19], 2, v[2:3]
	s_delay_alu instid0(VALU_DEP_1) | instskip(SKIP_3) | instid1(VALU_DEP_1)
	v_add_nc_u64_e32 v[36:37], v[34:35], v[8:9]
	global_load_b32 v38, v[36:37], off
	s_wait_loadcnt 0x0
	v_mul_f32_e32 v38, s33, v38
	v_fmac_f32_e32 v38, s30, v25
	global_store_b32 v[28:29], v38, off
	global_load_b32 v25, v[36:37], off offset:64
	s_wait_loadcnt 0x0
	v_mul_f32_e32 v25, s33, v25
	s_delay_alu instid0(VALU_DEP_1) | instskip(SKIP_4) | instid1(VALU_DEP_1)
	v_fmac_f32_e32 v25, s30, v24
	global_store_b32 v[28:29], v25, off offset:64
	global_load_b32 v24, v[36:37], off offset:128
	s_wait_loadcnt 0x0
	v_mul_f32_e32 v24, s33, v24
	v_fmac_f32_e32 v24, s30, v23
	global_store_b32 v[28:29], v24, off offset:128
	global_load_b32 v23, v[36:37], off offset:192
	s_wait_xcnt 0x1
	v_add_nc_u64_e32 v[24:25], s[16:17], v[34:35]
	s_delay_alu instid0(VALU_DEP_1) | instskip(SKIP_2) | instid1(VALU_DEP_1)
	v_add_nc_u64_e32 v[34:35], v[24:25], v[8:9]
	s_wait_loadcnt 0x0
	v_mul_f32_e32 v23, s33, v23
	v_fmac_f32_e32 v23, s30, v22
	global_store_b32 v[28:29], v23, off offset:192
	global_load_b32 v22, v[34:35], off
	s_wait_loadcnt 0x0
	s_wait_xcnt 0x1
	v_mul_f32_e32 v28, s33, v22
	v_add_nc_u64_e32 v[22:23], v[26:27], v[8:9]
	s_delay_alu instid0(VALU_DEP_2) | instskip(SKIP_4) | instid1(VALU_DEP_1)
	v_fmac_f32_e32 v28, s30, v21
	global_store_b32 v[22:23], v28, off
	global_load_b32 v21, v[34:35], off offset:64
	s_wait_loadcnt 0x0
	v_mul_f32_e32 v21, s33, v21
	v_fmac_f32_e32 v21, s30, v20
	global_store_b32 v[22:23], v21, off offset:64
	global_load_b32 v20, v[34:35], off offset:128
	s_wait_loadcnt 0x0
	v_mul_f32_e32 v20, s33, v20
	s_delay_alu instid0(VALU_DEP_1) | instskip(SKIP_4) | instid1(VALU_DEP_1)
	v_fmac_f32_e32 v20, s30, v19
	global_store_b32 v[22:23], v20, off offset:128
	global_load_b32 v19, v[34:35], off offset:192
	s_wait_xcnt 0x1
	v_add_nc_u64_e32 v[20:21], s[16:17], v[24:25]
	v_add_nc_u64_e32 v[24:25], v[20:21], v[8:9]
	s_wait_loadcnt 0x0
	v_mul_f32_e32 v19, s33, v19
	s_delay_alu instid0(VALU_DEP_1)
	v_fmac_f32_e32 v19, s30, v18
	global_store_b32 v[22:23], v19, off offset:192
	global_load_b32 v22, v[24:25], off
	v_add_nc_u64_e32 v[18:19], s[14:15], v[26:27]
	s_wait_loadcnt 0x0
	v_mul_f32_e32 v26, s33, v22
	s_delay_alu instid0(VALU_DEP_2) | instskip(NEXT) | instid1(VALU_DEP_2)
	v_add_nc_u64_e32 v[22:23], v[18:19], v[8:9]
	v_fmac_f32_e32 v26, s30, v17
	global_store_b32 v[22:23], v26, off
	global_load_b32 v17, v[24:25], off offset:64
	s_wait_loadcnt 0x0
	v_mul_f32_e32 v17, s33, v17
	s_delay_alu instid0(VALU_DEP_1) | instskip(SKIP_4) | instid1(VALU_DEP_1)
	v_fmac_f32_e32 v17, s30, v16
	global_store_b32 v[22:23], v17, off offset:64
	global_load_b32 v16, v[24:25], off offset:128
	s_wait_loadcnt 0x0
	v_mul_f32_e32 v16, s33, v16
	v_fmac_f32_e32 v16, s30, v15
	global_store_b32 v[22:23], v16, off offset:128
	global_load_b32 v15, v[24:25], off offset:192
	s_wait_xcnt 0x1
	v_add_nc_u64_e32 v[16:17], s[16:17], v[20:21]
	s_delay_alu instid0(VALU_DEP_1) | instskip(SKIP_2) | instid1(VALU_DEP_1)
	v_add_nc_u64_e32 v[16:17], v[16:17], v[8:9]
	s_wait_loadcnt 0x0
	v_mul_f32_e32 v15, s33, v15
	v_fmac_f32_e32 v15, s30, v14
	global_store_b32 v[22:23], v15, off offset:192
	global_load_b32 v20, v[16:17], off
	s_wait_xcnt 0x1
	v_add_nc_u64_e32 v[14:15], s[14:15], v[18:19]
	s_delay_alu instid0(VALU_DEP_1) | instskip(SKIP_2) | instid1(VALU_DEP_1)
	v_add_nc_u64_e32 v[14:15], v[14:15], v[8:9]
	s_wait_loadcnt 0x0
	v_mul_f32_e32 v18, s33, v20
	v_fmac_f32_e32 v18, s30, v13
	global_store_b32 v[14:15], v18, off
	global_load_b32 v13, v[16:17], off offset:64
	s_wait_loadcnt 0x0
	v_mul_f32_e32 v13, s33, v13
	s_delay_alu instid0(VALU_DEP_1) | instskip(SKIP_4) | instid1(VALU_DEP_1)
	v_fmac_f32_e32 v13, s30, v12
	global_store_b32 v[14:15], v13, off offset:64
	global_load_b32 v12, v[16:17], off offset:128
	s_wait_loadcnt 0x0
	v_mul_f32_e32 v12, s33, v12
	v_fmac_f32_e32 v12, s30, v11
	global_store_b32 v[14:15], v12, off offset:128
	global_load_b32 v11, v[16:17], off offset:192
	s_wait_loadcnt 0x0
	v_mul_f32_e32 v11, s33, v11
	s_delay_alu instid0(VALU_DEP_1)
	v_fmac_f32_e32 v11, s30, v10
	global_store_b32 v[14:15], v11, off offset:192
	s_branch .LBB393_2
.LBB393_10:
	s_sendmsg sendmsg(MSG_DEALLOC_VGPRS)
	s_endpgm
	.section	.rodata,"a",@progbits
	.p2align	6, 0x0
	.amdhsa_kernel _ZN12_GLOBAL__N_127rocblas_gemm_batched_kernelIfLi16ELi16ELi64ELi64ELi4ELi64ELi4ELi4ELi64ELc84ELc84EKDF16_KffEEvlllT_PT11_llS5_llS3_PT12_llPT13_lli
		.amdhsa_group_segment_fixed_size 2048
		.amdhsa_private_segment_fixed_size 0
		.amdhsa_kernarg_size 140
		.amdhsa_user_sgpr_count 2
		.amdhsa_user_sgpr_dispatch_ptr 0
		.amdhsa_user_sgpr_queue_ptr 0
		.amdhsa_user_sgpr_kernarg_segment_ptr 1
		.amdhsa_user_sgpr_dispatch_id 0
		.amdhsa_user_sgpr_kernarg_preload_length 0
		.amdhsa_user_sgpr_kernarg_preload_offset 0
		.amdhsa_user_sgpr_private_segment_size 0
		.amdhsa_wavefront_size32 1
		.amdhsa_uses_dynamic_stack 0
		.amdhsa_enable_private_segment 0
		.amdhsa_system_sgpr_workgroup_id_x 1
		.amdhsa_system_sgpr_workgroup_id_y 1
		.amdhsa_system_sgpr_workgroup_id_z 1
		.amdhsa_system_sgpr_workgroup_info 0
		.amdhsa_system_vgpr_workitem_id 1
		.amdhsa_next_free_vgpr 74
		.amdhsa_next_free_sgpr 38
		.amdhsa_named_barrier_count 0
		.amdhsa_reserve_vcc 1
		.amdhsa_float_round_mode_32 0
		.amdhsa_float_round_mode_16_64 0
		.amdhsa_float_denorm_mode_32 3
		.amdhsa_float_denorm_mode_16_64 3
		.amdhsa_fp16_overflow 0
		.amdhsa_memory_ordered 1
		.amdhsa_forward_progress 1
		.amdhsa_inst_pref_size 19
		.amdhsa_round_robin_scheduling 0
		.amdhsa_exception_fp_ieee_invalid_op 0
		.amdhsa_exception_fp_denorm_src 0
		.amdhsa_exception_fp_ieee_div_zero 0
		.amdhsa_exception_fp_ieee_overflow 0
		.amdhsa_exception_fp_ieee_underflow 0
		.amdhsa_exception_fp_ieee_inexact 0
		.amdhsa_exception_int_div_zero 0
	.end_amdhsa_kernel
	.section	.text._ZN12_GLOBAL__N_127rocblas_gemm_batched_kernelIfLi16ELi16ELi64ELi64ELi4ELi64ELi4ELi4ELi64ELc84ELc84EKDF16_KffEEvlllT_PT11_llS5_llS3_PT12_llPT13_lli,"axG",@progbits,_ZN12_GLOBAL__N_127rocblas_gemm_batched_kernelIfLi16ELi16ELi64ELi64ELi4ELi64ELi4ELi4ELi64ELc84ELc84EKDF16_KffEEvlllT_PT11_llS5_llS3_PT12_llPT13_lli,comdat
.Lfunc_end393:
	.size	_ZN12_GLOBAL__N_127rocblas_gemm_batched_kernelIfLi16ELi16ELi64ELi64ELi4ELi64ELi4ELi4ELi64ELc84ELc84EKDF16_KffEEvlllT_PT11_llS5_llS3_PT12_llPT13_lli, .Lfunc_end393-_ZN12_GLOBAL__N_127rocblas_gemm_batched_kernelIfLi16ELi16ELi64ELi64ELi4ELi64ELi4ELi4ELi64ELc84ELc84EKDF16_KffEEvlllT_PT11_llS5_llS3_PT12_llPT13_lli
                                        ; -- End function
	.set _ZN12_GLOBAL__N_127rocblas_gemm_batched_kernelIfLi16ELi16ELi64ELi64ELi4ELi64ELi4ELi4ELi64ELc84ELc84EKDF16_KffEEvlllT_PT11_llS5_llS3_PT12_llPT13_lli.num_vgpr, 74
	.set _ZN12_GLOBAL__N_127rocblas_gemm_batched_kernelIfLi16ELi16ELi64ELi64ELi4ELi64ELi4ELi4ELi64ELc84ELc84EKDF16_KffEEvlllT_PT11_llS5_llS3_PT12_llPT13_lli.num_agpr, 0
	.set _ZN12_GLOBAL__N_127rocblas_gemm_batched_kernelIfLi16ELi16ELi64ELi64ELi4ELi64ELi4ELi4ELi64ELc84ELc84EKDF16_KffEEvlllT_PT11_llS5_llS3_PT12_llPT13_lli.numbered_sgpr, 38
	.set _ZN12_GLOBAL__N_127rocblas_gemm_batched_kernelIfLi16ELi16ELi64ELi64ELi4ELi64ELi4ELi4ELi64ELc84ELc84EKDF16_KffEEvlllT_PT11_llS5_llS3_PT12_llPT13_lli.num_named_barrier, 0
	.set _ZN12_GLOBAL__N_127rocblas_gemm_batched_kernelIfLi16ELi16ELi64ELi64ELi4ELi64ELi4ELi4ELi64ELc84ELc84EKDF16_KffEEvlllT_PT11_llS5_llS3_PT12_llPT13_lli.private_seg_size, 0
	.set _ZN12_GLOBAL__N_127rocblas_gemm_batched_kernelIfLi16ELi16ELi64ELi64ELi4ELi64ELi4ELi4ELi64ELc84ELc84EKDF16_KffEEvlllT_PT11_llS5_llS3_PT12_llPT13_lli.uses_vcc, 1
	.set _ZN12_GLOBAL__N_127rocblas_gemm_batched_kernelIfLi16ELi16ELi64ELi64ELi4ELi64ELi4ELi4ELi64ELc84ELc84EKDF16_KffEEvlllT_PT11_llS5_llS3_PT12_llPT13_lli.uses_flat_scratch, 0
	.set _ZN12_GLOBAL__N_127rocblas_gemm_batched_kernelIfLi16ELi16ELi64ELi64ELi4ELi64ELi4ELi4ELi64ELc84ELc84EKDF16_KffEEvlllT_PT11_llS5_llS3_PT12_llPT13_lli.has_dyn_sized_stack, 0
	.set _ZN12_GLOBAL__N_127rocblas_gemm_batched_kernelIfLi16ELi16ELi64ELi64ELi4ELi64ELi4ELi4ELi64ELc84ELc84EKDF16_KffEEvlllT_PT11_llS5_llS3_PT12_llPT13_lli.has_recursion, 0
	.set _ZN12_GLOBAL__N_127rocblas_gemm_batched_kernelIfLi16ELi16ELi64ELi64ELi4ELi64ELi4ELi4ELi64ELc84ELc84EKDF16_KffEEvlllT_PT11_llS5_llS3_PT12_llPT13_lli.has_indirect_call, 0
	.section	.AMDGPU.csdata,"",@progbits
; Kernel info:
; codeLenInByte = 2332
; TotalNumSgprs: 40
; NumVgprs: 74
; ScratchSize: 0
; MemoryBound: 0
; FloatMode: 240
; IeeeMode: 1
; LDSByteSize: 2048 bytes/workgroup (compile time only)
; SGPRBlocks: 0
; VGPRBlocks: 4
; NumSGPRsForWavesPerEU: 40
; NumVGPRsForWavesPerEU: 74
; NamedBarCnt: 0
; Occupancy: 12
; WaveLimiterHint : 0
; COMPUTE_PGM_RSRC2:SCRATCH_EN: 0
; COMPUTE_PGM_RSRC2:USER_SGPR: 2
; COMPUTE_PGM_RSRC2:TRAP_HANDLER: 0
; COMPUTE_PGM_RSRC2:TGID_X_EN: 1
; COMPUTE_PGM_RSRC2:TGID_Y_EN: 1
; COMPUTE_PGM_RSRC2:TGID_Z_EN: 1
; COMPUTE_PGM_RSRC2:TIDIG_COMP_CNT: 1
	.section	.text._ZN12_GLOBAL__N_127rocblas_gemm_batched_kernelIfLi16ELi16ELi64ELi64ELi4ELi64ELi4ELi4ELi64ELc67ELc67EKDF16_KffEEvlllT_PT11_llS5_llS3_PT12_llPT13_lli,"axG",@progbits,_ZN12_GLOBAL__N_127rocblas_gemm_batched_kernelIfLi16ELi16ELi64ELi64ELi4ELi64ELi4ELi4ELi64ELc67ELc67EKDF16_KffEEvlllT_PT11_llS5_llS3_PT12_llPT13_lli,comdat
	.globl	_ZN12_GLOBAL__N_127rocblas_gemm_batched_kernelIfLi16ELi16ELi64ELi64ELi4ELi64ELi4ELi4ELi64ELc67ELc67EKDF16_KffEEvlllT_PT11_llS5_llS3_PT12_llPT13_lli ; -- Begin function _ZN12_GLOBAL__N_127rocblas_gemm_batched_kernelIfLi16ELi16ELi64ELi64ELi4ELi64ELi4ELi4ELi64ELc67ELc67EKDF16_KffEEvlllT_PT11_llS5_llS3_PT12_llPT13_lli
	.p2align	8
	.type	_ZN12_GLOBAL__N_127rocblas_gemm_batched_kernelIfLi16ELi16ELi64ELi64ELi4ELi64ELi4ELi4ELi64ELc67ELc67EKDF16_KffEEvlllT_PT11_llS5_llS3_PT12_llPT13_lli,@function
_ZN12_GLOBAL__N_127rocblas_gemm_batched_kernelIfLi16ELi16ELi64ELi64ELi4ELi64ELi4ELi4ELi64ELc67ELc67EKDF16_KffEEvlllT_PT11_llS5_llS3_PT12_llPT13_lli: ; @_ZN12_GLOBAL__N_127rocblas_gemm_batched_kernelIfLi16ELi16ELi64ELi64ELi4ELi64ELi4ELi4ELi64ELc67ELc67EKDF16_KffEEvlllT_PT11_llS5_llS3_PT12_llPT13_lli
; %bb.0:
	s_load_b32 s31, s[0:1], 0x88
	s_bfe_u32 s2, ttmp6, 0x40014
	s_lshr_b32 s3, ttmp7, 16
	s_add_co_i32 s2, s2, 1
	s_bfe_u32 s4, ttmp6, 0x40008
	s_mul_i32 s2, s3, s2
	s_getreg_b32 s20, hwreg(HW_REG_IB_STS2, 6, 4)
	s_add_co_i32 s4, s4, s2
	s_cmp_eq_u32 s20, 0
	s_cselect_b32 s2, s3, s4
	s_mov_b32 s3, 0
	s_wait_kmcnt 0x0
	s_cmp_ge_i32 s2, s31
	s_cbranch_scc1 .LBB394_10
; %bb.1:
	s_bfe_u32 s21, ttmp6, 0x4000c
	s_bfe_u32 s23, ttmp6, 0x40010
	s_add_co_i32 s21, s21, 1
	s_and_b32 s28, ttmp7, 0xffff
	s_add_co_i32 s23, s23, 1
	v_bfe_u32 v4, v0, 10, 10
	s_and_b32 s22, ttmp6, 15
	s_mul_i32 s21, ttmp9, s21
	s_mul_i32 s23, s28, s23
	s_bfe_u32 s29, ttmp6, 0x40004
	s_add_co_i32 s22, s22, s21
	s_add_co_i32 s29, s29, s23
	s_cmp_eq_u32 s20, 0
	v_and_b32_e32 v2, 0x3ff, v0
	v_dual_mov_b32 v5, 0 :: v_dual_lshlrev_b32 v16, 4, v4
	s_cselect_b32 s20, ttmp9, s22
	s_clause 0x2
	s_load_b256 s[12:19], s[0:1], 0x20
	s_load_b128 s[24:27], s[0:1], 0x40
	s_load_b256 s[4:11], s[0:1], 0x58
	s_cselect_b32 s22, s28, s29
	s_ashr_i32 s21, s20, 31
	s_lshl_b32 s34, s22, 6
	s_lshl_b64 s[36:37], s[20:21], 6
	v_add_nc_u32_e32 v1, v16, v2
	s_load_b128 s[20:23], s[0:1], 0x78
	s_mov_b32 s35, s3
	v_mov_b32_e32 v9, s37
	v_add_nc_u64_e32 v[6:7], s[34:35], v[4:5]
	v_and_b32_e32 v3, 63, v1
	s_clause 0x1
	s_load_b32 s33, s[0:1], 0x50
	s_load_b96 s[28:30], s[0:1], 0x10
	v_add_nc_u32_e32 v33, 0x400, v16
	v_dual_lshlrev_b32 v32, 2, v2 :: v_dual_bitop2_b32 v8, s36, v3 bitop3:0x54
	v_dual_lshrrev_b32 v10, 2, v1 :: v_dual_bitop2_b32 v4, 3, v0 bitop3:0x40
	v_mov_b32_e32 v11, v5
	s_wait_kmcnt 0x0
	s_delay_alu instid0(VALU_DEP_3)
	v_mul_u64_e32 v[8:9], s[14:15], v[8:9]
	v_mul_u64_e32 v[12:13], s[6:7], v[6:7]
	v_lshlrev_b32_e32 v17, 2, v4
	v_mad_nc_u64_u32 v[14:15], s24, v4, v[10:11]
	v_lshrrev_b32_e32 v11, 6, v1
	v_mul_u64_e32 v[0:1], s[20:21], v[6:7]
	v_dual_mov_b32 v3, v5 :: v_dual_lshlrev_b32 v6, 2, v3
	s_cmp_eq_f32 s33, 0
	v_cmp_gt_i64_e64 s0, s[28:29], 0
	s_delay_alu instid0(VALU_DEP_2)
	v_lshl_or_b32 v30, v11, 8, v6
	v_mad_u32 v15, s25, v4, v15
	v_lshl_or_b32 v4, v10, 4, v17
	s_cselect_b32 s1, -1, 0
	s_lshl_b64 s[14:15], s[20:21], 4
	s_lshl_b64 s[20:21], s[6:7], 4
	;; [unrolled: 1-line block ×3, first 2 shown]
	v_add_nc_u32_e32 v31, 0x400, v4
	v_lshlrev_b32_e32 v4, 1, v11
	v_add_nc_u64_e32 v[10:11], s[36:37], v[2:3]
	s_lshl_b64 s[14:15], s[14:15], 2
	v_add_nc_u64_e32 v[6:7], s[34:35], v[14:15]
	s_delay_alu instid0(VALU_DEP_3) | instskip(SKIP_2) | instid1(VALU_DEP_4)
	v_lshl_add_u64 v[8:9], v[8:9], 1, v[4:5]
	v_lshl_add_u64 v[2:3], v[12:13], 2, s[4:5]
	v_cndmask_b32_e64 v12, 0, 1, s0
	v_lshl_add_u64 v[4:5], v[6:7], 1, s[18:19]
	s_lshl_b64 s[4:5], s[26:27], 1
	v_add_nc_u64_e32 v[6:7], s[12:13], v[8:9]
	v_lshlrev_b64_e32 v[8:9], 2, v[10:11]
	v_cmp_ne_u32_e64 s0, 1, v12
	s_lshl_b64 s[12:13], s[16:17], 1
	s_lshl_b64 s[16:17], s[20:21], 2
	s_branch .LBB394_3
.LBB394_2:                              ;   in Loop: Header=BB394_3 Depth=1
	s_add_co_i32 s2, s2, 0x10000
	s_delay_alu instid0(SALU_CYCLE_1)
	s_cmp_lt_i32 s2, s31
	s_cbranch_scc0 .LBB394_10
.LBB394_3:                              ; =>This Loop Header: Depth=1
                                        ;     Child Loop BB394_5 Depth 2
	v_dual_mov_b32 v25, 0 :: v_dual_mov_b32 v24, 0
	v_dual_mov_b32 v23, 0 :: v_dual_mov_b32 v22, 0
	;; [unrolled: 1-line block ×3, first 2 shown]
	s_wait_xcnt 0x6
	v_dual_mov_b32 v19, 0 :: v_dual_mov_b32 v18, 0
	s_wait_xcnt 0x1
	v_dual_mov_b32 v17, 0 :: v_dual_mov_b32 v16, 0
	s_wait_xcnt 0x0
	v_dual_mov_b32 v15, 0 :: v_dual_mov_b32 v14, 0
	v_dual_mov_b32 v13, 0 :: v_dual_mov_b32 v12, 0
	v_dual_mov_b32 v11, 0 :: v_dual_mov_b32 v10, 0
	s_and_b32 vcc_lo, exec_lo, s0
	s_cbranch_vccnz .LBB394_6
; %bb.4:                                ;   in Loop: Header=BB394_3 Depth=1
	v_mad_nc_u64_u32 v[26:27], s4, s2, v[4:5]
	v_mad_nc_u64_u32 v[28:29], s12, s2, v[6:7]
	v_mov_b32_e32 v10, 0
	s_mov_b64 s[18:19], 0
	s_delay_alu instid0(VALU_DEP_1)
	v_dual_mov_b32 v11, v10 :: v_dual_mov_b32 v12, v10
	v_dual_mov_b32 v13, v10 :: v_dual_mov_b32 v14, v10
	v_mad_u32 v27, s5, s2, v27
	v_mad_u32 v29, s13, s2, v29
	v_dual_mov_b32 v15, v10 :: v_dual_mov_b32 v16, v10
	v_dual_mov_b32 v17, v10 :: v_dual_mov_b32 v18, v10
	;; [unrolled: 1-line block ×5, first 2 shown]
	v_mov_b32_e32 v25, v10
.LBB394_5:                              ;   Parent Loop BB394_3 Depth=1
                                        ; =>  This Inner Loop Header: Depth=2
	global_load_u16 v34, v[28:29], off
	global_load_u16 v35, v[26:27], off
	s_add_nc_u64 s[18:19], s[18:19], 4
	s_wait_xcnt 0x0
	v_add_nc_u64_e32 v[26:27], s[6:7], v[26:27]
	v_cmp_lt_i64_e64 s20, s[18:19], s[28:29]
	v_add_nc_u64_e32 v[28:29], 8, v[28:29]
	s_and_b32 vcc_lo, exec_lo, s20
	s_wait_loadcnt 0x1
	v_cvt_f32_f16_e32 v34, v34
	s_wait_loadcnt 0x0
	v_cvt_f32_f16_e32 v35, v35
	ds_store_b32 v30, v34
	ds_store_b32 v31, v35
	s_wait_dscnt 0x0
	s_barrier_signal -1
	s_barrier_wait -1
	ds_load_2addr_b32 v[50:51], v32 offset1:16
	ds_load_2addr_b32 v[52:53], v32 offset0:64 offset1:80
	ds_load_2addr_b32 v[54:55], v32 offset0:128 offset1:144
	;; [unrolled: 1-line block ×6, first 2 shown]
	ds_load_b128 v[34:37], v33
	ds_load_b128 v[38:41], v33 offset:256
	ds_load_2addr_b32 v[64:65], v32 offset0:224 offset1:240
	ds_load_b128 v[42:45], v33 offset:512
	ds_load_b128 v[46:49], v33 offset:768
	s_wait_dscnt 0x0
	s_barrier_signal -1
	s_barrier_wait -1
	v_dual_mov_b32 v66, v51 :: v_dual_mov_b32 v67, v50
	v_dual_mov_b32 v50, v53 :: v_dual_mov_b32 v51, v52
	;; [unrolled: 1-line block ×6, first 2 shown]
	v_pk_fma_f32 v[24:25], v[66:67], v[34:35], v[24:25] op_sel_hi:[1,0,1]
	v_pk_fma_f32 v[20:21], v[66:67], v[38:39], v[20:21] op_sel_hi:[1,0,1]
	s_delay_alu instid0(VALU_DEP_4)
	v_pk_fma_f32 v[22:23], v[56:57], v[34:35], v[22:23] op_sel_hi:[1,0,1]
	v_pk_fma_f32 v[16:17], v[66:67], v[42:43], v[16:17] op_sel_hi:[1,0,1]
	;; [unrolled: 1-line block ×6, first 2 shown]
	v_dual_mov_b32 v60, v63 :: v_dual_mov_b32 v61, v62
	v_pk_fma_f32 v[24:25], v[50:51], v[34:35], v[24:25] op_sel:[0,1,0]
	v_pk_fma_f32 v[22:23], v[58:59], v[34:35], v[22:23] op_sel:[0,1,0]
	;; [unrolled: 1-line block ×8, first 2 shown]
	v_dual_mov_b32 v62, v37 :: v_dual_mov_b32 v68, v65
	v_dual_mov_b32 v69, v64 :: v_dual_mov_b32 v64, v41
	;; [unrolled: 1-line block ×3, first 2 shown]
	v_pk_fma_f32 v[24:25], v[52:53], v[36:37], v[24:25] op_sel_hi:[1,0,1]
	v_pk_fma_f32 v[22:23], v[60:61], v[36:37], v[22:23] op_sel_hi:[1,0,1]
	;; [unrolled: 1-line block ×16, first 2 shown]
	s_cbranch_vccnz .LBB394_5
.LBB394_6:                              ;   in Loop: Header=BB394_3 Depth=1
	s_mul_u64 s[18:19], s[22:23], s[2:3]
	s_and_not1_b32 vcc_lo, exec_lo, s1
	s_lshl_b64 s[18:19], s[18:19], 2
	s_delay_alu instid0(SALU_CYCLE_1) | instskip(NEXT) | instid1(SALU_CYCLE_1)
	s_add_nc_u64 s[18:19], s[10:11], s[18:19]
	v_lshl_add_u64 v[26:27], v[0:1], 2, s[18:19]
	s_delay_alu instid0(VALU_DEP_1)
	v_add_nc_u64_e32 v[28:29], v[26:27], v[8:9]
	v_add_nc_u64_e32 v[26:27], s[14:15], v[26:27]
	s_cbranch_vccnz .LBB394_8
; %bb.7:                                ;   in Loop: Header=BB394_3 Depth=1
	v_dual_mul_f32 v36, s30, v25 :: v_dual_mul_f32 v37, s30, v24
	s_delay_alu instid0(VALU_DEP_2)
	v_add_nc_u64_e32 v[34:35], s[14:15], v[26:27]
	v_dual_mul_f32 v38, s30, v23 :: v_dual_mul_f32 v39, s30, v22
	s_clause 0x3
	global_store_b32 v[28:29], v36, off
	global_store_b32 v[28:29], v37, off offset:64
	global_store_b32 v[28:29], v38, off offset:128
	;; [unrolled: 1-line block ×3, first 2 shown]
	s_wait_xcnt 0x2
	v_add_nc_u64_e32 v[36:37], v[26:27], v[8:9]
	v_dual_mul_f32 v40, s30, v21 :: v_dual_mul_f32 v41, s30, v20
	s_wait_xcnt 0x0
	v_add_nc_u64_e32 v[38:39], v[34:35], v[8:9]
	v_add_nc_u64_e32 v[34:35], s[14:15], v[34:35]
	v_dual_mul_f32 v42, s30, v19 :: v_dual_mul_f32 v43, s30, v18
	s_clause 0x3
	global_store_b32 v[36:37], v40, off
	global_store_b32 v[36:37], v41, off offset:64
	global_store_b32 v[36:37], v42, off offset:128
	;; [unrolled: 1-line block ×3, first 2 shown]
	s_wait_xcnt 0x0
	v_dual_mul_f32 v36, s30, v17 :: v_dual_mul_f32 v37, s30, v16
	v_dual_mul_f32 v40, s30, v15 :: v_dual_mul_f32 v41, s30, v14
	v_add_nc_u64_e32 v[34:35], v[34:35], v[8:9]
	s_clause 0x3
	global_store_b32 v[38:39], v36, off
	global_store_b32 v[38:39], v37, off offset:64
	global_store_b32 v[38:39], v40, off offset:128
	;; [unrolled: 1-line block ×3, first 2 shown]
	s_wait_xcnt 0x2
	v_dual_mul_f32 v36, s30, v13 :: v_dual_mul_f32 v37, s30, v12
	s_wait_xcnt 0x0
	v_dual_mul_f32 v38, s30, v11 :: v_dual_mul_f32 v39, s30, v10
	s_clause 0x3
	global_store_b32 v[34:35], v36, off
	global_store_b32 v[34:35], v37, off offset:64
	global_store_b32 v[34:35], v38, off offset:128
	;; [unrolled: 1-line block ×3, first 2 shown]
	s_cbranch_execnz .LBB394_2
	s_branch .LBB394_9
.LBB394_8:                              ;   in Loop: Header=BB394_3 Depth=1
.LBB394_9:                              ;   in Loop: Header=BB394_3 Depth=1
	s_mul_u64 s[18:19], s[8:9], s[2:3]
	s_wait_xcnt 0x0
	v_lshl_add_u64 v[34:35], s[18:19], 2, v[2:3]
	s_delay_alu instid0(VALU_DEP_1) | instskip(SKIP_3) | instid1(VALU_DEP_1)
	v_add_nc_u64_e32 v[36:37], v[34:35], v[8:9]
	global_load_b32 v38, v[36:37], off
	s_wait_loadcnt 0x0
	v_mul_f32_e32 v38, s33, v38
	v_fmac_f32_e32 v38, s30, v25
	global_store_b32 v[28:29], v38, off
	global_load_b32 v25, v[36:37], off offset:64
	s_wait_loadcnt 0x0
	v_mul_f32_e32 v25, s33, v25
	s_delay_alu instid0(VALU_DEP_1) | instskip(SKIP_4) | instid1(VALU_DEP_1)
	v_fmac_f32_e32 v25, s30, v24
	global_store_b32 v[28:29], v25, off offset:64
	global_load_b32 v24, v[36:37], off offset:128
	s_wait_loadcnt 0x0
	v_mul_f32_e32 v24, s33, v24
	v_fmac_f32_e32 v24, s30, v23
	global_store_b32 v[28:29], v24, off offset:128
	global_load_b32 v23, v[36:37], off offset:192
	s_wait_xcnt 0x1
	v_add_nc_u64_e32 v[24:25], s[16:17], v[34:35]
	s_delay_alu instid0(VALU_DEP_1) | instskip(SKIP_2) | instid1(VALU_DEP_1)
	v_add_nc_u64_e32 v[34:35], v[24:25], v[8:9]
	s_wait_loadcnt 0x0
	v_mul_f32_e32 v23, s33, v23
	v_fmac_f32_e32 v23, s30, v22
	global_store_b32 v[28:29], v23, off offset:192
	global_load_b32 v22, v[34:35], off
	s_wait_loadcnt 0x0
	s_wait_xcnt 0x1
	v_mul_f32_e32 v28, s33, v22
	v_add_nc_u64_e32 v[22:23], v[26:27], v[8:9]
	s_delay_alu instid0(VALU_DEP_2) | instskip(SKIP_4) | instid1(VALU_DEP_1)
	v_fmac_f32_e32 v28, s30, v21
	global_store_b32 v[22:23], v28, off
	global_load_b32 v21, v[34:35], off offset:64
	s_wait_loadcnt 0x0
	v_mul_f32_e32 v21, s33, v21
	v_fmac_f32_e32 v21, s30, v20
	global_store_b32 v[22:23], v21, off offset:64
	global_load_b32 v20, v[34:35], off offset:128
	s_wait_loadcnt 0x0
	v_mul_f32_e32 v20, s33, v20
	s_delay_alu instid0(VALU_DEP_1) | instskip(SKIP_4) | instid1(VALU_DEP_1)
	v_fmac_f32_e32 v20, s30, v19
	global_store_b32 v[22:23], v20, off offset:128
	global_load_b32 v19, v[34:35], off offset:192
	s_wait_xcnt 0x1
	v_add_nc_u64_e32 v[20:21], s[16:17], v[24:25]
	v_add_nc_u64_e32 v[24:25], v[20:21], v[8:9]
	s_wait_loadcnt 0x0
	v_mul_f32_e32 v19, s33, v19
	s_delay_alu instid0(VALU_DEP_1)
	v_fmac_f32_e32 v19, s30, v18
	global_store_b32 v[22:23], v19, off offset:192
	global_load_b32 v22, v[24:25], off
	v_add_nc_u64_e32 v[18:19], s[14:15], v[26:27]
	s_wait_loadcnt 0x0
	v_mul_f32_e32 v26, s33, v22
	s_delay_alu instid0(VALU_DEP_2) | instskip(NEXT) | instid1(VALU_DEP_2)
	v_add_nc_u64_e32 v[22:23], v[18:19], v[8:9]
	v_fmac_f32_e32 v26, s30, v17
	global_store_b32 v[22:23], v26, off
	global_load_b32 v17, v[24:25], off offset:64
	s_wait_loadcnt 0x0
	v_mul_f32_e32 v17, s33, v17
	s_delay_alu instid0(VALU_DEP_1) | instskip(SKIP_4) | instid1(VALU_DEP_1)
	v_fmac_f32_e32 v17, s30, v16
	global_store_b32 v[22:23], v17, off offset:64
	global_load_b32 v16, v[24:25], off offset:128
	s_wait_loadcnt 0x0
	v_mul_f32_e32 v16, s33, v16
	v_fmac_f32_e32 v16, s30, v15
	global_store_b32 v[22:23], v16, off offset:128
	global_load_b32 v15, v[24:25], off offset:192
	s_wait_xcnt 0x1
	v_add_nc_u64_e32 v[16:17], s[16:17], v[20:21]
	s_delay_alu instid0(VALU_DEP_1) | instskip(SKIP_2) | instid1(VALU_DEP_1)
	v_add_nc_u64_e32 v[16:17], v[16:17], v[8:9]
	s_wait_loadcnt 0x0
	v_mul_f32_e32 v15, s33, v15
	v_fmac_f32_e32 v15, s30, v14
	global_store_b32 v[22:23], v15, off offset:192
	global_load_b32 v20, v[16:17], off
	s_wait_xcnt 0x1
	v_add_nc_u64_e32 v[14:15], s[14:15], v[18:19]
	s_delay_alu instid0(VALU_DEP_1) | instskip(SKIP_2) | instid1(VALU_DEP_1)
	v_add_nc_u64_e32 v[14:15], v[14:15], v[8:9]
	s_wait_loadcnt 0x0
	v_mul_f32_e32 v18, s33, v20
	v_fmac_f32_e32 v18, s30, v13
	global_store_b32 v[14:15], v18, off
	global_load_b32 v13, v[16:17], off offset:64
	s_wait_loadcnt 0x0
	v_mul_f32_e32 v13, s33, v13
	s_delay_alu instid0(VALU_DEP_1) | instskip(SKIP_4) | instid1(VALU_DEP_1)
	v_fmac_f32_e32 v13, s30, v12
	global_store_b32 v[14:15], v13, off offset:64
	global_load_b32 v12, v[16:17], off offset:128
	s_wait_loadcnt 0x0
	v_mul_f32_e32 v12, s33, v12
	v_fmac_f32_e32 v12, s30, v11
	global_store_b32 v[14:15], v12, off offset:128
	global_load_b32 v11, v[16:17], off offset:192
	s_wait_loadcnt 0x0
	v_mul_f32_e32 v11, s33, v11
	s_delay_alu instid0(VALU_DEP_1)
	v_fmac_f32_e32 v11, s30, v10
	global_store_b32 v[14:15], v11, off offset:192
	s_branch .LBB394_2
.LBB394_10:
	s_sendmsg sendmsg(MSG_DEALLOC_VGPRS)
	s_endpgm
	.section	.rodata,"a",@progbits
	.p2align	6, 0x0
	.amdhsa_kernel _ZN12_GLOBAL__N_127rocblas_gemm_batched_kernelIfLi16ELi16ELi64ELi64ELi4ELi64ELi4ELi4ELi64ELc67ELc67EKDF16_KffEEvlllT_PT11_llS5_llS3_PT12_llPT13_lli
		.amdhsa_group_segment_fixed_size 2048
		.amdhsa_private_segment_fixed_size 0
		.amdhsa_kernarg_size 140
		.amdhsa_user_sgpr_count 2
		.amdhsa_user_sgpr_dispatch_ptr 0
		.amdhsa_user_sgpr_queue_ptr 0
		.amdhsa_user_sgpr_kernarg_segment_ptr 1
		.amdhsa_user_sgpr_dispatch_id 0
		.amdhsa_user_sgpr_kernarg_preload_length 0
		.amdhsa_user_sgpr_kernarg_preload_offset 0
		.amdhsa_user_sgpr_private_segment_size 0
		.amdhsa_wavefront_size32 1
		.amdhsa_uses_dynamic_stack 0
		.amdhsa_enable_private_segment 0
		.amdhsa_system_sgpr_workgroup_id_x 1
		.amdhsa_system_sgpr_workgroup_id_y 1
		.amdhsa_system_sgpr_workgroup_id_z 1
		.amdhsa_system_sgpr_workgroup_info 0
		.amdhsa_system_vgpr_workitem_id 1
		.amdhsa_next_free_vgpr 74
		.amdhsa_next_free_sgpr 38
		.amdhsa_named_barrier_count 0
		.amdhsa_reserve_vcc 1
		.amdhsa_float_round_mode_32 0
		.amdhsa_float_round_mode_16_64 0
		.amdhsa_float_denorm_mode_32 3
		.amdhsa_float_denorm_mode_16_64 3
		.amdhsa_fp16_overflow 0
		.amdhsa_memory_ordered 1
		.amdhsa_forward_progress 1
		.amdhsa_inst_pref_size 19
		.amdhsa_round_robin_scheduling 0
		.amdhsa_exception_fp_ieee_invalid_op 0
		.amdhsa_exception_fp_denorm_src 0
		.amdhsa_exception_fp_ieee_div_zero 0
		.amdhsa_exception_fp_ieee_overflow 0
		.amdhsa_exception_fp_ieee_underflow 0
		.amdhsa_exception_fp_ieee_inexact 0
		.amdhsa_exception_int_div_zero 0
	.end_amdhsa_kernel
	.section	.text._ZN12_GLOBAL__N_127rocblas_gemm_batched_kernelIfLi16ELi16ELi64ELi64ELi4ELi64ELi4ELi4ELi64ELc67ELc67EKDF16_KffEEvlllT_PT11_llS5_llS3_PT12_llPT13_lli,"axG",@progbits,_ZN12_GLOBAL__N_127rocblas_gemm_batched_kernelIfLi16ELi16ELi64ELi64ELi4ELi64ELi4ELi4ELi64ELc67ELc67EKDF16_KffEEvlllT_PT11_llS5_llS3_PT12_llPT13_lli,comdat
.Lfunc_end394:
	.size	_ZN12_GLOBAL__N_127rocblas_gemm_batched_kernelIfLi16ELi16ELi64ELi64ELi4ELi64ELi4ELi4ELi64ELc67ELc67EKDF16_KffEEvlllT_PT11_llS5_llS3_PT12_llPT13_lli, .Lfunc_end394-_ZN12_GLOBAL__N_127rocblas_gemm_batched_kernelIfLi16ELi16ELi64ELi64ELi4ELi64ELi4ELi4ELi64ELc67ELc67EKDF16_KffEEvlllT_PT11_llS5_llS3_PT12_llPT13_lli
                                        ; -- End function
	.set _ZN12_GLOBAL__N_127rocblas_gemm_batched_kernelIfLi16ELi16ELi64ELi64ELi4ELi64ELi4ELi4ELi64ELc67ELc67EKDF16_KffEEvlllT_PT11_llS5_llS3_PT12_llPT13_lli.num_vgpr, 74
	.set _ZN12_GLOBAL__N_127rocblas_gemm_batched_kernelIfLi16ELi16ELi64ELi64ELi4ELi64ELi4ELi4ELi64ELc67ELc67EKDF16_KffEEvlllT_PT11_llS5_llS3_PT12_llPT13_lli.num_agpr, 0
	.set _ZN12_GLOBAL__N_127rocblas_gemm_batched_kernelIfLi16ELi16ELi64ELi64ELi4ELi64ELi4ELi4ELi64ELc67ELc67EKDF16_KffEEvlllT_PT11_llS5_llS3_PT12_llPT13_lli.numbered_sgpr, 38
	.set _ZN12_GLOBAL__N_127rocblas_gemm_batched_kernelIfLi16ELi16ELi64ELi64ELi4ELi64ELi4ELi4ELi64ELc67ELc67EKDF16_KffEEvlllT_PT11_llS5_llS3_PT12_llPT13_lli.num_named_barrier, 0
	.set _ZN12_GLOBAL__N_127rocblas_gemm_batched_kernelIfLi16ELi16ELi64ELi64ELi4ELi64ELi4ELi4ELi64ELc67ELc67EKDF16_KffEEvlllT_PT11_llS5_llS3_PT12_llPT13_lli.private_seg_size, 0
	.set _ZN12_GLOBAL__N_127rocblas_gemm_batched_kernelIfLi16ELi16ELi64ELi64ELi4ELi64ELi4ELi4ELi64ELc67ELc67EKDF16_KffEEvlllT_PT11_llS5_llS3_PT12_llPT13_lli.uses_vcc, 1
	.set _ZN12_GLOBAL__N_127rocblas_gemm_batched_kernelIfLi16ELi16ELi64ELi64ELi4ELi64ELi4ELi4ELi64ELc67ELc67EKDF16_KffEEvlllT_PT11_llS5_llS3_PT12_llPT13_lli.uses_flat_scratch, 0
	.set _ZN12_GLOBAL__N_127rocblas_gemm_batched_kernelIfLi16ELi16ELi64ELi64ELi4ELi64ELi4ELi4ELi64ELc67ELc67EKDF16_KffEEvlllT_PT11_llS5_llS3_PT12_llPT13_lli.has_dyn_sized_stack, 0
	.set _ZN12_GLOBAL__N_127rocblas_gemm_batched_kernelIfLi16ELi16ELi64ELi64ELi4ELi64ELi4ELi4ELi64ELc67ELc67EKDF16_KffEEvlllT_PT11_llS5_llS3_PT12_llPT13_lli.has_recursion, 0
	.set _ZN12_GLOBAL__N_127rocblas_gemm_batched_kernelIfLi16ELi16ELi64ELi64ELi4ELi64ELi4ELi4ELi64ELc67ELc67EKDF16_KffEEvlllT_PT11_llS5_llS3_PT12_llPT13_lli.has_indirect_call, 0
	.section	.AMDGPU.csdata,"",@progbits
; Kernel info:
; codeLenInByte = 2332
; TotalNumSgprs: 40
; NumVgprs: 74
; ScratchSize: 0
; MemoryBound: 0
; FloatMode: 240
; IeeeMode: 1
; LDSByteSize: 2048 bytes/workgroup (compile time only)
; SGPRBlocks: 0
; VGPRBlocks: 4
; NumSGPRsForWavesPerEU: 40
; NumVGPRsForWavesPerEU: 74
; NamedBarCnt: 0
; Occupancy: 12
; WaveLimiterHint : 0
; COMPUTE_PGM_RSRC2:SCRATCH_EN: 0
; COMPUTE_PGM_RSRC2:USER_SGPR: 2
; COMPUTE_PGM_RSRC2:TRAP_HANDLER: 0
; COMPUTE_PGM_RSRC2:TGID_X_EN: 1
; COMPUTE_PGM_RSRC2:TGID_Y_EN: 1
; COMPUTE_PGM_RSRC2:TGID_Z_EN: 1
; COMPUTE_PGM_RSRC2:TIDIG_COMP_CNT: 1
	.section	.text._ZN12_GLOBAL__N_127rocblas_gemm_batched_kernelIfLi16ELi16ELi64ELi64ELi4ELi64ELi4ELi4ELi64ELc67ELc78EKDF16_KffEEvlllT_PT11_llS5_llS3_PT12_llPT13_lli,"axG",@progbits,_ZN12_GLOBAL__N_127rocblas_gemm_batched_kernelIfLi16ELi16ELi64ELi64ELi4ELi64ELi4ELi4ELi64ELc67ELc78EKDF16_KffEEvlllT_PT11_llS5_llS3_PT12_llPT13_lli,comdat
	.globl	_ZN12_GLOBAL__N_127rocblas_gemm_batched_kernelIfLi16ELi16ELi64ELi64ELi4ELi64ELi4ELi4ELi64ELc67ELc78EKDF16_KffEEvlllT_PT11_llS5_llS3_PT12_llPT13_lli ; -- Begin function _ZN12_GLOBAL__N_127rocblas_gemm_batched_kernelIfLi16ELi16ELi64ELi64ELi4ELi64ELi4ELi4ELi64ELc67ELc78EKDF16_KffEEvlllT_PT11_llS5_llS3_PT12_llPT13_lli
	.p2align	8
	.type	_ZN12_GLOBAL__N_127rocblas_gemm_batched_kernelIfLi16ELi16ELi64ELi64ELi4ELi64ELi4ELi4ELi64ELc67ELc78EKDF16_KffEEvlllT_PT11_llS5_llS3_PT12_llPT13_lli,@function
_ZN12_GLOBAL__N_127rocblas_gemm_batched_kernelIfLi16ELi16ELi64ELi64ELi4ELi64ELi4ELi4ELi64ELc67ELc78EKDF16_KffEEvlllT_PT11_llS5_llS3_PT12_llPT13_lli: ; @_ZN12_GLOBAL__N_127rocblas_gemm_batched_kernelIfLi16ELi16ELi64ELi64ELi4ELi64ELi4ELi4ELi64ELc67ELc78EKDF16_KffEEvlllT_PT11_llS5_llS3_PT12_llPT13_lli
; %bb.0:
	s_load_b32 s31, s[0:1], 0x88
	s_bfe_u32 s2, ttmp6, 0x40014
	s_lshr_b32 s3, ttmp7, 16
	s_add_co_i32 s2, s2, 1
	s_bfe_u32 s4, ttmp6, 0x40008
	s_mul_i32 s2, s3, s2
	s_getreg_b32 s20, hwreg(HW_REG_IB_STS2, 6, 4)
	s_add_co_i32 s4, s4, s2
	s_cmp_eq_u32 s20, 0
	s_cselect_b32 s2, s3, s4
	s_mov_b32 s3, 0
	s_wait_kmcnt 0x0
	s_cmp_ge_i32 s2, s31
	s_cbranch_scc1 .LBB395_10
; %bb.1:
	v_bfe_u32 v2, v0, 10, 10
	v_and_b32_e32 v4, 0x3ff, v0
	s_bfe_u32 s22, ttmp6, 0x4000c
	s_bfe_u32 s28, ttmp6, 0x40010
	s_clause 0x2
	s_load_b256 s[12:19], s[0:1], 0x20
	s_load_b128 s[24:27], s[0:1], 0x40
	s_load_b256 s[4:11], s[0:1], 0x58
	v_dual_mov_b32 v3, 0 :: v_dual_lshlrev_b32 v16, 4, v2
	s_and_b32 s23, ttmp7, 0xffff
	s_add_co_i32 s22, s22, 1
	s_add_co_i32 s28, s28, 1
	s_delay_alu instid0(VALU_DEP_1)
	v_dual_add_nc_u32 v17, v16, v4 :: v_dual_mov_b32 v7, v3
	s_and_b32 s21, ttmp6, 15
	s_mul_i32 s22, ttmp9, s22
	s_mul_i32 s28, s23, s28
	s_bfe_u32 s29, ttmp6, 0x40004
	s_add_co_i32 s21, s21, s22
	s_add_co_i32 s29, s29, s28
	s_cmp_eq_u32 s20, 0
	v_lshrrev_b32_e32 v6, 2, v17
	s_cselect_b32 s20, s23, s29
	s_cselect_b32 s28, ttmp9, s21
	s_lshl_b32 s34, s20, 6
	s_mov_b32 s35, s3
	s_ashr_i32 s29, s28, 31
	v_add_nc_u64_e32 v[8:9], s[34:35], v[6:7]
	v_and_b32_e32 v7, 63, v17
	s_load_b128 s[20:23], s[0:1], 0x78
	s_lshl_b64 s[36:37], s[28:29], 6
	v_add_nc_u64_e32 v[12:13], s[34:35], v[2:3]
	s_delay_alu instid0(VALU_DEP_2)
	v_dual_mov_b32 v11, s37 :: v_dual_bitop2_b32 v10, s36, v7 bitop3:0x54
	s_wait_kmcnt 0x0
	v_mul_u64_e32 v[8:9], s[24:25], v[8:9]
	s_clause 0x1
	s_load_b32 s33, s[0:1], 0x50
	s_load_b96 s[28:30], s[0:1], 0x10
	v_dual_mov_b32 v5, v3 :: v_dual_bitop2_b32 v2, 3, v0 bitop3:0x40
	v_mul_u64_e32 v[10:11], s[14:15], v[10:11]
	v_mul_u64_e32 v[14:15], s[6:7], v[12:13]
	v_add_nc_u32_e32 v31, 0x400, v16
	s_delay_alu instid0(VALU_DEP_4) | instskip(SKIP_2) | instid1(VALU_DEP_3)
	v_dual_lshlrev_b32 v18, 2, v2 :: v_dual_lshlrev_b32 v30, 2, v4
	v_dual_lshlrev_b32 v2, 1, v2 :: v_dual_lshrrev_b32 v16, 6, v17
	v_lshlrev_b32_e32 v17, 2, v7
	v_lshl_or_b32 v18, v6, 4, v18
	v_mul_u64_e32 v[0:1], s[20:21], v[12:13]
	v_add_nc_u64_e32 v[12:13], s[36:37], v[4:5]
	s_delay_alu instid0(VALU_DEP_3)
	v_add_nc_u32_e32 v33, 0x400, v18
	s_wait_kmcnt 0x0
	s_cmp_eq_f32 s33, 0
	v_cmp_gt_i64_e64 s0, s[28:29], 0
	s_cselect_b32 s1, -1, 0
	s_lshl_b64 s[14:15], s[20:21], 4
	s_lshl_b64 s[20:21], s[6:7], 4
	;; [unrolled: 1-line block ×3, first 2 shown]
	v_cndmask_b32_e64 v19, 0, 1, s0
	v_lshl_add_u64 v[4:5], v[8:9], 1, v[2:3]
	v_lshlrev_b32_e32 v2, 1, v16
	v_lshlrev_b64_e32 v[8:9], 2, v[12:13]
	v_lshl_or_b32 v32, v16, 8, v17
	v_cmp_ne_u32_e64 s0, 1, v19
	v_add_nc_u64_e32 v[4:5], s[18:19], v[4:5]
	v_lshl_add_u64 v[6:7], v[10:11], 1, v[2:3]
	v_lshl_add_u64 v[2:3], v[14:15], 2, s[4:5]
	s_lshl_b64 s[4:5], s[26:27], 1
	s_delay_alu instid0(VALU_DEP_2)
	v_add_nc_u64_e32 v[6:7], s[12:13], v[6:7]
	s_lshl_b64 s[12:13], s[14:15], 2
	s_lshl_b64 s[14:15], s[20:21], 2
	s_branch .LBB395_3
.LBB395_2:                              ;   in Loop: Header=BB395_3 Depth=1
	s_add_co_i32 s2, s2, 0x10000
	s_delay_alu instid0(SALU_CYCLE_1)
	s_cmp_lt_i32 s2, s31
	s_cbranch_scc0 .LBB395_10
.LBB395_3:                              ; =>This Loop Header: Depth=1
                                        ;     Child Loop BB395_5 Depth 2
	v_dual_mov_b32 v25, 0 :: v_dual_mov_b32 v24, 0
	v_dual_mov_b32 v23, 0 :: v_dual_mov_b32 v22, 0
	;; [unrolled: 1-line block ×3, first 2 shown]
	s_wait_xcnt 0x6
	v_dual_mov_b32 v19, 0 :: v_dual_mov_b32 v18, 0
	s_wait_xcnt 0x1
	v_dual_mov_b32 v17, 0 :: v_dual_mov_b32 v16, 0
	;; [unrolled: 2-line block ×3, first 2 shown]
	v_dual_mov_b32 v13, 0 :: v_dual_mov_b32 v12, 0
	v_dual_mov_b32 v11, 0 :: v_dual_mov_b32 v10, 0
	s_and_b32 vcc_lo, exec_lo, s0
	s_cbranch_vccnz .LBB395_6
; %bb.4:                                ;   in Loop: Header=BB395_3 Depth=1
	v_mad_nc_u64_u32 v[26:27], s4, s2, v[4:5]
	v_mad_nc_u64_u32 v[28:29], s6, s2, v[6:7]
	v_mov_b32_e32 v10, 0
	s_mov_b64 s[16:17], 0
	s_delay_alu instid0(VALU_DEP_1)
	v_dual_mov_b32 v11, v10 :: v_dual_mov_b32 v12, v10
	v_dual_mov_b32 v13, v10 :: v_dual_mov_b32 v14, v10
	v_mad_u32 v27, s5, s2, v27
	v_mad_u32 v29, s7, s2, v29
	v_dual_mov_b32 v15, v10 :: v_dual_mov_b32 v16, v10
	v_dual_mov_b32 v17, v10 :: v_dual_mov_b32 v18, v10
	;; [unrolled: 1-line block ×5, first 2 shown]
	v_mov_b32_e32 v25, v10
.LBB395_5:                              ;   Parent Loop BB395_3 Depth=1
                                        ; =>  This Inner Loop Header: Depth=2
	global_load_u16 v34, v[28:29], off
	global_load_u16 v35, v[26:27], off
	s_add_nc_u64 s[16:17], s[16:17], 4
	s_wait_xcnt 0x0
	v_add_nc_u64_e32 v[26:27], 8, v[26:27]
	v_cmp_lt_i64_e64 s18, s[16:17], s[28:29]
	v_add_nc_u64_e32 v[28:29], 8, v[28:29]
	s_and_b32 vcc_lo, exec_lo, s18
	s_wait_loadcnt 0x1
	v_cvt_f32_f16_e32 v34, v34
	s_wait_loadcnt 0x0
	v_cvt_f32_f16_e32 v35, v35
	ds_store_b32 v32, v34
	ds_store_b32 v33, v35
	s_wait_dscnt 0x0
	s_barrier_signal -1
	s_barrier_wait -1
	ds_load_2addr_b32 v[50:51], v30 offset1:16
	ds_load_2addr_b32 v[52:53], v30 offset0:64 offset1:80
	ds_load_2addr_b32 v[54:55], v30 offset0:128 offset1:144
	;; [unrolled: 1-line block ×6, first 2 shown]
	ds_load_b128 v[34:37], v31
	ds_load_b128 v[38:41], v31 offset:256
	ds_load_2addr_b32 v[64:65], v30 offset0:224 offset1:240
	ds_load_b128 v[42:45], v31 offset:512
	ds_load_b128 v[46:49], v31 offset:768
	s_wait_dscnt 0x0
	s_barrier_signal -1
	s_barrier_wait -1
	v_dual_mov_b32 v66, v51 :: v_dual_mov_b32 v67, v50
	v_dual_mov_b32 v50, v53 :: v_dual_mov_b32 v51, v52
	;; [unrolled: 1-line block ×6, first 2 shown]
	v_pk_fma_f32 v[24:25], v[66:67], v[34:35], v[24:25] op_sel_hi:[1,0,1]
	v_pk_fma_f32 v[20:21], v[66:67], v[38:39], v[20:21] op_sel_hi:[1,0,1]
	s_delay_alu instid0(VALU_DEP_4)
	v_pk_fma_f32 v[22:23], v[56:57], v[34:35], v[22:23] op_sel_hi:[1,0,1]
	v_pk_fma_f32 v[16:17], v[66:67], v[42:43], v[16:17] op_sel_hi:[1,0,1]
	;; [unrolled: 1-line block ×6, first 2 shown]
	v_dual_mov_b32 v60, v63 :: v_dual_mov_b32 v61, v62
	v_pk_fma_f32 v[24:25], v[50:51], v[34:35], v[24:25] op_sel:[0,1,0]
	v_pk_fma_f32 v[22:23], v[58:59], v[34:35], v[22:23] op_sel:[0,1,0]
	;; [unrolled: 1-line block ×8, first 2 shown]
	v_dual_mov_b32 v62, v37 :: v_dual_mov_b32 v68, v65
	v_dual_mov_b32 v69, v64 :: v_dual_mov_b32 v64, v41
	;; [unrolled: 1-line block ×3, first 2 shown]
	v_pk_fma_f32 v[24:25], v[52:53], v[36:37], v[24:25] op_sel_hi:[1,0,1]
	v_pk_fma_f32 v[22:23], v[60:61], v[36:37], v[22:23] op_sel_hi:[1,0,1]
	;; [unrolled: 1-line block ×16, first 2 shown]
	s_cbranch_vccnz .LBB395_5
.LBB395_6:                              ;   in Loop: Header=BB395_3 Depth=1
	s_mul_u64 s[16:17], s[22:23], s[2:3]
	s_and_not1_b32 vcc_lo, exec_lo, s1
	s_lshl_b64 s[16:17], s[16:17], 2
	s_delay_alu instid0(SALU_CYCLE_1) | instskip(NEXT) | instid1(SALU_CYCLE_1)
	s_add_nc_u64 s[16:17], s[10:11], s[16:17]
	v_lshl_add_u64 v[26:27], v[0:1], 2, s[16:17]
	s_delay_alu instid0(VALU_DEP_1)
	v_add_nc_u64_e32 v[28:29], v[26:27], v[8:9]
	v_add_nc_u64_e32 v[26:27], s[12:13], v[26:27]
	s_cbranch_vccnz .LBB395_8
; %bb.7:                                ;   in Loop: Header=BB395_3 Depth=1
	v_dual_mul_f32 v36, s30, v25 :: v_dual_mul_f32 v37, s30, v24
	s_delay_alu instid0(VALU_DEP_2)
	v_add_nc_u64_e32 v[34:35], s[12:13], v[26:27]
	v_dual_mul_f32 v38, s30, v23 :: v_dual_mul_f32 v39, s30, v22
	s_clause 0x3
	global_store_b32 v[28:29], v36, off
	global_store_b32 v[28:29], v37, off offset:64
	global_store_b32 v[28:29], v38, off offset:128
	;; [unrolled: 1-line block ×3, first 2 shown]
	s_wait_xcnt 0x2
	v_add_nc_u64_e32 v[36:37], v[26:27], v[8:9]
	v_dual_mul_f32 v40, s30, v21 :: v_dual_mul_f32 v41, s30, v20
	s_wait_xcnt 0x0
	v_add_nc_u64_e32 v[38:39], v[34:35], v[8:9]
	v_add_nc_u64_e32 v[34:35], s[12:13], v[34:35]
	v_dual_mul_f32 v42, s30, v19 :: v_dual_mul_f32 v43, s30, v18
	s_clause 0x3
	global_store_b32 v[36:37], v40, off
	global_store_b32 v[36:37], v41, off offset:64
	global_store_b32 v[36:37], v42, off offset:128
	;; [unrolled: 1-line block ×3, first 2 shown]
	s_wait_xcnt 0x0
	v_dual_mul_f32 v36, s30, v17 :: v_dual_mul_f32 v37, s30, v16
	v_dual_mul_f32 v40, s30, v15 :: v_dual_mul_f32 v41, s30, v14
	v_add_nc_u64_e32 v[34:35], v[34:35], v[8:9]
	s_clause 0x3
	global_store_b32 v[38:39], v36, off
	global_store_b32 v[38:39], v37, off offset:64
	global_store_b32 v[38:39], v40, off offset:128
	;; [unrolled: 1-line block ×3, first 2 shown]
	s_wait_xcnt 0x2
	v_dual_mul_f32 v36, s30, v13 :: v_dual_mul_f32 v37, s30, v12
	s_wait_xcnt 0x0
	v_dual_mul_f32 v38, s30, v11 :: v_dual_mul_f32 v39, s30, v10
	s_clause 0x3
	global_store_b32 v[34:35], v36, off
	global_store_b32 v[34:35], v37, off offset:64
	global_store_b32 v[34:35], v38, off offset:128
	;; [unrolled: 1-line block ×3, first 2 shown]
	s_cbranch_execnz .LBB395_2
	s_branch .LBB395_9
.LBB395_8:                              ;   in Loop: Header=BB395_3 Depth=1
.LBB395_9:                              ;   in Loop: Header=BB395_3 Depth=1
	s_mul_u64 s[16:17], s[8:9], s[2:3]
	s_wait_xcnt 0x0
	v_lshl_add_u64 v[34:35], s[16:17], 2, v[2:3]
	s_delay_alu instid0(VALU_DEP_1) | instskip(SKIP_3) | instid1(VALU_DEP_1)
	v_add_nc_u64_e32 v[36:37], v[34:35], v[8:9]
	global_load_b32 v38, v[36:37], off
	s_wait_loadcnt 0x0
	v_mul_f32_e32 v38, s33, v38
	v_fmac_f32_e32 v38, s30, v25
	global_store_b32 v[28:29], v38, off
	global_load_b32 v25, v[36:37], off offset:64
	s_wait_loadcnt 0x0
	v_mul_f32_e32 v25, s33, v25
	s_delay_alu instid0(VALU_DEP_1) | instskip(SKIP_4) | instid1(VALU_DEP_1)
	v_fmac_f32_e32 v25, s30, v24
	global_store_b32 v[28:29], v25, off offset:64
	global_load_b32 v24, v[36:37], off offset:128
	s_wait_loadcnt 0x0
	v_mul_f32_e32 v24, s33, v24
	v_fmac_f32_e32 v24, s30, v23
	global_store_b32 v[28:29], v24, off offset:128
	global_load_b32 v23, v[36:37], off offset:192
	s_wait_xcnt 0x1
	v_add_nc_u64_e32 v[24:25], s[14:15], v[34:35]
	s_delay_alu instid0(VALU_DEP_1) | instskip(SKIP_2) | instid1(VALU_DEP_1)
	v_add_nc_u64_e32 v[34:35], v[24:25], v[8:9]
	s_wait_loadcnt 0x0
	v_mul_f32_e32 v23, s33, v23
	v_fmac_f32_e32 v23, s30, v22
	global_store_b32 v[28:29], v23, off offset:192
	global_load_b32 v22, v[34:35], off
	s_wait_loadcnt 0x0
	s_wait_xcnt 0x1
	v_mul_f32_e32 v28, s33, v22
	v_add_nc_u64_e32 v[22:23], v[26:27], v[8:9]
	s_delay_alu instid0(VALU_DEP_2) | instskip(SKIP_4) | instid1(VALU_DEP_1)
	v_fmac_f32_e32 v28, s30, v21
	global_store_b32 v[22:23], v28, off
	global_load_b32 v21, v[34:35], off offset:64
	s_wait_loadcnt 0x0
	v_mul_f32_e32 v21, s33, v21
	v_fmac_f32_e32 v21, s30, v20
	global_store_b32 v[22:23], v21, off offset:64
	global_load_b32 v20, v[34:35], off offset:128
	s_wait_loadcnt 0x0
	v_mul_f32_e32 v20, s33, v20
	s_delay_alu instid0(VALU_DEP_1) | instskip(SKIP_4) | instid1(VALU_DEP_1)
	v_fmac_f32_e32 v20, s30, v19
	global_store_b32 v[22:23], v20, off offset:128
	global_load_b32 v19, v[34:35], off offset:192
	s_wait_xcnt 0x1
	v_add_nc_u64_e32 v[20:21], s[14:15], v[24:25]
	v_add_nc_u64_e32 v[24:25], v[20:21], v[8:9]
	s_wait_loadcnt 0x0
	v_mul_f32_e32 v19, s33, v19
	s_delay_alu instid0(VALU_DEP_1)
	v_fmac_f32_e32 v19, s30, v18
	global_store_b32 v[22:23], v19, off offset:192
	global_load_b32 v22, v[24:25], off
	v_add_nc_u64_e32 v[18:19], s[12:13], v[26:27]
	s_wait_loadcnt 0x0
	v_mul_f32_e32 v26, s33, v22
	s_delay_alu instid0(VALU_DEP_2) | instskip(NEXT) | instid1(VALU_DEP_2)
	v_add_nc_u64_e32 v[22:23], v[18:19], v[8:9]
	v_fmac_f32_e32 v26, s30, v17
	global_store_b32 v[22:23], v26, off
	global_load_b32 v17, v[24:25], off offset:64
	s_wait_loadcnt 0x0
	v_mul_f32_e32 v17, s33, v17
	s_delay_alu instid0(VALU_DEP_1) | instskip(SKIP_4) | instid1(VALU_DEP_1)
	v_fmac_f32_e32 v17, s30, v16
	global_store_b32 v[22:23], v17, off offset:64
	global_load_b32 v16, v[24:25], off offset:128
	s_wait_loadcnt 0x0
	v_mul_f32_e32 v16, s33, v16
	v_fmac_f32_e32 v16, s30, v15
	global_store_b32 v[22:23], v16, off offset:128
	global_load_b32 v15, v[24:25], off offset:192
	s_wait_xcnt 0x1
	v_add_nc_u64_e32 v[16:17], s[14:15], v[20:21]
	s_delay_alu instid0(VALU_DEP_1) | instskip(SKIP_2) | instid1(VALU_DEP_1)
	v_add_nc_u64_e32 v[16:17], v[16:17], v[8:9]
	s_wait_loadcnt 0x0
	v_mul_f32_e32 v15, s33, v15
	v_fmac_f32_e32 v15, s30, v14
	global_store_b32 v[22:23], v15, off offset:192
	global_load_b32 v20, v[16:17], off
	s_wait_xcnt 0x1
	v_add_nc_u64_e32 v[14:15], s[12:13], v[18:19]
	s_delay_alu instid0(VALU_DEP_1) | instskip(SKIP_2) | instid1(VALU_DEP_1)
	v_add_nc_u64_e32 v[14:15], v[14:15], v[8:9]
	s_wait_loadcnt 0x0
	v_mul_f32_e32 v18, s33, v20
	v_fmac_f32_e32 v18, s30, v13
	global_store_b32 v[14:15], v18, off
	global_load_b32 v13, v[16:17], off offset:64
	s_wait_loadcnt 0x0
	v_mul_f32_e32 v13, s33, v13
	s_delay_alu instid0(VALU_DEP_1) | instskip(SKIP_4) | instid1(VALU_DEP_1)
	v_fmac_f32_e32 v13, s30, v12
	global_store_b32 v[14:15], v13, off offset:64
	global_load_b32 v12, v[16:17], off offset:128
	s_wait_loadcnt 0x0
	v_mul_f32_e32 v12, s33, v12
	v_fmac_f32_e32 v12, s30, v11
	global_store_b32 v[14:15], v12, off offset:128
	global_load_b32 v11, v[16:17], off offset:192
	s_wait_loadcnt 0x0
	v_mul_f32_e32 v11, s33, v11
	s_delay_alu instid0(VALU_DEP_1)
	v_fmac_f32_e32 v11, s30, v10
	global_store_b32 v[14:15], v11, off offset:192
	s_branch .LBB395_2
.LBB395_10:
	s_sendmsg sendmsg(MSG_DEALLOC_VGPRS)
	s_endpgm
	.section	.rodata,"a",@progbits
	.p2align	6, 0x0
	.amdhsa_kernel _ZN12_GLOBAL__N_127rocblas_gemm_batched_kernelIfLi16ELi16ELi64ELi64ELi4ELi64ELi4ELi4ELi64ELc67ELc78EKDF16_KffEEvlllT_PT11_llS5_llS3_PT12_llPT13_lli
		.amdhsa_group_segment_fixed_size 2048
		.amdhsa_private_segment_fixed_size 0
		.amdhsa_kernarg_size 140
		.amdhsa_user_sgpr_count 2
		.amdhsa_user_sgpr_dispatch_ptr 0
		.amdhsa_user_sgpr_queue_ptr 0
		.amdhsa_user_sgpr_kernarg_segment_ptr 1
		.amdhsa_user_sgpr_dispatch_id 0
		.amdhsa_user_sgpr_kernarg_preload_length 0
		.amdhsa_user_sgpr_kernarg_preload_offset 0
		.amdhsa_user_sgpr_private_segment_size 0
		.amdhsa_wavefront_size32 1
		.amdhsa_uses_dynamic_stack 0
		.amdhsa_enable_private_segment 0
		.amdhsa_system_sgpr_workgroup_id_x 1
		.amdhsa_system_sgpr_workgroup_id_y 1
		.amdhsa_system_sgpr_workgroup_id_z 1
		.amdhsa_system_sgpr_workgroup_info 0
		.amdhsa_system_vgpr_workitem_id 1
		.amdhsa_next_free_vgpr 74
		.amdhsa_next_free_sgpr 38
		.amdhsa_named_barrier_count 0
		.amdhsa_reserve_vcc 1
		.amdhsa_float_round_mode_32 0
		.amdhsa_float_round_mode_16_64 0
		.amdhsa_float_denorm_mode_32 3
		.amdhsa_float_denorm_mode_16_64 3
		.amdhsa_fp16_overflow 0
		.amdhsa_memory_ordered 1
		.amdhsa_forward_progress 1
		.amdhsa_inst_pref_size 19
		.amdhsa_round_robin_scheduling 0
		.amdhsa_exception_fp_ieee_invalid_op 0
		.amdhsa_exception_fp_denorm_src 0
		.amdhsa_exception_fp_ieee_div_zero 0
		.amdhsa_exception_fp_ieee_overflow 0
		.amdhsa_exception_fp_ieee_underflow 0
		.amdhsa_exception_fp_ieee_inexact 0
		.amdhsa_exception_int_div_zero 0
	.end_amdhsa_kernel
	.section	.text._ZN12_GLOBAL__N_127rocblas_gemm_batched_kernelIfLi16ELi16ELi64ELi64ELi4ELi64ELi4ELi4ELi64ELc67ELc78EKDF16_KffEEvlllT_PT11_llS5_llS3_PT12_llPT13_lli,"axG",@progbits,_ZN12_GLOBAL__N_127rocblas_gemm_batched_kernelIfLi16ELi16ELi64ELi64ELi4ELi64ELi4ELi4ELi64ELc67ELc78EKDF16_KffEEvlllT_PT11_llS5_llS3_PT12_llPT13_lli,comdat
.Lfunc_end395:
	.size	_ZN12_GLOBAL__N_127rocblas_gemm_batched_kernelIfLi16ELi16ELi64ELi64ELi4ELi64ELi4ELi4ELi64ELc67ELc78EKDF16_KffEEvlllT_PT11_llS5_llS3_PT12_llPT13_lli, .Lfunc_end395-_ZN12_GLOBAL__N_127rocblas_gemm_batched_kernelIfLi16ELi16ELi64ELi64ELi4ELi64ELi4ELi4ELi64ELc67ELc78EKDF16_KffEEvlllT_PT11_llS5_llS3_PT12_llPT13_lli
                                        ; -- End function
	.set _ZN12_GLOBAL__N_127rocblas_gemm_batched_kernelIfLi16ELi16ELi64ELi64ELi4ELi64ELi4ELi4ELi64ELc67ELc78EKDF16_KffEEvlllT_PT11_llS5_llS3_PT12_llPT13_lli.num_vgpr, 74
	.set _ZN12_GLOBAL__N_127rocblas_gemm_batched_kernelIfLi16ELi16ELi64ELi64ELi4ELi64ELi4ELi4ELi64ELc67ELc78EKDF16_KffEEvlllT_PT11_llS5_llS3_PT12_llPT13_lli.num_agpr, 0
	.set _ZN12_GLOBAL__N_127rocblas_gemm_batched_kernelIfLi16ELi16ELi64ELi64ELi4ELi64ELi4ELi4ELi64ELc67ELc78EKDF16_KffEEvlllT_PT11_llS5_llS3_PT12_llPT13_lli.numbered_sgpr, 38
	.set _ZN12_GLOBAL__N_127rocblas_gemm_batched_kernelIfLi16ELi16ELi64ELi64ELi4ELi64ELi4ELi4ELi64ELc67ELc78EKDF16_KffEEvlllT_PT11_llS5_llS3_PT12_llPT13_lli.num_named_barrier, 0
	.set _ZN12_GLOBAL__N_127rocblas_gemm_batched_kernelIfLi16ELi16ELi64ELi64ELi4ELi64ELi4ELi4ELi64ELc67ELc78EKDF16_KffEEvlllT_PT11_llS5_llS3_PT12_llPT13_lli.private_seg_size, 0
	.set _ZN12_GLOBAL__N_127rocblas_gemm_batched_kernelIfLi16ELi16ELi64ELi64ELi4ELi64ELi4ELi4ELi64ELc67ELc78EKDF16_KffEEvlllT_PT11_llS5_llS3_PT12_llPT13_lli.uses_vcc, 1
	.set _ZN12_GLOBAL__N_127rocblas_gemm_batched_kernelIfLi16ELi16ELi64ELi64ELi4ELi64ELi4ELi4ELi64ELc67ELc78EKDF16_KffEEvlllT_PT11_llS5_llS3_PT12_llPT13_lli.uses_flat_scratch, 0
	.set _ZN12_GLOBAL__N_127rocblas_gemm_batched_kernelIfLi16ELi16ELi64ELi64ELi4ELi64ELi4ELi4ELi64ELc67ELc78EKDF16_KffEEvlllT_PT11_llS5_llS3_PT12_llPT13_lli.has_dyn_sized_stack, 0
	.set _ZN12_GLOBAL__N_127rocblas_gemm_batched_kernelIfLi16ELi16ELi64ELi64ELi4ELi64ELi4ELi4ELi64ELc67ELc78EKDF16_KffEEvlllT_PT11_llS5_llS3_PT12_llPT13_lli.has_recursion, 0
	.set _ZN12_GLOBAL__N_127rocblas_gemm_batched_kernelIfLi16ELi16ELi64ELi64ELi4ELi64ELi4ELi4ELi64ELc67ELc78EKDF16_KffEEvlllT_PT11_llS5_llS3_PT12_llPT13_lli.has_indirect_call, 0
	.section	.AMDGPU.csdata,"",@progbits
; Kernel info:
; codeLenInByte = 2348
; TotalNumSgprs: 40
; NumVgprs: 74
; ScratchSize: 0
; MemoryBound: 0
; FloatMode: 240
; IeeeMode: 1
; LDSByteSize: 2048 bytes/workgroup (compile time only)
; SGPRBlocks: 0
; VGPRBlocks: 4
; NumSGPRsForWavesPerEU: 40
; NumVGPRsForWavesPerEU: 74
; NamedBarCnt: 0
; Occupancy: 12
; WaveLimiterHint : 0
; COMPUTE_PGM_RSRC2:SCRATCH_EN: 0
; COMPUTE_PGM_RSRC2:USER_SGPR: 2
; COMPUTE_PGM_RSRC2:TRAP_HANDLER: 0
; COMPUTE_PGM_RSRC2:TGID_X_EN: 1
; COMPUTE_PGM_RSRC2:TGID_Y_EN: 1
; COMPUTE_PGM_RSRC2:TGID_Z_EN: 1
; COMPUTE_PGM_RSRC2:TIDIG_COMP_CNT: 1
	.section	.text._ZN12_GLOBAL__N_127rocblas_gemm_batched_kernelIfLi16ELi16ELi64ELi64ELi4ELi64ELi4ELi4ELi64ELc67ELc84EKDF16_KffEEvlllT_PT11_llS5_llS3_PT12_llPT13_lli,"axG",@progbits,_ZN12_GLOBAL__N_127rocblas_gemm_batched_kernelIfLi16ELi16ELi64ELi64ELi4ELi64ELi4ELi4ELi64ELc67ELc84EKDF16_KffEEvlllT_PT11_llS5_llS3_PT12_llPT13_lli,comdat
	.globl	_ZN12_GLOBAL__N_127rocblas_gemm_batched_kernelIfLi16ELi16ELi64ELi64ELi4ELi64ELi4ELi4ELi64ELc67ELc84EKDF16_KffEEvlllT_PT11_llS5_llS3_PT12_llPT13_lli ; -- Begin function _ZN12_GLOBAL__N_127rocblas_gemm_batched_kernelIfLi16ELi16ELi64ELi64ELi4ELi64ELi4ELi4ELi64ELc67ELc84EKDF16_KffEEvlllT_PT11_llS5_llS3_PT12_llPT13_lli
	.p2align	8
	.type	_ZN12_GLOBAL__N_127rocblas_gemm_batched_kernelIfLi16ELi16ELi64ELi64ELi4ELi64ELi4ELi4ELi64ELc67ELc84EKDF16_KffEEvlllT_PT11_llS5_llS3_PT12_llPT13_lli,@function
_ZN12_GLOBAL__N_127rocblas_gemm_batched_kernelIfLi16ELi16ELi64ELi64ELi4ELi64ELi4ELi4ELi64ELc67ELc84EKDF16_KffEEvlllT_PT11_llS5_llS3_PT12_llPT13_lli: ; @_ZN12_GLOBAL__N_127rocblas_gemm_batched_kernelIfLi16ELi16ELi64ELi64ELi4ELi64ELi4ELi4ELi64ELc67ELc84EKDF16_KffEEvlllT_PT11_llS5_llS3_PT12_llPT13_lli
; %bb.0:
	s_load_b32 s31, s[0:1], 0x88
	s_bfe_u32 s2, ttmp6, 0x40014
	s_lshr_b32 s3, ttmp7, 16
	s_add_co_i32 s2, s2, 1
	s_bfe_u32 s4, ttmp6, 0x40008
	s_mul_i32 s2, s3, s2
	s_getreg_b32 s20, hwreg(HW_REG_IB_STS2, 6, 4)
	s_add_co_i32 s4, s4, s2
	s_cmp_eq_u32 s20, 0
	s_cselect_b32 s2, s3, s4
	s_mov_b32 s3, 0
	s_wait_kmcnt 0x0
	s_cmp_ge_i32 s2, s31
	s_cbranch_scc1 .LBB396_10
; %bb.1:
	s_bfe_u32 s21, ttmp6, 0x4000c
	s_bfe_u32 s23, ttmp6, 0x40010
	s_add_co_i32 s21, s21, 1
	s_and_b32 s28, ttmp7, 0xffff
	s_add_co_i32 s23, s23, 1
	v_bfe_u32 v4, v0, 10, 10
	s_and_b32 s22, ttmp6, 15
	s_mul_i32 s21, ttmp9, s21
	s_mul_i32 s23, s28, s23
	s_bfe_u32 s29, ttmp6, 0x40004
	s_add_co_i32 s22, s22, s21
	s_add_co_i32 s29, s29, s23
	s_cmp_eq_u32 s20, 0
	v_and_b32_e32 v2, 0x3ff, v0
	v_dual_mov_b32 v5, 0 :: v_dual_lshlrev_b32 v16, 4, v4
	s_cselect_b32 s20, ttmp9, s22
	s_clause 0x2
	s_load_b256 s[12:19], s[0:1], 0x20
	s_load_b128 s[24:27], s[0:1], 0x40
	s_load_b256 s[4:11], s[0:1], 0x58
	s_cselect_b32 s22, s28, s29
	s_ashr_i32 s21, s20, 31
	s_lshl_b32 s34, s22, 6
	s_lshl_b64 s[36:37], s[20:21], 6
	v_add_nc_u32_e32 v1, v16, v2
	s_load_b128 s[20:23], s[0:1], 0x78
	s_mov_b32 s35, s3
	v_mov_b32_e32 v9, s37
	v_add_nc_u64_e32 v[6:7], s[34:35], v[4:5]
	v_and_b32_e32 v3, 63, v1
	s_clause 0x1
	s_load_b32 s33, s[0:1], 0x50
	s_load_b96 s[28:30], s[0:1], 0x10
	v_add_nc_u32_e32 v33, 0x400, v16
	v_dual_lshlrev_b32 v32, 2, v2 :: v_dual_bitop2_b32 v8, s36, v3 bitop3:0x54
	v_dual_lshrrev_b32 v10, 2, v1 :: v_dual_bitop2_b32 v4, 3, v0 bitop3:0x40
	v_mov_b32_e32 v11, v5
	s_wait_kmcnt 0x0
	s_delay_alu instid0(VALU_DEP_3)
	v_mul_u64_e32 v[8:9], s[14:15], v[8:9]
	v_mul_u64_e32 v[12:13], s[6:7], v[6:7]
	v_lshlrev_b32_e32 v17, 2, v4
	v_mad_nc_u64_u32 v[14:15], s24, v4, v[10:11]
	v_lshrrev_b32_e32 v11, 6, v1
	v_mul_u64_e32 v[0:1], s[20:21], v[6:7]
	v_dual_mov_b32 v3, v5 :: v_dual_lshlrev_b32 v6, 2, v3
	s_cmp_eq_f32 s33, 0
	v_cmp_gt_i64_e64 s0, s[28:29], 0
	s_delay_alu instid0(VALU_DEP_2)
	v_lshl_or_b32 v30, v11, 8, v6
	v_mad_u32 v15, s25, v4, v15
	v_lshl_or_b32 v4, v10, 4, v17
	s_cselect_b32 s1, -1, 0
	s_lshl_b64 s[14:15], s[20:21], 4
	s_lshl_b64 s[20:21], s[6:7], 4
	;; [unrolled: 1-line block ×3, first 2 shown]
	v_add_nc_u32_e32 v31, 0x400, v4
	v_lshlrev_b32_e32 v4, 1, v11
	v_add_nc_u64_e32 v[10:11], s[36:37], v[2:3]
	s_lshl_b64 s[14:15], s[14:15], 2
	v_add_nc_u64_e32 v[6:7], s[34:35], v[14:15]
	s_delay_alu instid0(VALU_DEP_3) | instskip(SKIP_2) | instid1(VALU_DEP_4)
	v_lshl_add_u64 v[8:9], v[8:9], 1, v[4:5]
	v_lshl_add_u64 v[2:3], v[12:13], 2, s[4:5]
	v_cndmask_b32_e64 v12, 0, 1, s0
	v_lshl_add_u64 v[4:5], v[6:7], 1, s[18:19]
	s_lshl_b64 s[4:5], s[26:27], 1
	v_add_nc_u64_e32 v[6:7], s[12:13], v[8:9]
	v_lshlrev_b64_e32 v[8:9], 2, v[10:11]
	v_cmp_ne_u32_e64 s0, 1, v12
	s_lshl_b64 s[12:13], s[16:17], 1
	s_lshl_b64 s[16:17], s[20:21], 2
	s_branch .LBB396_3
.LBB396_2:                              ;   in Loop: Header=BB396_3 Depth=1
	s_add_co_i32 s2, s2, 0x10000
	s_delay_alu instid0(SALU_CYCLE_1)
	s_cmp_lt_i32 s2, s31
	s_cbranch_scc0 .LBB396_10
.LBB396_3:                              ; =>This Loop Header: Depth=1
                                        ;     Child Loop BB396_5 Depth 2
	v_dual_mov_b32 v25, 0 :: v_dual_mov_b32 v24, 0
	v_dual_mov_b32 v23, 0 :: v_dual_mov_b32 v22, 0
	;; [unrolled: 1-line block ×3, first 2 shown]
	s_wait_xcnt 0x6
	v_dual_mov_b32 v19, 0 :: v_dual_mov_b32 v18, 0
	s_wait_xcnt 0x1
	v_dual_mov_b32 v17, 0 :: v_dual_mov_b32 v16, 0
	;; [unrolled: 2-line block ×3, first 2 shown]
	v_dual_mov_b32 v13, 0 :: v_dual_mov_b32 v12, 0
	v_dual_mov_b32 v11, 0 :: v_dual_mov_b32 v10, 0
	s_and_b32 vcc_lo, exec_lo, s0
	s_cbranch_vccnz .LBB396_6
; %bb.4:                                ;   in Loop: Header=BB396_3 Depth=1
	v_mad_nc_u64_u32 v[26:27], s4, s2, v[4:5]
	v_mad_nc_u64_u32 v[28:29], s12, s2, v[6:7]
	v_mov_b32_e32 v10, 0
	s_mov_b64 s[18:19], 0
	s_delay_alu instid0(VALU_DEP_1)
	v_dual_mov_b32 v11, v10 :: v_dual_mov_b32 v12, v10
	v_dual_mov_b32 v13, v10 :: v_dual_mov_b32 v14, v10
	v_mad_u32 v27, s5, s2, v27
	v_mad_u32 v29, s13, s2, v29
	v_dual_mov_b32 v15, v10 :: v_dual_mov_b32 v16, v10
	v_dual_mov_b32 v17, v10 :: v_dual_mov_b32 v18, v10
	v_dual_mov_b32 v19, v10 :: v_dual_mov_b32 v20, v10
	v_dual_mov_b32 v21, v10 :: v_dual_mov_b32 v22, v10
	v_dual_mov_b32 v23, v10 :: v_dual_mov_b32 v24, v10
	v_mov_b32_e32 v25, v10
.LBB396_5:                              ;   Parent Loop BB396_3 Depth=1
                                        ; =>  This Inner Loop Header: Depth=2
	global_load_u16 v34, v[28:29], off
	global_load_u16 v35, v[26:27], off
	s_add_nc_u64 s[18:19], s[18:19], 4
	s_wait_xcnt 0x0
	v_add_nc_u64_e32 v[26:27], s[6:7], v[26:27]
	v_cmp_lt_i64_e64 s20, s[18:19], s[28:29]
	v_add_nc_u64_e32 v[28:29], 8, v[28:29]
	s_and_b32 vcc_lo, exec_lo, s20
	s_wait_loadcnt 0x1
	v_cvt_f32_f16_e32 v34, v34
	s_wait_loadcnt 0x0
	v_cvt_f32_f16_e32 v35, v35
	ds_store_b32 v30, v34
	ds_store_b32 v31, v35
	s_wait_dscnt 0x0
	s_barrier_signal -1
	s_barrier_wait -1
	ds_load_2addr_b32 v[50:51], v32 offset1:16
	ds_load_2addr_b32 v[52:53], v32 offset0:64 offset1:80
	ds_load_2addr_b32 v[54:55], v32 offset0:128 offset1:144
	;; [unrolled: 1-line block ×6, first 2 shown]
	ds_load_b128 v[34:37], v33
	ds_load_b128 v[38:41], v33 offset:256
	ds_load_2addr_b32 v[64:65], v32 offset0:224 offset1:240
	ds_load_b128 v[42:45], v33 offset:512
	ds_load_b128 v[46:49], v33 offset:768
	s_wait_dscnt 0x0
	s_barrier_signal -1
	s_barrier_wait -1
	v_dual_mov_b32 v66, v51 :: v_dual_mov_b32 v67, v50
	v_dual_mov_b32 v50, v53 :: v_dual_mov_b32 v51, v52
	;; [unrolled: 1-line block ×6, first 2 shown]
	v_pk_fma_f32 v[24:25], v[66:67], v[34:35], v[24:25] op_sel_hi:[1,0,1]
	v_pk_fma_f32 v[20:21], v[66:67], v[38:39], v[20:21] op_sel_hi:[1,0,1]
	s_delay_alu instid0(VALU_DEP_4)
	v_pk_fma_f32 v[22:23], v[56:57], v[34:35], v[22:23] op_sel_hi:[1,0,1]
	v_pk_fma_f32 v[16:17], v[66:67], v[42:43], v[16:17] op_sel_hi:[1,0,1]
	;; [unrolled: 1-line block ×6, first 2 shown]
	v_dual_mov_b32 v60, v63 :: v_dual_mov_b32 v61, v62
	v_pk_fma_f32 v[24:25], v[50:51], v[34:35], v[24:25] op_sel:[0,1,0]
	v_pk_fma_f32 v[22:23], v[58:59], v[34:35], v[22:23] op_sel:[0,1,0]
	;; [unrolled: 1-line block ×8, first 2 shown]
	v_dual_mov_b32 v62, v37 :: v_dual_mov_b32 v68, v65
	v_dual_mov_b32 v69, v64 :: v_dual_mov_b32 v64, v41
	;; [unrolled: 1-line block ×3, first 2 shown]
	v_pk_fma_f32 v[24:25], v[52:53], v[36:37], v[24:25] op_sel_hi:[1,0,1]
	v_pk_fma_f32 v[22:23], v[60:61], v[36:37], v[22:23] op_sel_hi:[1,0,1]
	;; [unrolled: 1-line block ×16, first 2 shown]
	s_cbranch_vccnz .LBB396_5
.LBB396_6:                              ;   in Loop: Header=BB396_3 Depth=1
	s_mul_u64 s[18:19], s[22:23], s[2:3]
	s_and_not1_b32 vcc_lo, exec_lo, s1
	s_lshl_b64 s[18:19], s[18:19], 2
	s_delay_alu instid0(SALU_CYCLE_1) | instskip(NEXT) | instid1(SALU_CYCLE_1)
	s_add_nc_u64 s[18:19], s[10:11], s[18:19]
	v_lshl_add_u64 v[26:27], v[0:1], 2, s[18:19]
	s_delay_alu instid0(VALU_DEP_1)
	v_add_nc_u64_e32 v[28:29], v[26:27], v[8:9]
	v_add_nc_u64_e32 v[26:27], s[14:15], v[26:27]
	s_cbranch_vccnz .LBB396_8
; %bb.7:                                ;   in Loop: Header=BB396_3 Depth=1
	v_dual_mul_f32 v36, s30, v25 :: v_dual_mul_f32 v37, s30, v24
	s_delay_alu instid0(VALU_DEP_2)
	v_add_nc_u64_e32 v[34:35], s[14:15], v[26:27]
	v_dual_mul_f32 v38, s30, v23 :: v_dual_mul_f32 v39, s30, v22
	s_clause 0x3
	global_store_b32 v[28:29], v36, off
	global_store_b32 v[28:29], v37, off offset:64
	global_store_b32 v[28:29], v38, off offset:128
	;; [unrolled: 1-line block ×3, first 2 shown]
	s_wait_xcnt 0x2
	v_add_nc_u64_e32 v[36:37], v[26:27], v[8:9]
	v_dual_mul_f32 v40, s30, v21 :: v_dual_mul_f32 v41, s30, v20
	s_wait_xcnt 0x0
	v_add_nc_u64_e32 v[38:39], v[34:35], v[8:9]
	v_add_nc_u64_e32 v[34:35], s[14:15], v[34:35]
	v_dual_mul_f32 v42, s30, v19 :: v_dual_mul_f32 v43, s30, v18
	s_clause 0x3
	global_store_b32 v[36:37], v40, off
	global_store_b32 v[36:37], v41, off offset:64
	global_store_b32 v[36:37], v42, off offset:128
	;; [unrolled: 1-line block ×3, first 2 shown]
	s_wait_xcnt 0x0
	v_dual_mul_f32 v36, s30, v17 :: v_dual_mul_f32 v37, s30, v16
	v_dual_mul_f32 v40, s30, v15 :: v_dual_mul_f32 v41, s30, v14
	v_add_nc_u64_e32 v[34:35], v[34:35], v[8:9]
	s_clause 0x3
	global_store_b32 v[38:39], v36, off
	global_store_b32 v[38:39], v37, off offset:64
	global_store_b32 v[38:39], v40, off offset:128
	;; [unrolled: 1-line block ×3, first 2 shown]
	s_wait_xcnt 0x2
	v_dual_mul_f32 v36, s30, v13 :: v_dual_mul_f32 v37, s30, v12
	s_wait_xcnt 0x0
	v_dual_mul_f32 v38, s30, v11 :: v_dual_mul_f32 v39, s30, v10
	s_clause 0x3
	global_store_b32 v[34:35], v36, off
	global_store_b32 v[34:35], v37, off offset:64
	global_store_b32 v[34:35], v38, off offset:128
	;; [unrolled: 1-line block ×3, first 2 shown]
	s_cbranch_execnz .LBB396_2
	s_branch .LBB396_9
.LBB396_8:                              ;   in Loop: Header=BB396_3 Depth=1
.LBB396_9:                              ;   in Loop: Header=BB396_3 Depth=1
	s_mul_u64 s[18:19], s[8:9], s[2:3]
	s_wait_xcnt 0x0
	v_lshl_add_u64 v[34:35], s[18:19], 2, v[2:3]
	s_delay_alu instid0(VALU_DEP_1) | instskip(SKIP_3) | instid1(VALU_DEP_1)
	v_add_nc_u64_e32 v[36:37], v[34:35], v[8:9]
	global_load_b32 v38, v[36:37], off
	s_wait_loadcnt 0x0
	v_mul_f32_e32 v38, s33, v38
	v_fmac_f32_e32 v38, s30, v25
	global_store_b32 v[28:29], v38, off
	global_load_b32 v25, v[36:37], off offset:64
	s_wait_loadcnt 0x0
	v_mul_f32_e32 v25, s33, v25
	s_delay_alu instid0(VALU_DEP_1) | instskip(SKIP_4) | instid1(VALU_DEP_1)
	v_fmac_f32_e32 v25, s30, v24
	global_store_b32 v[28:29], v25, off offset:64
	global_load_b32 v24, v[36:37], off offset:128
	s_wait_loadcnt 0x0
	v_mul_f32_e32 v24, s33, v24
	v_fmac_f32_e32 v24, s30, v23
	global_store_b32 v[28:29], v24, off offset:128
	global_load_b32 v23, v[36:37], off offset:192
	s_wait_xcnt 0x1
	v_add_nc_u64_e32 v[24:25], s[16:17], v[34:35]
	s_delay_alu instid0(VALU_DEP_1) | instskip(SKIP_2) | instid1(VALU_DEP_1)
	v_add_nc_u64_e32 v[34:35], v[24:25], v[8:9]
	s_wait_loadcnt 0x0
	v_mul_f32_e32 v23, s33, v23
	v_fmac_f32_e32 v23, s30, v22
	global_store_b32 v[28:29], v23, off offset:192
	global_load_b32 v22, v[34:35], off
	s_wait_loadcnt 0x0
	s_wait_xcnt 0x1
	v_mul_f32_e32 v28, s33, v22
	v_add_nc_u64_e32 v[22:23], v[26:27], v[8:9]
	s_delay_alu instid0(VALU_DEP_2) | instskip(SKIP_4) | instid1(VALU_DEP_1)
	v_fmac_f32_e32 v28, s30, v21
	global_store_b32 v[22:23], v28, off
	global_load_b32 v21, v[34:35], off offset:64
	s_wait_loadcnt 0x0
	v_mul_f32_e32 v21, s33, v21
	v_fmac_f32_e32 v21, s30, v20
	global_store_b32 v[22:23], v21, off offset:64
	global_load_b32 v20, v[34:35], off offset:128
	s_wait_loadcnt 0x0
	v_mul_f32_e32 v20, s33, v20
	s_delay_alu instid0(VALU_DEP_1) | instskip(SKIP_4) | instid1(VALU_DEP_1)
	v_fmac_f32_e32 v20, s30, v19
	global_store_b32 v[22:23], v20, off offset:128
	global_load_b32 v19, v[34:35], off offset:192
	s_wait_xcnt 0x1
	v_add_nc_u64_e32 v[20:21], s[16:17], v[24:25]
	v_add_nc_u64_e32 v[24:25], v[20:21], v[8:9]
	s_wait_loadcnt 0x0
	v_mul_f32_e32 v19, s33, v19
	s_delay_alu instid0(VALU_DEP_1)
	v_fmac_f32_e32 v19, s30, v18
	global_store_b32 v[22:23], v19, off offset:192
	global_load_b32 v22, v[24:25], off
	v_add_nc_u64_e32 v[18:19], s[14:15], v[26:27]
	s_wait_loadcnt 0x0
	v_mul_f32_e32 v26, s33, v22
	s_delay_alu instid0(VALU_DEP_2) | instskip(NEXT) | instid1(VALU_DEP_2)
	v_add_nc_u64_e32 v[22:23], v[18:19], v[8:9]
	v_fmac_f32_e32 v26, s30, v17
	global_store_b32 v[22:23], v26, off
	global_load_b32 v17, v[24:25], off offset:64
	s_wait_loadcnt 0x0
	v_mul_f32_e32 v17, s33, v17
	s_delay_alu instid0(VALU_DEP_1) | instskip(SKIP_4) | instid1(VALU_DEP_1)
	v_fmac_f32_e32 v17, s30, v16
	global_store_b32 v[22:23], v17, off offset:64
	global_load_b32 v16, v[24:25], off offset:128
	s_wait_loadcnt 0x0
	v_mul_f32_e32 v16, s33, v16
	v_fmac_f32_e32 v16, s30, v15
	global_store_b32 v[22:23], v16, off offset:128
	global_load_b32 v15, v[24:25], off offset:192
	s_wait_xcnt 0x1
	v_add_nc_u64_e32 v[16:17], s[16:17], v[20:21]
	s_delay_alu instid0(VALU_DEP_1) | instskip(SKIP_2) | instid1(VALU_DEP_1)
	v_add_nc_u64_e32 v[16:17], v[16:17], v[8:9]
	s_wait_loadcnt 0x0
	v_mul_f32_e32 v15, s33, v15
	v_fmac_f32_e32 v15, s30, v14
	global_store_b32 v[22:23], v15, off offset:192
	global_load_b32 v20, v[16:17], off
	s_wait_xcnt 0x1
	v_add_nc_u64_e32 v[14:15], s[14:15], v[18:19]
	s_delay_alu instid0(VALU_DEP_1) | instskip(SKIP_2) | instid1(VALU_DEP_1)
	v_add_nc_u64_e32 v[14:15], v[14:15], v[8:9]
	s_wait_loadcnt 0x0
	v_mul_f32_e32 v18, s33, v20
	v_fmac_f32_e32 v18, s30, v13
	global_store_b32 v[14:15], v18, off
	global_load_b32 v13, v[16:17], off offset:64
	s_wait_loadcnt 0x0
	v_mul_f32_e32 v13, s33, v13
	s_delay_alu instid0(VALU_DEP_1) | instskip(SKIP_4) | instid1(VALU_DEP_1)
	v_fmac_f32_e32 v13, s30, v12
	global_store_b32 v[14:15], v13, off offset:64
	global_load_b32 v12, v[16:17], off offset:128
	s_wait_loadcnt 0x0
	v_mul_f32_e32 v12, s33, v12
	v_fmac_f32_e32 v12, s30, v11
	global_store_b32 v[14:15], v12, off offset:128
	global_load_b32 v11, v[16:17], off offset:192
	s_wait_loadcnt 0x0
	v_mul_f32_e32 v11, s33, v11
	s_delay_alu instid0(VALU_DEP_1)
	v_fmac_f32_e32 v11, s30, v10
	global_store_b32 v[14:15], v11, off offset:192
	s_branch .LBB396_2
.LBB396_10:
	s_sendmsg sendmsg(MSG_DEALLOC_VGPRS)
	s_endpgm
	.section	.rodata,"a",@progbits
	.p2align	6, 0x0
	.amdhsa_kernel _ZN12_GLOBAL__N_127rocblas_gemm_batched_kernelIfLi16ELi16ELi64ELi64ELi4ELi64ELi4ELi4ELi64ELc67ELc84EKDF16_KffEEvlllT_PT11_llS5_llS3_PT12_llPT13_lli
		.amdhsa_group_segment_fixed_size 2048
		.amdhsa_private_segment_fixed_size 0
		.amdhsa_kernarg_size 140
		.amdhsa_user_sgpr_count 2
		.amdhsa_user_sgpr_dispatch_ptr 0
		.amdhsa_user_sgpr_queue_ptr 0
		.amdhsa_user_sgpr_kernarg_segment_ptr 1
		.amdhsa_user_sgpr_dispatch_id 0
		.amdhsa_user_sgpr_kernarg_preload_length 0
		.amdhsa_user_sgpr_kernarg_preload_offset 0
		.amdhsa_user_sgpr_private_segment_size 0
		.amdhsa_wavefront_size32 1
		.amdhsa_uses_dynamic_stack 0
		.amdhsa_enable_private_segment 0
		.amdhsa_system_sgpr_workgroup_id_x 1
		.amdhsa_system_sgpr_workgroup_id_y 1
		.amdhsa_system_sgpr_workgroup_id_z 1
		.amdhsa_system_sgpr_workgroup_info 0
		.amdhsa_system_vgpr_workitem_id 1
		.amdhsa_next_free_vgpr 74
		.amdhsa_next_free_sgpr 38
		.amdhsa_named_barrier_count 0
		.amdhsa_reserve_vcc 1
		.amdhsa_float_round_mode_32 0
		.amdhsa_float_round_mode_16_64 0
		.amdhsa_float_denorm_mode_32 3
		.amdhsa_float_denorm_mode_16_64 3
		.amdhsa_fp16_overflow 0
		.amdhsa_memory_ordered 1
		.amdhsa_forward_progress 1
		.amdhsa_inst_pref_size 19
		.amdhsa_round_robin_scheduling 0
		.amdhsa_exception_fp_ieee_invalid_op 0
		.amdhsa_exception_fp_denorm_src 0
		.amdhsa_exception_fp_ieee_div_zero 0
		.amdhsa_exception_fp_ieee_overflow 0
		.amdhsa_exception_fp_ieee_underflow 0
		.amdhsa_exception_fp_ieee_inexact 0
		.amdhsa_exception_int_div_zero 0
	.end_amdhsa_kernel
	.section	.text._ZN12_GLOBAL__N_127rocblas_gemm_batched_kernelIfLi16ELi16ELi64ELi64ELi4ELi64ELi4ELi4ELi64ELc67ELc84EKDF16_KffEEvlllT_PT11_llS5_llS3_PT12_llPT13_lli,"axG",@progbits,_ZN12_GLOBAL__N_127rocblas_gemm_batched_kernelIfLi16ELi16ELi64ELi64ELi4ELi64ELi4ELi4ELi64ELc67ELc84EKDF16_KffEEvlllT_PT11_llS5_llS3_PT12_llPT13_lli,comdat
.Lfunc_end396:
	.size	_ZN12_GLOBAL__N_127rocblas_gemm_batched_kernelIfLi16ELi16ELi64ELi64ELi4ELi64ELi4ELi4ELi64ELc67ELc84EKDF16_KffEEvlllT_PT11_llS5_llS3_PT12_llPT13_lli, .Lfunc_end396-_ZN12_GLOBAL__N_127rocblas_gemm_batched_kernelIfLi16ELi16ELi64ELi64ELi4ELi64ELi4ELi4ELi64ELc67ELc84EKDF16_KffEEvlllT_PT11_llS5_llS3_PT12_llPT13_lli
                                        ; -- End function
	.set _ZN12_GLOBAL__N_127rocblas_gemm_batched_kernelIfLi16ELi16ELi64ELi64ELi4ELi64ELi4ELi4ELi64ELc67ELc84EKDF16_KffEEvlllT_PT11_llS5_llS3_PT12_llPT13_lli.num_vgpr, 74
	.set _ZN12_GLOBAL__N_127rocblas_gemm_batched_kernelIfLi16ELi16ELi64ELi64ELi4ELi64ELi4ELi4ELi64ELc67ELc84EKDF16_KffEEvlllT_PT11_llS5_llS3_PT12_llPT13_lli.num_agpr, 0
	.set _ZN12_GLOBAL__N_127rocblas_gemm_batched_kernelIfLi16ELi16ELi64ELi64ELi4ELi64ELi4ELi4ELi64ELc67ELc84EKDF16_KffEEvlllT_PT11_llS5_llS3_PT12_llPT13_lli.numbered_sgpr, 38
	.set _ZN12_GLOBAL__N_127rocblas_gemm_batched_kernelIfLi16ELi16ELi64ELi64ELi4ELi64ELi4ELi4ELi64ELc67ELc84EKDF16_KffEEvlllT_PT11_llS5_llS3_PT12_llPT13_lli.num_named_barrier, 0
	.set _ZN12_GLOBAL__N_127rocblas_gemm_batched_kernelIfLi16ELi16ELi64ELi64ELi4ELi64ELi4ELi4ELi64ELc67ELc84EKDF16_KffEEvlllT_PT11_llS5_llS3_PT12_llPT13_lli.private_seg_size, 0
	.set _ZN12_GLOBAL__N_127rocblas_gemm_batched_kernelIfLi16ELi16ELi64ELi64ELi4ELi64ELi4ELi4ELi64ELc67ELc84EKDF16_KffEEvlllT_PT11_llS5_llS3_PT12_llPT13_lli.uses_vcc, 1
	.set _ZN12_GLOBAL__N_127rocblas_gemm_batched_kernelIfLi16ELi16ELi64ELi64ELi4ELi64ELi4ELi4ELi64ELc67ELc84EKDF16_KffEEvlllT_PT11_llS5_llS3_PT12_llPT13_lli.uses_flat_scratch, 0
	.set _ZN12_GLOBAL__N_127rocblas_gemm_batched_kernelIfLi16ELi16ELi64ELi64ELi4ELi64ELi4ELi4ELi64ELc67ELc84EKDF16_KffEEvlllT_PT11_llS5_llS3_PT12_llPT13_lli.has_dyn_sized_stack, 0
	.set _ZN12_GLOBAL__N_127rocblas_gemm_batched_kernelIfLi16ELi16ELi64ELi64ELi4ELi64ELi4ELi4ELi64ELc67ELc84EKDF16_KffEEvlllT_PT11_llS5_llS3_PT12_llPT13_lli.has_recursion, 0
	.set _ZN12_GLOBAL__N_127rocblas_gemm_batched_kernelIfLi16ELi16ELi64ELi64ELi4ELi64ELi4ELi4ELi64ELc67ELc84EKDF16_KffEEvlllT_PT11_llS5_llS3_PT12_llPT13_lli.has_indirect_call, 0
	.section	.AMDGPU.csdata,"",@progbits
; Kernel info:
; codeLenInByte = 2332
; TotalNumSgprs: 40
; NumVgprs: 74
; ScratchSize: 0
; MemoryBound: 0
; FloatMode: 240
; IeeeMode: 1
; LDSByteSize: 2048 bytes/workgroup (compile time only)
; SGPRBlocks: 0
; VGPRBlocks: 4
; NumSGPRsForWavesPerEU: 40
; NumVGPRsForWavesPerEU: 74
; NamedBarCnt: 0
; Occupancy: 12
; WaveLimiterHint : 0
; COMPUTE_PGM_RSRC2:SCRATCH_EN: 0
; COMPUTE_PGM_RSRC2:USER_SGPR: 2
; COMPUTE_PGM_RSRC2:TRAP_HANDLER: 0
; COMPUTE_PGM_RSRC2:TGID_X_EN: 1
; COMPUTE_PGM_RSRC2:TGID_Y_EN: 1
; COMPUTE_PGM_RSRC2:TGID_Z_EN: 1
; COMPUTE_PGM_RSRC2:TIDIG_COMP_CNT: 1
	.section	.text._ZN12_GLOBAL__N_127rocblas_gemm_batched_kernelIfLi16ELi16ELi64ELi64ELi4ELi64ELi4ELi4ELi64ELc78ELc67EKDF16_KffEEvlllT_PT11_llS5_llS3_PT12_llPT13_lli,"axG",@progbits,_ZN12_GLOBAL__N_127rocblas_gemm_batched_kernelIfLi16ELi16ELi64ELi64ELi4ELi64ELi4ELi4ELi64ELc78ELc67EKDF16_KffEEvlllT_PT11_llS5_llS3_PT12_llPT13_lli,comdat
	.globl	_ZN12_GLOBAL__N_127rocblas_gemm_batched_kernelIfLi16ELi16ELi64ELi64ELi4ELi64ELi4ELi4ELi64ELc78ELc67EKDF16_KffEEvlllT_PT11_llS5_llS3_PT12_llPT13_lli ; -- Begin function _ZN12_GLOBAL__N_127rocblas_gemm_batched_kernelIfLi16ELi16ELi64ELi64ELi4ELi64ELi4ELi4ELi64ELc78ELc67EKDF16_KffEEvlllT_PT11_llS5_llS3_PT12_llPT13_lli
	.p2align	8
	.type	_ZN12_GLOBAL__N_127rocblas_gemm_batched_kernelIfLi16ELi16ELi64ELi64ELi4ELi64ELi4ELi4ELi64ELc78ELc67EKDF16_KffEEvlllT_PT11_llS5_llS3_PT12_llPT13_lli,@function
_ZN12_GLOBAL__N_127rocblas_gemm_batched_kernelIfLi16ELi16ELi64ELi64ELi4ELi64ELi4ELi4ELi64ELc78ELc67EKDF16_KffEEvlllT_PT11_llS5_llS3_PT12_llPT13_lli: ; @_ZN12_GLOBAL__N_127rocblas_gemm_batched_kernelIfLi16ELi16ELi64ELi64ELi4ELi64ELi4ELi4ELi64ELc78ELc67EKDF16_KffEEvlllT_PT11_llS5_llS3_PT12_llPT13_lli
; %bb.0:
	s_load_b32 s31, s[0:1], 0x88
	s_bfe_u32 s2, ttmp6, 0x40014
	s_lshr_b32 s3, ttmp7, 16
	s_add_co_i32 s2, s2, 1
	s_bfe_u32 s4, ttmp6, 0x40008
	s_mul_i32 s2, s3, s2
	s_getreg_b32 s20, hwreg(HW_REG_IB_STS2, 6, 4)
	s_add_co_i32 s4, s4, s2
	s_cmp_eq_u32 s20, 0
	s_cselect_b32 s2, s3, s4
	s_mov_b32 s3, 0
	s_wait_kmcnt 0x0
	s_cmp_ge_i32 s2, s31
	s_cbranch_scc1 .LBB397_10
; %bb.1:
	s_bfe_u32 s21, ttmp6, 0x4000c
	s_bfe_u32 s23, ttmp6, 0x40010
	s_clause 0x2
	s_load_b256 s[12:19], s[0:1], 0x20
	s_load_b128 s[24:27], s[0:1], 0x40
	s_load_b256 s[4:11], s[0:1], 0x58
	s_add_co_i32 s21, s21, 1
	s_and_b32 s28, ttmp7, 0xffff
	s_add_co_i32 s23, s23, 1
	s_and_b32 s22, ttmp6, 15
	s_mul_i32 s21, ttmp9, s21
	s_mul_i32 s23, s28, s23
	s_bfe_u32 s29, ttmp6, 0x40004
	s_add_co_i32 s22, s22, s21
	s_add_co_i32 s29, s29, s23
	s_cmp_eq_u32 s20, 0
	v_bfe_u32 v2, v0, 10, 10
	v_mov_b32_e32 v3, 0
	s_cselect_b32 s20, s28, s29
	s_cselect_b32 s28, ttmp9, s22
	s_lshl_b32 s34, s20, 6
	s_load_b128 s[20:23], s[0:1], 0x78
	s_mov_b32 s35, s3
	v_and_b32_e32 v4, 0x3ff, v0
	v_lshlrev_b32_e32 v16, 4, v2
	v_add_nc_u64_e32 v[6:7], s[34:35], v[2:3]
	v_mov_b32_e32 v9, v3
	s_ashr_i32 s29, s28, 31
	s_load_b32 s33, s[0:1], 0x50
	v_add_nc_u32_e32 v1, v16, v4
	v_and_b32_e32 v5, 3, v0
	s_lshl_b64 s[36:37], s[28:29], 6
	s_wait_kmcnt 0x0
	v_mul_u64_e32 v[10:11], s[6:7], v[6:7]
	s_load_b96 s[28:30], s[0:1], 0x10
	v_dual_lshrrev_b32 v8, 2, v1 :: v_dual_lshrrev_b32 v17, 6, v1
	v_dual_lshlrev_b32 v32, 2, v4 :: v_dual_bitop2_b32 v2, 63, v1 bitop3:0x40
	v_add_nc_u32_e32 v33, 0x400, v16
	s_delay_alu instid0(VALU_DEP_3) | instskip(NEXT) | instid1(VALU_DEP_4)
	v_mad_nc_u64_u32 v[12:13], s24, v5, v[8:9]
	v_mad_nc_u64_u32 v[14:15], s14, v17, s[36:37]
	v_mul_u64_e32 v[0:1], s[20:21], v[6:7]
	v_dual_lshlrev_b32 v9, 2, v5 :: v_dual_lshlrev_b32 v6, 2, v2
	s_delay_alu instid0(VALU_DEP_1) | instskip(NEXT) | instid1(VALU_DEP_2)
	v_lshl_or_b32 v7, v8, 4, v9
	v_lshl_or_b32 v30, v17, 8, v6
	s_cmp_eq_f32 s33, 0
	v_mad_u32 v13, s25, v5, v13
	v_mad_u32 v15, s15, v17, v15
	v_mov_b32_e32 v5, v3
	s_wait_kmcnt 0x0
	v_cmp_gt_i64_e64 s0, s[28:29], 0
	v_add_nc_u32_e32 v31, 0x400, v7
	s_cselect_b32 s1, -1, 0
	s_lshl_b64 s[20:21], s[20:21], 4
	v_add_nc_u64_e32 v[8:9], s[36:37], v[4:5]
	s_lshl_b64 s[14:15], s[14:15], 3
	v_add_nc_u64_e32 v[6:7], s[34:35], v[12:13]
	v_add_nc_u64_e32 v[12:13], v[14:15], v[2:3]
	s_lshl_b64 s[34:35], s[6:7], 4
	v_lshl_add_u64 v[2:3], v[10:11], 2, s[4:5]
	v_cndmask_b32_e64 v10, 0, 1, s0
	v_lshlrev_b64_e32 v[8:9], 2, v[8:9]
	s_lshl_b64 s[4:5], s[26:27], 1
	v_lshl_add_u64 v[4:5], v[6:7], 1, s[18:19]
	v_lshl_add_u64 v[6:7], v[12:13], 1, s[12:13]
	v_cmp_ne_u32_e64 s0, 1, v10
	s_lshl_b64 s[6:7], s[24:25], 3
	s_lshl_b64 s[12:13], s[16:17], 1
	;; [unrolled: 1-line block ×4, first 2 shown]
	s_branch .LBB397_3
.LBB397_2:                              ;   in Loop: Header=BB397_3 Depth=1
	s_add_co_i32 s2, s2, 0x10000
	s_delay_alu instid0(SALU_CYCLE_1)
	s_cmp_lt_i32 s2, s31
	s_cbranch_scc0 .LBB397_10
.LBB397_3:                              ; =>This Loop Header: Depth=1
                                        ;     Child Loop BB397_5 Depth 2
	v_dual_mov_b32 v25, 0 :: v_dual_mov_b32 v24, 0
	v_dual_mov_b32 v23, 0 :: v_dual_mov_b32 v22, 0
	v_dual_mov_b32 v21, 0 :: v_dual_mov_b32 v20, 0
	s_wait_xcnt 0x6
	v_dual_mov_b32 v19, 0 :: v_dual_mov_b32 v18, 0
	s_wait_xcnt 0x1
	v_dual_mov_b32 v17, 0 :: v_dual_mov_b32 v16, 0
	;; [unrolled: 2-line block ×3, first 2 shown]
	v_dual_mov_b32 v13, 0 :: v_dual_mov_b32 v12, 0
	v_dual_mov_b32 v11, 0 :: v_dual_mov_b32 v10, 0
	s_and_b32 vcc_lo, exec_lo, s0
	s_cbranch_vccnz .LBB397_6
; %bb.4:                                ;   in Loop: Header=BB397_3 Depth=1
	v_mad_nc_u64_u32 v[26:27], s4, s2, v[4:5]
	v_mad_nc_u64_u32 v[28:29], s12, s2, v[6:7]
	v_mov_b32_e32 v10, 0
	s_mov_b64 s[20:21], 0
	s_delay_alu instid0(VALU_DEP_1)
	v_dual_mov_b32 v11, v10 :: v_dual_mov_b32 v12, v10
	v_dual_mov_b32 v13, v10 :: v_dual_mov_b32 v14, v10
	v_mad_u32 v27, s5, s2, v27
	v_mad_u32 v29, s13, s2, v29
	v_dual_mov_b32 v15, v10 :: v_dual_mov_b32 v16, v10
	v_dual_mov_b32 v17, v10 :: v_dual_mov_b32 v18, v10
	;; [unrolled: 1-line block ×5, first 2 shown]
	v_mov_b32_e32 v25, v10
.LBB397_5:                              ;   Parent Loop BB397_3 Depth=1
                                        ; =>  This Inner Loop Header: Depth=2
	global_load_u16 v34, v[28:29], off
	global_load_u16 v35, v[26:27], off
	s_add_nc_u64 s[20:21], s[20:21], 4
	s_wait_xcnt 0x0
	v_add_nc_u64_e32 v[26:27], s[6:7], v[26:27]
	v_cmp_lt_i64_e64 s24, s[20:21], s[28:29]
	v_add_nc_u64_e32 v[28:29], s[14:15], v[28:29]
	s_and_b32 vcc_lo, exec_lo, s24
	s_wait_loadcnt 0x1
	v_cvt_f32_f16_e32 v34, v34
	s_wait_loadcnt 0x0
	v_cvt_f32_f16_e32 v35, v35
	ds_store_b32 v30, v34
	ds_store_b32 v31, v35
	s_wait_dscnt 0x0
	s_barrier_signal -1
	s_barrier_wait -1
	ds_load_2addr_b32 v[50:51], v32 offset1:16
	ds_load_2addr_b32 v[52:53], v32 offset0:64 offset1:80
	ds_load_2addr_b32 v[54:55], v32 offset0:128 offset1:144
	;; [unrolled: 1-line block ×6, first 2 shown]
	ds_load_b128 v[34:37], v33
	ds_load_b128 v[38:41], v33 offset:256
	ds_load_2addr_b32 v[64:65], v32 offset0:224 offset1:240
	ds_load_b128 v[42:45], v33 offset:512
	ds_load_b128 v[46:49], v33 offset:768
	s_wait_dscnt 0x0
	s_barrier_signal -1
	s_barrier_wait -1
	v_dual_mov_b32 v66, v51 :: v_dual_mov_b32 v67, v50
	v_dual_mov_b32 v50, v53 :: v_dual_mov_b32 v51, v52
	;; [unrolled: 1-line block ×6, first 2 shown]
	v_pk_fma_f32 v[24:25], v[66:67], v[34:35], v[24:25] op_sel_hi:[1,0,1]
	v_pk_fma_f32 v[20:21], v[66:67], v[38:39], v[20:21] op_sel_hi:[1,0,1]
	s_delay_alu instid0(VALU_DEP_4)
	v_pk_fma_f32 v[22:23], v[56:57], v[34:35], v[22:23] op_sel_hi:[1,0,1]
	v_pk_fma_f32 v[16:17], v[66:67], v[42:43], v[16:17] op_sel_hi:[1,0,1]
	;; [unrolled: 1-line block ×6, first 2 shown]
	v_dual_mov_b32 v60, v63 :: v_dual_mov_b32 v61, v62
	v_pk_fma_f32 v[24:25], v[50:51], v[34:35], v[24:25] op_sel:[0,1,0]
	v_pk_fma_f32 v[22:23], v[58:59], v[34:35], v[22:23] op_sel:[0,1,0]
	;; [unrolled: 1-line block ×8, first 2 shown]
	v_dual_mov_b32 v62, v37 :: v_dual_mov_b32 v68, v65
	v_dual_mov_b32 v69, v64 :: v_dual_mov_b32 v64, v41
	;; [unrolled: 1-line block ×3, first 2 shown]
	v_pk_fma_f32 v[24:25], v[52:53], v[36:37], v[24:25] op_sel_hi:[1,0,1]
	v_pk_fma_f32 v[22:23], v[60:61], v[36:37], v[22:23] op_sel_hi:[1,0,1]
	;; [unrolled: 1-line block ×16, first 2 shown]
	s_cbranch_vccnz .LBB397_5
.LBB397_6:                              ;   in Loop: Header=BB397_3 Depth=1
	s_mul_u64 s[20:21], s[22:23], s[2:3]
	s_and_not1_b32 vcc_lo, exec_lo, s1
	s_lshl_b64 s[20:21], s[20:21], 2
	s_delay_alu instid0(SALU_CYCLE_1) | instskip(NEXT) | instid1(SALU_CYCLE_1)
	s_add_nc_u64 s[20:21], s[10:11], s[20:21]
	v_lshl_add_u64 v[26:27], v[0:1], 2, s[20:21]
	s_delay_alu instid0(VALU_DEP_1)
	v_add_nc_u64_e32 v[28:29], v[26:27], v[8:9]
	v_add_nc_u64_e32 v[26:27], s[16:17], v[26:27]
	s_cbranch_vccnz .LBB397_8
; %bb.7:                                ;   in Loop: Header=BB397_3 Depth=1
	v_dual_mul_f32 v36, s30, v25 :: v_dual_mul_f32 v37, s30, v24
	s_delay_alu instid0(VALU_DEP_2)
	v_add_nc_u64_e32 v[34:35], s[16:17], v[26:27]
	v_dual_mul_f32 v38, s30, v23 :: v_dual_mul_f32 v39, s30, v22
	s_clause 0x3
	global_store_b32 v[28:29], v36, off
	global_store_b32 v[28:29], v37, off offset:64
	global_store_b32 v[28:29], v38, off offset:128
	global_store_b32 v[28:29], v39, off offset:192
	s_wait_xcnt 0x2
	v_add_nc_u64_e32 v[36:37], v[26:27], v[8:9]
	v_dual_mul_f32 v40, s30, v21 :: v_dual_mul_f32 v41, s30, v20
	s_wait_xcnt 0x0
	v_add_nc_u64_e32 v[38:39], v[34:35], v[8:9]
	v_add_nc_u64_e32 v[34:35], s[16:17], v[34:35]
	v_dual_mul_f32 v42, s30, v19 :: v_dual_mul_f32 v43, s30, v18
	s_clause 0x3
	global_store_b32 v[36:37], v40, off
	global_store_b32 v[36:37], v41, off offset:64
	global_store_b32 v[36:37], v42, off offset:128
	;; [unrolled: 1-line block ×3, first 2 shown]
	s_wait_xcnt 0x0
	v_dual_mul_f32 v36, s30, v17 :: v_dual_mul_f32 v37, s30, v16
	v_dual_mul_f32 v40, s30, v15 :: v_dual_mul_f32 v41, s30, v14
	v_add_nc_u64_e32 v[34:35], v[34:35], v[8:9]
	s_clause 0x3
	global_store_b32 v[38:39], v36, off
	global_store_b32 v[38:39], v37, off offset:64
	global_store_b32 v[38:39], v40, off offset:128
	;; [unrolled: 1-line block ×3, first 2 shown]
	s_wait_xcnt 0x2
	v_dual_mul_f32 v36, s30, v13 :: v_dual_mul_f32 v37, s30, v12
	s_wait_xcnt 0x0
	v_dual_mul_f32 v38, s30, v11 :: v_dual_mul_f32 v39, s30, v10
	s_clause 0x3
	global_store_b32 v[34:35], v36, off
	global_store_b32 v[34:35], v37, off offset:64
	global_store_b32 v[34:35], v38, off offset:128
	;; [unrolled: 1-line block ×3, first 2 shown]
	s_cbranch_execnz .LBB397_2
	s_branch .LBB397_9
.LBB397_8:                              ;   in Loop: Header=BB397_3 Depth=1
.LBB397_9:                              ;   in Loop: Header=BB397_3 Depth=1
	s_mul_u64 s[20:21], s[8:9], s[2:3]
	s_wait_xcnt 0x0
	v_lshl_add_u64 v[34:35], s[20:21], 2, v[2:3]
	s_delay_alu instid0(VALU_DEP_1) | instskip(SKIP_3) | instid1(VALU_DEP_1)
	v_add_nc_u64_e32 v[36:37], v[34:35], v[8:9]
	global_load_b32 v38, v[36:37], off
	s_wait_loadcnt 0x0
	v_mul_f32_e32 v38, s33, v38
	v_fmac_f32_e32 v38, s30, v25
	global_store_b32 v[28:29], v38, off
	global_load_b32 v25, v[36:37], off offset:64
	s_wait_loadcnt 0x0
	v_mul_f32_e32 v25, s33, v25
	s_delay_alu instid0(VALU_DEP_1) | instskip(SKIP_4) | instid1(VALU_DEP_1)
	v_fmac_f32_e32 v25, s30, v24
	global_store_b32 v[28:29], v25, off offset:64
	global_load_b32 v24, v[36:37], off offset:128
	s_wait_loadcnt 0x0
	v_mul_f32_e32 v24, s33, v24
	v_fmac_f32_e32 v24, s30, v23
	global_store_b32 v[28:29], v24, off offset:128
	global_load_b32 v23, v[36:37], off offset:192
	s_wait_xcnt 0x1
	v_add_nc_u64_e32 v[24:25], s[18:19], v[34:35]
	s_delay_alu instid0(VALU_DEP_1) | instskip(SKIP_2) | instid1(VALU_DEP_1)
	v_add_nc_u64_e32 v[34:35], v[24:25], v[8:9]
	s_wait_loadcnt 0x0
	v_mul_f32_e32 v23, s33, v23
	v_fmac_f32_e32 v23, s30, v22
	global_store_b32 v[28:29], v23, off offset:192
	global_load_b32 v22, v[34:35], off
	s_wait_loadcnt 0x0
	s_wait_xcnt 0x1
	v_mul_f32_e32 v28, s33, v22
	v_add_nc_u64_e32 v[22:23], v[26:27], v[8:9]
	s_delay_alu instid0(VALU_DEP_2) | instskip(SKIP_4) | instid1(VALU_DEP_1)
	v_fmac_f32_e32 v28, s30, v21
	global_store_b32 v[22:23], v28, off
	global_load_b32 v21, v[34:35], off offset:64
	s_wait_loadcnt 0x0
	v_mul_f32_e32 v21, s33, v21
	v_fmac_f32_e32 v21, s30, v20
	global_store_b32 v[22:23], v21, off offset:64
	global_load_b32 v20, v[34:35], off offset:128
	s_wait_loadcnt 0x0
	v_mul_f32_e32 v20, s33, v20
	s_delay_alu instid0(VALU_DEP_1) | instskip(SKIP_4) | instid1(VALU_DEP_1)
	v_fmac_f32_e32 v20, s30, v19
	global_store_b32 v[22:23], v20, off offset:128
	global_load_b32 v19, v[34:35], off offset:192
	s_wait_xcnt 0x1
	v_add_nc_u64_e32 v[20:21], s[18:19], v[24:25]
	v_add_nc_u64_e32 v[24:25], v[20:21], v[8:9]
	s_wait_loadcnt 0x0
	v_mul_f32_e32 v19, s33, v19
	s_delay_alu instid0(VALU_DEP_1)
	v_fmac_f32_e32 v19, s30, v18
	global_store_b32 v[22:23], v19, off offset:192
	global_load_b32 v22, v[24:25], off
	v_add_nc_u64_e32 v[18:19], s[16:17], v[26:27]
	s_wait_loadcnt 0x0
	v_mul_f32_e32 v26, s33, v22
	s_delay_alu instid0(VALU_DEP_2) | instskip(NEXT) | instid1(VALU_DEP_2)
	v_add_nc_u64_e32 v[22:23], v[18:19], v[8:9]
	v_fmac_f32_e32 v26, s30, v17
	global_store_b32 v[22:23], v26, off
	global_load_b32 v17, v[24:25], off offset:64
	s_wait_loadcnt 0x0
	v_mul_f32_e32 v17, s33, v17
	s_delay_alu instid0(VALU_DEP_1) | instskip(SKIP_4) | instid1(VALU_DEP_1)
	v_fmac_f32_e32 v17, s30, v16
	global_store_b32 v[22:23], v17, off offset:64
	global_load_b32 v16, v[24:25], off offset:128
	s_wait_loadcnt 0x0
	v_mul_f32_e32 v16, s33, v16
	v_fmac_f32_e32 v16, s30, v15
	global_store_b32 v[22:23], v16, off offset:128
	global_load_b32 v15, v[24:25], off offset:192
	s_wait_xcnt 0x1
	v_add_nc_u64_e32 v[16:17], s[18:19], v[20:21]
	s_delay_alu instid0(VALU_DEP_1) | instskip(SKIP_2) | instid1(VALU_DEP_1)
	v_add_nc_u64_e32 v[16:17], v[16:17], v[8:9]
	s_wait_loadcnt 0x0
	v_mul_f32_e32 v15, s33, v15
	v_fmac_f32_e32 v15, s30, v14
	global_store_b32 v[22:23], v15, off offset:192
	global_load_b32 v20, v[16:17], off
	s_wait_xcnt 0x1
	v_add_nc_u64_e32 v[14:15], s[16:17], v[18:19]
	s_delay_alu instid0(VALU_DEP_1) | instskip(SKIP_2) | instid1(VALU_DEP_1)
	v_add_nc_u64_e32 v[14:15], v[14:15], v[8:9]
	s_wait_loadcnt 0x0
	v_mul_f32_e32 v18, s33, v20
	v_fmac_f32_e32 v18, s30, v13
	global_store_b32 v[14:15], v18, off
	global_load_b32 v13, v[16:17], off offset:64
	s_wait_loadcnt 0x0
	v_mul_f32_e32 v13, s33, v13
	s_delay_alu instid0(VALU_DEP_1) | instskip(SKIP_4) | instid1(VALU_DEP_1)
	v_fmac_f32_e32 v13, s30, v12
	global_store_b32 v[14:15], v13, off offset:64
	global_load_b32 v12, v[16:17], off offset:128
	s_wait_loadcnt 0x0
	v_mul_f32_e32 v12, s33, v12
	v_fmac_f32_e32 v12, s30, v11
	global_store_b32 v[14:15], v12, off offset:128
	global_load_b32 v11, v[16:17], off offset:192
	s_wait_loadcnt 0x0
	v_mul_f32_e32 v11, s33, v11
	s_delay_alu instid0(VALU_DEP_1)
	v_fmac_f32_e32 v11, s30, v10
	global_store_b32 v[14:15], v11, off offset:192
	s_branch .LBB397_2
.LBB397_10:
	s_sendmsg sendmsg(MSG_DEALLOC_VGPRS)
	s_endpgm
	.section	.rodata,"a",@progbits
	.p2align	6, 0x0
	.amdhsa_kernel _ZN12_GLOBAL__N_127rocblas_gemm_batched_kernelIfLi16ELi16ELi64ELi64ELi4ELi64ELi4ELi4ELi64ELc78ELc67EKDF16_KffEEvlllT_PT11_llS5_llS3_PT12_llPT13_lli
		.amdhsa_group_segment_fixed_size 2048
		.amdhsa_private_segment_fixed_size 0
		.amdhsa_kernarg_size 140
		.amdhsa_user_sgpr_count 2
		.amdhsa_user_sgpr_dispatch_ptr 0
		.amdhsa_user_sgpr_queue_ptr 0
		.amdhsa_user_sgpr_kernarg_segment_ptr 1
		.amdhsa_user_sgpr_dispatch_id 0
		.amdhsa_user_sgpr_kernarg_preload_length 0
		.amdhsa_user_sgpr_kernarg_preload_offset 0
		.amdhsa_user_sgpr_private_segment_size 0
		.amdhsa_wavefront_size32 1
		.amdhsa_uses_dynamic_stack 0
		.amdhsa_enable_private_segment 0
		.amdhsa_system_sgpr_workgroup_id_x 1
		.amdhsa_system_sgpr_workgroup_id_y 1
		.amdhsa_system_sgpr_workgroup_id_z 1
		.amdhsa_system_sgpr_workgroup_info 0
		.amdhsa_system_vgpr_workitem_id 1
		.amdhsa_next_free_vgpr 74
		.amdhsa_next_free_sgpr 38
		.amdhsa_named_barrier_count 0
		.amdhsa_reserve_vcc 1
		.amdhsa_float_round_mode_32 0
		.amdhsa_float_round_mode_16_64 0
		.amdhsa_float_denorm_mode_32 3
		.amdhsa_float_denorm_mode_16_64 3
		.amdhsa_fp16_overflow 0
		.amdhsa_memory_ordered 1
		.amdhsa_forward_progress 1
		.amdhsa_inst_pref_size 19
		.amdhsa_round_robin_scheduling 0
		.amdhsa_exception_fp_ieee_invalid_op 0
		.amdhsa_exception_fp_denorm_src 0
		.amdhsa_exception_fp_ieee_div_zero 0
		.amdhsa_exception_fp_ieee_overflow 0
		.amdhsa_exception_fp_ieee_underflow 0
		.amdhsa_exception_fp_ieee_inexact 0
		.amdhsa_exception_int_div_zero 0
	.end_amdhsa_kernel
	.section	.text._ZN12_GLOBAL__N_127rocblas_gemm_batched_kernelIfLi16ELi16ELi64ELi64ELi4ELi64ELi4ELi4ELi64ELc78ELc67EKDF16_KffEEvlllT_PT11_llS5_llS3_PT12_llPT13_lli,"axG",@progbits,_ZN12_GLOBAL__N_127rocblas_gemm_batched_kernelIfLi16ELi16ELi64ELi64ELi4ELi64ELi4ELi4ELi64ELc78ELc67EKDF16_KffEEvlllT_PT11_llS5_llS3_PT12_llPT13_lli,comdat
.Lfunc_end397:
	.size	_ZN12_GLOBAL__N_127rocblas_gemm_batched_kernelIfLi16ELi16ELi64ELi64ELi4ELi64ELi4ELi4ELi64ELc78ELc67EKDF16_KffEEvlllT_PT11_llS5_llS3_PT12_llPT13_lli, .Lfunc_end397-_ZN12_GLOBAL__N_127rocblas_gemm_batched_kernelIfLi16ELi16ELi64ELi64ELi4ELi64ELi4ELi4ELi64ELc78ELc67EKDF16_KffEEvlllT_PT11_llS5_llS3_PT12_llPT13_lli
                                        ; -- End function
	.set _ZN12_GLOBAL__N_127rocblas_gemm_batched_kernelIfLi16ELi16ELi64ELi64ELi4ELi64ELi4ELi4ELi64ELc78ELc67EKDF16_KffEEvlllT_PT11_llS5_llS3_PT12_llPT13_lli.num_vgpr, 74
	.set _ZN12_GLOBAL__N_127rocblas_gemm_batched_kernelIfLi16ELi16ELi64ELi64ELi4ELi64ELi4ELi4ELi64ELc78ELc67EKDF16_KffEEvlllT_PT11_llS5_llS3_PT12_llPT13_lli.num_agpr, 0
	.set _ZN12_GLOBAL__N_127rocblas_gemm_batched_kernelIfLi16ELi16ELi64ELi64ELi4ELi64ELi4ELi4ELi64ELc78ELc67EKDF16_KffEEvlllT_PT11_llS5_llS3_PT12_llPT13_lli.numbered_sgpr, 38
	.set _ZN12_GLOBAL__N_127rocblas_gemm_batched_kernelIfLi16ELi16ELi64ELi64ELi4ELi64ELi4ELi4ELi64ELc78ELc67EKDF16_KffEEvlllT_PT11_llS5_llS3_PT12_llPT13_lli.num_named_barrier, 0
	.set _ZN12_GLOBAL__N_127rocblas_gemm_batched_kernelIfLi16ELi16ELi64ELi64ELi4ELi64ELi4ELi4ELi64ELc78ELc67EKDF16_KffEEvlllT_PT11_llS5_llS3_PT12_llPT13_lli.private_seg_size, 0
	.set _ZN12_GLOBAL__N_127rocblas_gemm_batched_kernelIfLi16ELi16ELi64ELi64ELi4ELi64ELi4ELi4ELi64ELc78ELc67EKDF16_KffEEvlllT_PT11_llS5_llS3_PT12_llPT13_lli.uses_vcc, 1
	.set _ZN12_GLOBAL__N_127rocblas_gemm_batched_kernelIfLi16ELi16ELi64ELi64ELi4ELi64ELi4ELi4ELi64ELc78ELc67EKDF16_KffEEvlllT_PT11_llS5_llS3_PT12_llPT13_lli.uses_flat_scratch, 0
	.set _ZN12_GLOBAL__N_127rocblas_gemm_batched_kernelIfLi16ELi16ELi64ELi64ELi4ELi64ELi4ELi4ELi64ELc78ELc67EKDF16_KffEEvlllT_PT11_llS5_llS3_PT12_llPT13_lli.has_dyn_sized_stack, 0
	.set _ZN12_GLOBAL__N_127rocblas_gemm_batched_kernelIfLi16ELi16ELi64ELi64ELi4ELi64ELi4ELi4ELi64ELc78ELc67EKDF16_KffEEvlllT_PT11_llS5_llS3_PT12_llPT13_lli.has_recursion, 0
	.set _ZN12_GLOBAL__N_127rocblas_gemm_batched_kernelIfLi16ELi16ELi64ELi64ELi4ELi64ELi4ELi4ELi64ELc78ELc67EKDF16_KffEEvlllT_PT11_llS5_llS3_PT12_llPT13_lli.has_indirect_call, 0
	.section	.AMDGPU.csdata,"",@progbits
; Kernel info:
; codeLenInByte = 2336
; TotalNumSgprs: 40
; NumVgprs: 74
; ScratchSize: 0
; MemoryBound: 0
; FloatMode: 240
; IeeeMode: 1
; LDSByteSize: 2048 bytes/workgroup (compile time only)
; SGPRBlocks: 0
; VGPRBlocks: 4
; NumSGPRsForWavesPerEU: 40
; NumVGPRsForWavesPerEU: 74
; NamedBarCnt: 0
; Occupancy: 12
; WaveLimiterHint : 0
; COMPUTE_PGM_RSRC2:SCRATCH_EN: 0
; COMPUTE_PGM_RSRC2:USER_SGPR: 2
; COMPUTE_PGM_RSRC2:TRAP_HANDLER: 0
; COMPUTE_PGM_RSRC2:TGID_X_EN: 1
; COMPUTE_PGM_RSRC2:TGID_Y_EN: 1
; COMPUTE_PGM_RSRC2:TGID_Z_EN: 1
; COMPUTE_PGM_RSRC2:TIDIG_COMP_CNT: 1
	.section	.text._ZN12_GLOBAL__N_127rocblas_gemm_batched_kernelIfLi16ELi16ELi64ELi64ELi4ELi64ELi4ELi4ELi64ELc84ELc67EKDF16_KffEEvlllT_PT11_llS5_llS3_PT12_llPT13_lli,"axG",@progbits,_ZN12_GLOBAL__N_127rocblas_gemm_batched_kernelIfLi16ELi16ELi64ELi64ELi4ELi64ELi4ELi4ELi64ELc84ELc67EKDF16_KffEEvlllT_PT11_llS5_llS3_PT12_llPT13_lli,comdat
	.globl	_ZN12_GLOBAL__N_127rocblas_gemm_batched_kernelIfLi16ELi16ELi64ELi64ELi4ELi64ELi4ELi4ELi64ELc84ELc67EKDF16_KffEEvlllT_PT11_llS5_llS3_PT12_llPT13_lli ; -- Begin function _ZN12_GLOBAL__N_127rocblas_gemm_batched_kernelIfLi16ELi16ELi64ELi64ELi4ELi64ELi4ELi4ELi64ELc84ELc67EKDF16_KffEEvlllT_PT11_llS5_llS3_PT12_llPT13_lli
	.p2align	8
	.type	_ZN12_GLOBAL__N_127rocblas_gemm_batched_kernelIfLi16ELi16ELi64ELi64ELi4ELi64ELi4ELi4ELi64ELc84ELc67EKDF16_KffEEvlllT_PT11_llS5_llS3_PT12_llPT13_lli,@function
_ZN12_GLOBAL__N_127rocblas_gemm_batched_kernelIfLi16ELi16ELi64ELi64ELi4ELi64ELi4ELi4ELi64ELc84ELc67EKDF16_KffEEvlllT_PT11_llS5_llS3_PT12_llPT13_lli: ; @_ZN12_GLOBAL__N_127rocblas_gemm_batched_kernelIfLi16ELi16ELi64ELi64ELi4ELi64ELi4ELi4ELi64ELc84ELc67EKDF16_KffEEvlllT_PT11_llS5_llS3_PT12_llPT13_lli
; %bb.0:
	s_load_b32 s31, s[0:1], 0x88
	s_bfe_u32 s2, ttmp6, 0x40014
	s_lshr_b32 s3, ttmp7, 16
	s_add_co_i32 s2, s2, 1
	s_bfe_u32 s4, ttmp6, 0x40008
	s_mul_i32 s2, s3, s2
	s_getreg_b32 s20, hwreg(HW_REG_IB_STS2, 6, 4)
	s_add_co_i32 s4, s4, s2
	s_cmp_eq_u32 s20, 0
	s_cselect_b32 s2, s3, s4
	s_mov_b32 s3, 0
	s_wait_kmcnt 0x0
	s_cmp_ge_i32 s2, s31
	s_cbranch_scc1 .LBB398_10
; %bb.1:
	s_bfe_u32 s21, ttmp6, 0x4000c
	s_bfe_u32 s23, ttmp6, 0x40010
	s_add_co_i32 s21, s21, 1
	s_and_b32 s28, ttmp7, 0xffff
	s_add_co_i32 s23, s23, 1
	v_bfe_u32 v4, v0, 10, 10
	s_and_b32 s22, ttmp6, 15
	s_mul_i32 s21, ttmp9, s21
	s_mul_i32 s23, s28, s23
	s_bfe_u32 s29, ttmp6, 0x40004
	s_add_co_i32 s22, s22, s21
	s_add_co_i32 s29, s29, s23
	s_cmp_eq_u32 s20, 0
	v_and_b32_e32 v2, 0x3ff, v0
	v_dual_mov_b32 v5, 0 :: v_dual_lshlrev_b32 v16, 4, v4
	s_cselect_b32 s20, ttmp9, s22
	s_clause 0x2
	s_load_b256 s[12:19], s[0:1], 0x20
	s_load_b128 s[24:27], s[0:1], 0x40
	s_load_b256 s[4:11], s[0:1], 0x58
	s_cselect_b32 s22, s28, s29
	s_ashr_i32 s21, s20, 31
	s_lshl_b32 s34, s22, 6
	s_lshl_b64 s[36:37], s[20:21], 6
	v_add_nc_u32_e32 v1, v16, v2
	s_load_b128 s[20:23], s[0:1], 0x78
	s_mov_b32 s35, s3
	v_mov_b32_e32 v9, s37
	v_add_nc_u64_e32 v[6:7], s[34:35], v[4:5]
	v_and_b32_e32 v3, 63, v1
	s_clause 0x1
	s_load_b32 s33, s[0:1], 0x50
	s_load_b96 s[28:30], s[0:1], 0x10
	v_add_nc_u32_e32 v33, 0x400, v16
	v_dual_lshlrev_b32 v32, 2, v2 :: v_dual_bitop2_b32 v8, s36, v3 bitop3:0x54
	v_dual_lshrrev_b32 v10, 2, v1 :: v_dual_bitop2_b32 v4, 3, v0 bitop3:0x40
	v_mov_b32_e32 v11, v5
	s_wait_kmcnt 0x0
	s_delay_alu instid0(VALU_DEP_3)
	v_mul_u64_e32 v[8:9], s[14:15], v[8:9]
	v_mul_u64_e32 v[12:13], s[6:7], v[6:7]
	v_lshlrev_b32_e32 v17, 2, v4
	v_mad_nc_u64_u32 v[14:15], s24, v4, v[10:11]
	v_lshrrev_b32_e32 v11, 6, v1
	v_mul_u64_e32 v[0:1], s[20:21], v[6:7]
	v_dual_mov_b32 v3, v5 :: v_dual_lshlrev_b32 v6, 2, v3
	s_cmp_eq_f32 s33, 0
	v_cmp_gt_i64_e64 s0, s[28:29], 0
	s_delay_alu instid0(VALU_DEP_2)
	v_lshl_or_b32 v30, v11, 8, v6
	v_mad_u32 v15, s25, v4, v15
	v_lshl_or_b32 v4, v10, 4, v17
	s_cselect_b32 s1, -1, 0
	s_lshl_b64 s[14:15], s[20:21], 4
	s_lshl_b64 s[20:21], s[6:7], 4
	;; [unrolled: 1-line block ×3, first 2 shown]
	v_add_nc_u32_e32 v31, 0x400, v4
	v_lshlrev_b32_e32 v4, 1, v11
	v_add_nc_u64_e32 v[10:11], s[36:37], v[2:3]
	s_lshl_b64 s[14:15], s[14:15], 2
	v_add_nc_u64_e32 v[6:7], s[34:35], v[14:15]
	s_delay_alu instid0(VALU_DEP_3) | instskip(SKIP_2) | instid1(VALU_DEP_4)
	v_lshl_add_u64 v[8:9], v[8:9], 1, v[4:5]
	v_lshl_add_u64 v[2:3], v[12:13], 2, s[4:5]
	v_cndmask_b32_e64 v12, 0, 1, s0
	v_lshl_add_u64 v[4:5], v[6:7], 1, s[18:19]
	s_lshl_b64 s[4:5], s[26:27], 1
	v_add_nc_u64_e32 v[6:7], s[12:13], v[8:9]
	v_lshlrev_b64_e32 v[8:9], 2, v[10:11]
	v_cmp_ne_u32_e64 s0, 1, v12
	s_lshl_b64 s[12:13], s[16:17], 1
	s_lshl_b64 s[16:17], s[20:21], 2
	s_branch .LBB398_3
.LBB398_2:                              ;   in Loop: Header=BB398_3 Depth=1
	s_add_co_i32 s2, s2, 0x10000
	s_delay_alu instid0(SALU_CYCLE_1)
	s_cmp_lt_i32 s2, s31
	s_cbranch_scc0 .LBB398_10
.LBB398_3:                              ; =>This Loop Header: Depth=1
                                        ;     Child Loop BB398_5 Depth 2
	v_dual_mov_b32 v25, 0 :: v_dual_mov_b32 v24, 0
	v_dual_mov_b32 v23, 0 :: v_dual_mov_b32 v22, 0
	;; [unrolled: 1-line block ×3, first 2 shown]
	s_wait_xcnt 0x6
	v_dual_mov_b32 v19, 0 :: v_dual_mov_b32 v18, 0
	s_wait_xcnt 0x1
	v_dual_mov_b32 v17, 0 :: v_dual_mov_b32 v16, 0
	s_wait_xcnt 0x0
	v_dual_mov_b32 v15, 0 :: v_dual_mov_b32 v14, 0
	v_dual_mov_b32 v13, 0 :: v_dual_mov_b32 v12, 0
	v_dual_mov_b32 v11, 0 :: v_dual_mov_b32 v10, 0
	s_and_b32 vcc_lo, exec_lo, s0
	s_cbranch_vccnz .LBB398_6
; %bb.4:                                ;   in Loop: Header=BB398_3 Depth=1
	v_mad_nc_u64_u32 v[26:27], s4, s2, v[4:5]
	v_mad_nc_u64_u32 v[28:29], s12, s2, v[6:7]
	v_mov_b32_e32 v10, 0
	s_mov_b64 s[18:19], 0
	s_delay_alu instid0(VALU_DEP_1)
	v_dual_mov_b32 v11, v10 :: v_dual_mov_b32 v12, v10
	v_dual_mov_b32 v13, v10 :: v_dual_mov_b32 v14, v10
	v_mad_u32 v27, s5, s2, v27
	v_mad_u32 v29, s13, s2, v29
	v_dual_mov_b32 v15, v10 :: v_dual_mov_b32 v16, v10
	v_dual_mov_b32 v17, v10 :: v_dual_mov_b32 v18, v10
	;; [unrolled: 1-line block ×5, first 2 shown]
	v_mov_b32_e32 v25, v10
.LBB398_5:                              ;   Parent Loop BB398_3 Depth=1
                                        ; =>  This Inner Loop Header: Depth=2
	global_load_u16 v34, v[28:29], off
	global_load_u16 v35, v[26:27], off
	s_add_nc_u64 s[18:19], s[18:19], 4
	s_wait_xcnt 0x0
	v_add_nc_u64_e32 v[26:27], s[6:7], v[26:27]
	v_cmp_lt_i64_e64 s20, s[18:19], s[28:29]
	v_add_nc_u64_e32 v[28:29], 8, v[28:29]
	s_and_b32 vcc_lo, exec_lo, s20
	s_wait_loadcnt 0x1
	v_cvt_f32_f16_e32 v34, v34
	s_wait_loadcnt 0x0
	v_cvt_f32_f16_e32 v35, v35
	ds_store_b32 v30, v34
	ds_store_b32 v31, v35
	s_wait_dscnt 0x0
	s_barrier_signal -1
	s_barrier_wait -1
	ds_load_2addr_b32 v[50:51], v32 offset1:16
	ds_load_2addr_b32 v[52:53], v32 offset0:64 offset1:80
	ds_load_2addr_b32 v[54:55], v32 offset0:128 offset1:144
	ds_load_2addr_b32 v[56:57], v32 offset0:192 offset1:208
	ds_load_2addr_b32 v[58:59], v32 offset0:32 offset1:48
	ds_load_2addr_b32 v[60:61], v32 offset0:96 offset1:112
	ds_load_2addr_b32 v[62:63], v32 offset0:160 offset1:176
	ds_load_b128 v[34:37], v33
	ds_load_b128 v[38:41], v33 offset:256
	ds_load_2addr_b32 v[64:65], v32 offset0:224 offset1:240
	ds_load_b128 v[42:45], v33 offset:512
	ds_load_b128 v[46:49], v33 offset:768
	s_wait_dscnt 0x0
	s_barrier_signal -1
	s_barrier_wait -1
	v_dual_mov_b32 v66, v51 :: v_dual_mov_b32 v67, v50
	v_dual_mov_b32 v50, v53 :: v_dual_mov_b32 v51, v52
	;; [unrolled: 1-line block ×6, first 2 shown]
	v_pk_fma_f32 v[24:25], v[66:67], v[34:35], v[24:25] op_sel_hi:[1,0,1]
	v_pk_fma_f32 v[20:21], v[66:67], v[38:39], v[20:21] op_sel_hi:[1,0,1]
	s_delay_alu instid0(VALU_DEP_4)
	v_pk_fma_f32 v[22:23], v[56:57], v[34:35], v[22:23] op_sel_hi:[1,0,1]
	v_pk_fma_f32 v[16:17], v[66:67], v[42:43], v[16:17] op_sel_hi:[1,0,1]
	;; [unrolled: 1-line block ×6, first 2 shown]
	v_dual_mov_b32 v60, v63 :: v_dual_mov_b32 v61, v62
	v_pk_fma_f32 v[24:25], v[50:51], v[34:35], v[24:25] op_sel:[0,1,0]
	v_pk_fma_f32 v[22:23], v[58:59], v[34:35], v[22:23] op_sel:[0,1,0]
	;; [unrolled: 1-line block ×8, first 2 shown]
	v_dual_mov_b32 v62, v37 :: v_dual_mov_b32 v68, v65
	v_dual_mov_b32 v69, v64 :: v_dual_mov_b32 v64, v41
	;; [unrolled: 1-line block ×3, first 2 shown]
	v_pk_fma_f32 v[24:25], v[52:53], v[36:37], v[24:25] op_sel_hi:[1,0,1]
	v_pk_fma_f32 v[22:23], v[60:61], v[36:37], v[22:23] op_sel_hi:[1,0,1]
	;; [unrolled: 1-line block ×16, first 2 shown]
	s_cbranch_vccnz .LBB398_5
.LBB398_6:                              ;   in Loop: Header=BB398_3 Depth=1
	s_mul_u64 s[18:19], s[22:23], s[2:3]
	s_and_not1_b32 vcc_lo, exec_lo, s1
	s_lshl_b64 s[18:19], s[18:19], 2
	s_delay_alu instid0(SALU_CYCLE_1) | instskip(NEXT) | instid1(SALU_CYCLE_1)
	s_add_nc_u64 s[18:19], s[10:11], s[18:19]
	v_lshl_add_u64 v[26:27], v[0:1], 2, s[18:19]
	s_delay_alu instid0(VALU_DEP_1)
	v_add_nc_u64_e32 v[28:29], v[26:27], v[8:9]
	v_add_nc_u64_e32 v[26:27], s[14:15], v[26:27]
	s_cbranch_vccnz .LBB398_8
; %bb.7:                                ;   in Loop: Header=BB398_3 Depth=1
	v_dual_mul_f32 v36, s30, v25 :: v_dual_mul_f32 v37, s30, v24
	s_delay_alu instid0(VALU_DEP_2)
	v_add_nc_u64_e32 v[34:35], s[14:15], v[26:27]
	v_dual_mul_f32 v38, s30, v23 :: v_dual_mul_f32 v39, s30, v22
	s_clause 0x3
	global_store_b32 v[28:29], v36, off
	global_store_b32 v[28:29], v37, off offset:64
	global_store_b32 v[28:29], v38, off offset:128
	;; [unrolled: 1-line block ×3, first 2 shown]
	s_wait_xcnt 0x2
	v_add_nc_u64_e32 v[36:37], v[26:27], v[8:9]
	v_dual_mul_f32 v40, s30, v21 :: v_dual_mul_f32 v41, s30, v20
	s_wait_xcnt 0x0
	v_add_nc_u64_e32 v[38:39], v[34:35], v[8:9]
	v_add_nc_u64_e32 v[34:35], s[14:15], v[34:35]
	v_dual_mul_f32 v42, s30, v19 :: v_dual_mul_f32 v43, s30, v18
	s_clause 0x3
	global_store_b32 v[36:37], v40, off
	global_store_b32 v[36:37], v41, off offset:64
	global_store_b32 v[36:37], v42, off offset:128
	;; [unrolled: 1-line block ×3, first 2 shown]
	s_wait_xcnt 0x0
	v_dual_mul_f32 v36, s30, v17 :: v_dual_mul_f32 v37, s30, v16
	v_dual_mul_f32 v40, s30, v15 :: v_dual_mul_f32 v41, s30, v14
	v_add_nc_u64_e32 v[34:35], v[34:35], v[8:9]
	s_clause 0x3
	global_store_b32 v[38:39], v36, off
	global_store_b32 v[38:39], v37, off offset:64
	global_store_b32 v[38:39], v40, off offset:128
	;; [unrolled: 1-line block ×3, first 2 shown]
	s_wait_xcnt 0x2
	v_dual_mul_f32 v36, s30, v13 :: v_dual_mul_f32 v37, s30, v12
	s_wait_xcnt 0x0
	v_dual_mul_f32 v38, s30, v11 :: v_dual_mul_f32 v39, s30, v10
	s_clause 0x3
	global_store_b32 v[34:35], v36, off
	global_store_b32 v[34:35], v37, off offset:64
	global_store_b32 v[34:35], v38, off offset:128
	;; [unrolled: 1-line block ×3, first 2 shown]
	s_cbranch_execnz .LBB398_2
	s_branch .LBB398_9
.LBB398_8:                              ;   in Loop: Header=BB398_3 Depth=1
.LBB398_9:                              ;   in Loop: Header=BB398_3 Depth=1
	s_mul_u64 s[18:19], s[8:9], s[2:3]
	s_wait_xcnt 0x0
	v_lshl_add_u64 v[34:35], s[18:19], 2, v[2:3]
	s_delay_alu instid0(VALU_DEP_1) | instskip(SKIP_3) | instid1(VALU_DEP_1)
	v_add_nc_u64_e32 v[36:37], v[34:35], v[8:9]
	global_load_b32 v38, v[36:37], off
	s_wait_loadcnt 0x0
	v_mul_f32_e32 v38, s33, v38
	v_fmac_f32_e32 v38, s30, v25
	global_store_b32 v[28:29], v38, off
	global_load_b32 v25, v[36:37], off offset:64
	s_wait_loadcnt 0x0
	v_mul_f32_e32 v25, s33, v25
	s_delay_alu instid0(VALU_DEP_1) | instskip(SKIP_4) | instid1(VALU_DEP_1)
	v_fmac_f32_e32 v25, s30, v24
	global_store_b32 v[28:29], v25, off offset:64
	global_load_b32 v24, v[36:37], off offset:128
	s_wait_loadcnt 0x0
	v_mul_f32_e32 v24, s33, v24
	v_fmac_f32_e32 v24, s30, v23
	global_store_b32 v[28:29], v24, off offset:128
	global_load_b32 v23, v[36:37], off offset:192
	s_wait_xcnt 0x1
	v_add_nc_u64_e32 v[24:25], s[16:17], v[34:35]
	s_delay_alu instid0(VALU_DEP_1) | instskip(SKIP_2) | instid1(VALU_DEP_1)
	v_add_nc_u64_e32 v[34:35], v[24:25], v[8:9]
	s_wait_loadcnt 0x0
	v_mul_f32_e32 v23, s33, v23
	v_fmac_f32_e32 v23, s30, v22
	global_store_b32 v[28:29], v23, off offset:192
	global_load_b32 v22, v[34:35], off
	s_wait_loadcnt 0x0
	s_wait_xcnt 0x1
	v_mul_f32_e32 v28, s33, v22
	v_add_nc_u64_e32 v[22:23], v[26:27], v[8:9]
	s_delay_alu instid0(VALU_DEP_2) | instskip(SKIP_4) | instid1(VALU_DEP_1)
	v_fmac_f32_e32 v28, s30, v21
	global_store_b32 v[22:23], v28, off
	global_load_b32 v21, v[34:35], off offset:64
	s_wait_loadcnt 0x0
	v_mul_f32_e32 v21, s33, v21
	v_fmac_f32_e32 v21, s30, v20
	global_store_b32 v[22:23], v21, off offset:64
	global_load_b32 v20, v[34:35], off offset:128
	s_wait_loadcnt 0x0
	v_mul_f32_e32 v20, s33, v20
	s_delay_alu instid0(VALU_DEP_1) | instskip(SKIP_4) | instid1(VALU_DEP_1)
	v_fmac_f32_e32 v20, s30, v19
	global_store_b32 v[22:23], v20, off offset:128
	global_load_b32 v19, v[34:35], off offset:192
	s_wait_xcnt 0x1
	v_add_nc_u64_e32 v[20:21], s[16:17], v[24:25]
	v_add_nc_u64_e32 v[24:25], v[20:21], v[8:9]
	s_wait_loadcnt 0x0
	v_mul_f32_e32 v19, s33, v19
	s_delay_alu instid0(VALU_DEP_1)
	v_fmac_f32_e32 v19, s30, v18
	global_store_b32 v[22:23], v19, off offset:192
	global_load_b32 v22, v[24:25], off
	v_add_nc_u64_e32 v[18:19], s[14:15], v[26:27]
	s_wait_loadcnt 0x0
	v_mul_f32_e32 v26, s33, v22
	s_delay_alu instid0(VALU_DEP_2) | instskip(NEXT) | instid1(VALU_DEP_2)
	v_add_nc_u64_e32 v[22:23], v[18:19], v[8:9]
	v_fmac_f32_e32 v26, s30, v17
	global_store_b32 v[22:23], v26, off
	global_load_b32 v17, v[24:25], off offset:64
	s_wait_loadcnt 0x0
	v_mul_f32_e32 v17, s33, v17
	s_delay_alu instid0(VALU_DEP_1) | instskip(SKIP_4) | instid1(VALU_DEP_1)
	v_fmac_f32_e32 v17, s30, v16
	global_store_b32 v[22:23], v17, off offset:64
	global_load_b32 v16, v[24:25], off offset:128
	s_wait_loadcnt 0x0
	v_mul_f32_e32 v16, s33, v16
	v_fmac_f32_e32 v16, s30, v15
	global_store_b32 v[22:23], v16, off offset:128
	global_load_b32 v15, v[24:25], off offset:192
	s_wait_xcnt 0x1
	v_add_nc_u64_e32 v[16:17], s[16:17], v[20:21]
	s_delay_alu instid0(VALU_DEP_1) | instskip(SKIP_2) | instid1(VALU_DEP_1)
	v_add_nc_u64_e32 v[16:17], v[16:17], v[8:9]
	s_wait_loadcnt 0x0
	v_mul_f32_e32 v15, s33, v15
	v_fmac_f32_e32 v15, s30, v14
	global_store_b32 v[22:23], v15, off offset:192
	global_load_b32 v20, v[16:17], off
	s_wait_xcnt 0x1
	v_add_nc_u64_e32 v[14:15], s[14:15], v[18:19]
	s_delay_alu instid0(VALU_DEP_1) | instskip(SKIP_2) | instid1(VALU_DEP_1)
	v_add_nc_u64_e32 v[14:15], v[14:15], v[8:9]
	s_wait_loadcnt 0x0
	v_mul_f32_e32 v18, s33, v20
	v_fmac_f32_e32 v18, s30, v13
	global_store_b32 v[14:15], v18, off
	global_load_b32 v13, v[16:17], off offset:64
	s_wait_loadcnt 0x0
	v_mul_f32_e32 v13, s33, v13
	s_delay_alu instid0(VALU_DEP_1) | instskip(SKIP_4) | instid1(VALU_DEP_1)
	v_fmac_f32_e32 v13, s30, v12
	global_store_b32 v[14:15], v13, off offset:64
	global_load_b32 v12, v[16:17], off offset:128
	s_wait_loadcnt 0x0
	v_mul_f32_e32 v12, s33, v12
	v_fmac_f32_e32 v12, s30, v11
	global_store_b32 v[14:15], v12, off offset:128
	global_load_b32 v11, v[16:17], off offset:192
	s_wait_loadcnt 0x0
	v_mul_f32_e32 v11, s33, v11
	s_delay_alu instid0(VALU_DEP_1)
	v_fmac_f32_e32 v11, s30, v10
	global_store_b32 v[14:15], v11, off offset:192
	s_branch .LBB398_2
.LBB398_10:
	s_sendmsg sendmsg(MSG_DEALLOC_VGPRS)
	s_endpgm
	.section	.rodata,"a",@progbits
	.p2align	6, 0x0
	.amdhsa_kernel _ZN12_GLOBAL__N_127rocblas_gemm_batched_kernelIfLi16ELi16ELi64ELi64ELi4ELi64ELi4ELi4ELi64ELc84ELc67EKDF16_KffEEvlllT_PT11_llS5_llS3_PT12_llPT13_lli
		.amdhsa_group_segment_fixed_size 2048
		.amdhsa_private_segment_fixed_size 0
		.amdhsa_kernarg_size 140
		.amdhsa_user_sgpr_count 2
		.amdhsa_user_sgpr_dispatch_ptr 0
		.amdhsa_user_sgpr_queue_ptr 0
		.amdhsa_user_sgpr_kernarg_segment_ptr 1
		.amdhsa_user_sgpr_dispatch_id 0
		.amdhsa_user_sgpr_kernarg_preload_length 0
		.amdhsa_user_sgpr_kernarg_preload_offset 0
		.amdhsa_user_sgpr_private_segment_size 0
		.amdhsa_wavefront_size32 1
		.amdhsa_uses_dynamic_stack 0
		.amdhsa_enable_private_segment 0
		.amdhsa_system_sgpr_workgroup_id_x 1
		.amdhsa_system_sgpr_workgroup_id_y 1
		.amdhsa_system_sgpr_workgroup_id_z 1
		.amdhsa_system_sgpr_workgroup_info 0
		.amdhsa_system_vgpr_workitem_id 1
		.amdhsa_next_free_vgpr 74
		.amdhsa_next_free_sgpr 38
		.amdhsa_named_barrier_count 0
		.amdhsa_reserve_vcc 1
		.amdhsa_float_round_mode_32 0
		.amdhsa_float_round_mode_16_64 0
		.amdhsa_float_denorm_mode_32 3
		.amdhsa_float_denorm_mode_16_64 3
		.amdhsa_fp16_overflow 0
		.amdhsa_memory_ordered 1
		.amdhsa_forward_progress 1
		.amdhsa_inst_pref_size 19
		.amdhsa_round_robin_scheduling 0
		.amdhsa_exception_fp_ieee_invalid_op 0
		.amdhsa_exception_fp_denorm_src 0
		.amdhsa_exception_fp_ieee_div_zero 0
		.amdhsa_exception_fp_ieee_overflow 0
		.amdhsa_exception_fp_ieee_underflow 0
		.amdhsa_exception_fp_ieee_inexact 0
		.amdhsa_exception_int_div_zero 0
	.end_amdhsa_kernel
	.section	.text._ZN12_GLOBAL__N_127rocblas_gemm_batched_kernelIfLi16ELi16ELi64ELi64ELi4ELi64ELi4ELi4ELi64ELc84ELc67EKDF16_KffEEvlllT_PT11_llS5_llS3_PT12_llPT13_lli,"axG",@progbits,_ZN12_GLOBAL__N_127rocblas_gemm_batched_kernelIfLi16ELi16ELi64ELi64ELi4ELi64ELi4ELi4ELi64ELc84ELc67EKDF16_KffEEvlllT_PT11_llS5_llS3_PT12_llPT13_lli,comdat
.Lfunc_end398:
	.size	_ZN12_GLOBAL__N_127rocblas_gemm_batched_kernelIfLi16ELi16ELi64ELi64ELi4ELi64ELi4ELi4ELi64ELc84ELc67EKDF16_KffEEvlllT_PT11_llS5_llS3_PT12_llPT13_lli, .Lfunc_end398-_ZN12_GLOBAL__N_127rocblas_gemm_batched_kernelIfLi16ELi16ELi64ELi64ELi4ELi64ELi4ELi4ELi64ELc84ELc67EKDF16_KffEEvlllT_PT11_llS5_llS3_PT12_llPT13_lli
                                        ; -- End function
	.set _ZN12_GLOBAL__N_127rocblas_gemm_batched_kernelIfLi16ELi16ELi64ELi64ELi4ELi64ELi4ELi4ELi64ELc84ELc67EKDF16_KffEEvlllT_PT11_llS5_llS3_PT12_llPT13_lli.num_vgpr, 74
	.set _ZN12_GLOBAL__N_127rocblas_gemm_batched_kernelIfLi16ELi16ELi64ELi64ELi4ELi64ELi4ELi4ELi64ELc84ELc67EKDF16_KffEEvlllT_PT11_llS5_llS3_PT12_llPT13_lli.num_agpr, 0
	.set _ZN12_GLOBAL__N_127rocblas_gemm_batched_kernelIfLi16ELi16ELi64ELi64ELi4ELi64ELi4ELi4ELi64ELc84ELc67EKDF16_KffEEvlllT_PT11_llS5_llS3_PT12_llPT13_lli.numbered_sgpr, 38
	.set _ZN12_GLOBAL__N_127rocblas_gemm_batched_kernelIfLi16ELi16ELi64ELi64ELi4ELi64ELi4ELi4ELi64ELc84ELc67EKDF16_KffEEvlllT_PT11_llS5_llS3_PT12_llPT13_lli.num_named_barrier, 0
	.set _ZN12_GLOBAL__N_127rocblas_gemm_batched_kernelIfLi16ELi16ELi64ELi64ELi4ELi64ELi4ELi4ELi64ELc84ELc67EKDF16_KffEEvlllT_PT11_llS5_llS3_PT12_llPT13_lli.private_seg_size, 0
	.set _ZN12_GLOBAL__N_127rocblas_gemm_batched_kernelIfLi16ELi16ELi64ELi64ELi4ELi64ELi4ELi4ELi64ELc84ELc67EKDF16_KffEEvlllT_PT11_llS5_llS3_PT12_llPT13_lli.uses_vcc, 1
	.set _ZN12_GLOBAL__N_127rocblas_gemm_batched_kernelIfLi16ELi16ELi64ELi64ELi4ELi64ELi4ELi4ELi64ELc84ELc67EKDF16_KffEEvlllT_PT11_llS5_llS3_PT12_llPT13_lli.uses_flat_scratch, 0
	.set _ZN12_GLOBAL__N_127rocblas_gemm_batched_kernelIfLi16ELi16ELi64ELi64ELi4ELi64ELi4ELi4ELi64ELc84ELc67EKDF16_KffEEvlllT_PT11_llS5_llS3_PT12_llPT13_lli.has_dyn_sized_stack, 0
	.set _ZN12_GLOBAL__N_127rocblas_gemm_batched_kernelIfLi16ELi16ELi64ELi64ELi4ELi64ELi4ELi4ELi64ELc84ELc67EKDF16_KffEEvlllT_PT11_llS5_llS3_PT12_llPT13_lli.has_recursion, 0
	.set _ZN12_GLOBAL__N_127rocblas_gemm_batched_kernelIfLi16ELi16ELi64ELi64ELi4ELi64ELi4ELi4ELi64ELc84ELc67EKDF16_KffEEvlllT_PT11_llS5_llS3_PT12_llPT13_lli.has_indirect_call, 0
	.section	.AMDGPU.csdata,"",@progbits
; Kernel info:
; codeLenInByte = 2332
; TotalNumSgprs: 40
; NumVgprs: 74
; ScratchSize: 0
; MemoryBound: 0
; FloatMode: 240
; IeeeMode: 1
; LDSByteSize: 2048 bytes/workgroup (compile time only)
; SGPRBlocks: 0
; VGPRBlocks: 4
; NumSGPRsForWavesPerEU: 40
; NumVGPRsForWavesPerEU: 74
; NamedBarCnt: 0
; Occupancy: 12
; WaveLimiterHint : 0
; COMPUTE_PGM_RSRC2:SCRATCH_EN: 0
; COMPUTE_PGM_RSRC2:USER_SGPR: 2
; COMPUTE_PGM_RSRC2:TRAP_HANDLER: 0
; COMPUTE_PGM_RSRC2:TGID_X_EN: 1
; COMPUTE_PGM_RSRC2:TGID_Y_EN: 1
; COMPUTE_PGM_RSRC2:TGID_Z_EN: 1
; COMPUTE_PGM_RSRC2:TIDIG_COMP_CNT: 1
	.section	.text._ZN12_GLOBAL__N_127rocblas_gemm_batched_kernelIfLi16ELi16ELi32ELi32ELi8ELi32ELi8ELi8ELi32ELc78ELc78EKDF16_KffEEvlllT_PT11_llS5_llS3_PT12_llPT13_lli,"axG",@progbits,_ZN12_GLOBAL__N_127rocblas_gemm_batched_kernelIfLi16ELi16ELi32ELi32ELi8ELi32ELi8ELi8ELi32ELc78ELc78EKDF16_KffEEvlllT_PT11_llS5_llS3_PT12_llPT13_lli,comdat
	.globl	_ZN12_GLOBAL__N_127rocblas_gemm_batched_kernelIfLi16ELi16ELi32ELi32ELi8ELi32ELi8ELi8ELi32ELc78ELc78EKDF16_KffEEvlllT_PT11_llS5_llS3_PT12_llPT13_lli ; -- Begin function _ZN12_GLOBAL__N_127rocblas_gemm_batched_kernelIfLi16ELi16ELi32ELi32ELi8ELi32ELi8ELi8ELi32ELc78ELc78EKDF16_KffEEvlllT_PT11_llS5_llS3_PT12_llPT13_lli
	.p2align	8
	.type	_ZN12_GLOBAL__N_127rocblas_gemm_batched_kernelIfLi16ELi16ELi32ELi32ELi8ELi32ELi8ELi8ELi32ELc78ELc78EKDF16_KffEEvlllT_PT11_llS5_llS3_PT12_llPT13_lli,@function
_ZN12_GLOBAL__N_127rocblas_gemm_batched_kernelIfLi16ELi16ELi32ELi32ELi8ELi32ELi8ELi8ELi32ELc78ELc78EKDF16_KffEEvlllT_PT11_llS5_llS3_PT12_llPT13_lli: ; @_ZN12_GLOBAL__N_127rocblas_gemm_batched_kernelIfLi16ELi16ELi32ELi32ELi8ELi32ELi8ELi8ELi32ELc78ELc78EKDF16_KffEEvlllT_PT11_llS5_llS3_PT12_llPT13_lli
; %bb.0:
	s_load_b32 s31, s[0:1], 0x88
	s_bfe_u32 s2, ttmp6, 0x40014
	s_lshr_b32 s3, ttmp7, 16
	s_add_co_i32 s2, s2, 1
	s_bfe_u32 s4, ttmp6, 0x40008
	s_mul_i32 s2, s3, s2
	s_getreg_b32 s20, hwreg(HW_REG_IB_STS2, 6, 4)
	s_add_co_i32 s4, s4, s2
	s_cmp_eq_u32 s20, 0
	s_cselect_b32 s2, s3, s4
	s_mov_b32 s3, 0
	s_wait_kmcnt 0x0
	s_cmp_ge_i32 s2, s31
	s_cbranch_scc1 .LBB399_10
; %bb.1:
	v_bfe_u32 v2, v0, 10, 10
	v_and_b32_e32 v4, 0x3ff, v0
	s_bfe_u32 s21, ttmp6, 0x4000c
	s_bfe_u32 s23, ttmp6, 0x40010
	s_clause 0x2
	s_load_b256 s[12:19], s[0:1], 0x20
	s_load_b128 s[24:27], s[0:1], 0x40
	s_load_b256 s[4:11], s[0:1], 0x58
	s_add_co_i32 s21, s21, 1
	s_and_b32 s28, ttmp7, 0xffff
	s_add_co_i32 s23, s23, 1
	v_lshl_add_u32 v16, v2, 4, v4
	v_mov_b32_e32 v3, 0
	s_and_b32 s22, ttmp6, 15
	s_mul_i32 s21, ttmp9, s21
	s_mul_i32 s23, s28, s23
	s_bfe_u32 s29, ttmp6, 0x40004
	s_add_co_i32 s22, s22, s21
	s_add_co_i32 s29, s29, s23
	s_cmp_eq_u32 s20, 0
	v_dual_mov_b32 v7, v3 :: v_dual_lshrrev_b32 v6, 3, v16
	v_lshrrev_b32_e32 v17, 5, v16
	s_cselect_b32 s20, s28, s29
	s_cselect_b32 s28, ttmp9, s22
	s_lshl_b32 s34, s20, 5
	s_mov_b32 s35, s3
	s_load_b128 s[20:23], s[0:1], 0x78
	v_add_nc_u64_e32 v[8:9], s[34:35], v[6:7]
	v_add_nc_u64_e32 v[10:11], s[34:35], v[2:3]
	s_ashr_i32 s29, s28, 31
	s_load_b32 s33, s[0:1], 0x50
	v_dual_mov_b32 v5, v3 :: v_dual_bitop2_b32 v7, 7, v0 bitop3:0x40
	v_lshl_add_u32 v19, v2, 5, 0x400
	s_wait_kmcnt 0x0
	v_mul_u64_e32 v[8:9], s[24:25], v[8:9]
	v_mul_u64_e32 v[12:13], s[6:7], v[10:11]
	s_lshl_b64 s[24:25], s[28:29], 5
	s_load_b96 s[28:30], s[0:1], 0x10
	v_mad_nc_u64_u32 v[14:15], s14, v17, s[24:25]
	v_dual_lshlrev_b32 v2, 1, v7 :: v_dual_lshlrev_b32 v18, 2, v4
	v_mul_u64_e32 v[0:1], s[20:21], v[10:11]
	v_dual_mov_b32 v11, v3 :: v_dual_bitop2_b32 v10, 31, v16 bitop3:0x40
	s_delay_alu instid0(VALU_DEP_4) | instskip(SKIP_2) | instid1(VALU_DEP_3)
	v_mad_u32 v15, s15, v17, v15
	v_lshlrev_b32_e32 v16, 2, v7
	s_cmp_eq_f32 s33, 0
	v_lshlrev_b32_e32 v20, 2, v10
	s_delay_alu instid0(VALU_DEP_2)
	v_lshl_or_b32 v16, v6, 5, v16
	v_add_nc_u64_e32 v[6:7], s[24:25], v[4:5]
	s_wait_kmcnt 0x0
	v_cmp_gt_i64_e64 s0, s[28:29], 0
	v_lshl_or_b32 v20, v17, 7, v20
	s_cselect_b32 s1, -1, 0
	v_add_nc_u32_e32 v21, 0x400, v16
	s_lshl_b64 s[20:21], s[20:21], 4
	s_lshl_b64 s[6:7], s[6:7], 4
	v_lshlrev_b64_e32 v[6:7], 2, v[6:7]
	s_lshl_b64 s[14:15], s[14:15], 4
	v_lshl_add_u64 v[4:5], v[8:9], 1, v[2:3]
	v_add_nc_u64_e32 v[8:9], v[14:15], v[10:11]
	v_cndmask_b32_e64 v10, 0, 1, s0
	v_lshl_add_u64 v[2:3], v[12:13], 2, s[4:5]
	s_lshl_b64 s[4:5], s[26:27], 1
	v_add_nc_u64_e32 v[4:5], s[18:19], v[4:5]
	s_delay_alu instid0(VALU_DEP_3)
	v_cmp_ne_u32_e64 s0, 1, v10
	v_lshl_add_u64 v[8:9], v[8:9], 1, s[12:13]
	s_lshl_b64 s[12:13], s[16:17], 1
	s_branch .LBB399_3
.LBB399_2:                              ;   in Loop: Header=BB399_3 Depth=1
	s_add_co_i32 s2, s2, 0x10000
	s_delay_alu instid0(SALU_CYCLE_1)
	s_cmp_lt_i32 s2, s31
	s_cbranch_scc0 .LBB399_10
.LBB399_3:                              ; =>This Loop Header: Depth=1
                                        ;     Child Loop BB399_5 Depth 2
	s_wait_xcnt 0x0
	v_dual_mov_b32 v13, 0 :: v_dual_mov_b32 v12, 0
	v_dual_mov_b32 v11, 0 :: v_dual_mov_b32 v10, 0
	s_and_b32 vcc_lo, exec_lo, s0
	s_cbranch_vccnz .LBB399_6
; %bb.4:                                ;   in Loop: Header=BB399_3 Depth=1
	v_mad_nc_u64_u32 v[14:15], s4, s2, v[4:5]
	v_mad_nc_u64_u32 v[16:17], s12, s2, v[8:9]
	v_mov_b32_e32 v10, 0
	s_mov_b64 s[16:17], 0
	s_delay_alu instid0(VALU_DEP_1)
	v_dual_mov_b32 v11, v10 :: v_dual_mov_b32 v12, v10
	v_mov_b32_e32 v13, v10
	v_mad_u32 v15, s5, s2, v15
	v_mad_u32 v17, s13, s2, v17
.LBB399_5:                              ;   Parent Loop BB399_3 Depth=1
                                        ; =>  This Inner Loop Header: Depth=2
	global_load_u16 v22, v[16:17], off
	global_load_u16 v23, v[14:15], off
	s_add_nc_u64 s[16:17], s[16:17], 8
	s_wait_xcnt 0x0
	v_add_nc_u64_e32 v[14:15], 16, v[14:15]
	v_cmp_lt_i64_e64 s18, s[16:17], s[28:29]
	v_add_nc_u64_e32 v[16:17], s[14:15], v[16:17]
	s_and_b32 vcc_lo, exec_lo, s18
	s_wait_loadcnt 0x1
	v_cvt_f32_f16_e32 v22, v22
	s_wait_loadcnt 0x0
	v_cvt_f32_f16_e32 v23, v23
	ds_store_b32 v20, v22
	ds_store_b32 v21, v23
	s_wait_dscnt 0x0
	s_barrier_signal -1
	s_barrier_wait -1
	ds_load_2addr_b32 v[38:39], v18 offset1:16
	ds_load_2addr_b32 v[40:41], v18 offset0:32 offset1:48
	ds_load_b128 v[22:25], v19
	ds_load_2addr_b32 v[42:43], v18 offset0:64 offset1:80
	ds_load_b128 v[26:29], v19 offset:512
	ds_load_2addr_b32 v[44:45], v18 offset0:96 offset1:112
	ds_load_b128 v[30:33], v19 offset:16
	;; [unrolled: 2-line block ×3, first 2 shown]
	ds_load_2addr_b32 v[48:49], v18 offset0:160 offset1:176
	ds_load_2addr_b32 v[50:51], v18 offset0:192 offset1:208
	;; [unrolled: 1-line block ×3, first 2 shown]
	s_wait_dscnt 0x0
	s_barrier_signal -1
	s_barrier_wait -1
	v_dual_mov_b32 v54, v39 :: v_dual_mov_b32 v55, v38
	v_dual_mov_b32 v38, v41 :: v_dual_mov_b32 v39, v40
	;; [unrolled: 1-line block ×3, first 2 shown]
	s_delay_alu instid0(VALU_DEP_3) | instskip(SKIP_3) | instid1(VALU_DEP_4)
	v_pk_fma_f32 v[12:13], v[54:55], v[22:23], v[12:13] op_sel_hi:[1,0,1]
	v_pk_fma_f32 v[10:11], v[54:55], v[26:27], v[10:11] op_sel_hi:[1,0,1]
	v_dual_mov_b32 v42, v45 :: v_dual_mov_b32 v43, v44
	v_mov_b32_e32 v44, v25
	v_pk_fma_f32 v[12:13], v[38:39], v[22:23], v[12:13] op_sel:[0,1,0]
	s_delay_alu instid0(VALU_DEP_4) | instskip(SKIP_2) | instid1(VALU_DEP_4)
	v_pk_fma_f32 v[10:11], v[38:39], v[26:27], v[10:11] op_sel:[0,1,0]
	v_dual_mov_b32 v22, v29 :: v_dual_mov_b32 v26, v53
	v_mov_b32_e32 v27, v52
	v_pk_fma_f32 v[12:13], v[40:41], v[24:25], v[12:13] op_sel_hi:[1,0,1]
	s_delay_alu instid0(VALU_DEP_4) | instskip(SKIP_2) | instid1(VALU_DEP_4)
	v_pk_fma_f32 v[10:11], v[40:41], v[28:29], v[10:11] op_sel_hi:[1,0,1]
	v_dual_mov_b32 v24, v47 :: v_dual_mov_b32 v25, v46
	v_mov_b32_e32 v28, v37
	v_pk_fma_f32 v[12:13], v[42:43], v[44:45], v[12:13] op_sel_hi:[1,0,1]
	s_delay_alu instid0(VALU_DEP_4) | instskip(SKIP_1) | instid1(VALU_DEP_3)
	v_pk_fma_f32 v[10:11], v[42:43], v[22:23], v[10:11] op_sel_hi:[1,0,1]
	v_dual_mov_b32 v22, v49 :: v_dual_mov_b32 v23, v48
	v_pk_fma_f32 v[12:13], v[24:25], v[30:31], v[12:13] op_sel_hi:[1,0,1]
	s_delay_alu instid0(VALU_DEP_3) | instskip(SKIP_1) | instid1(VALU_DEP_3)
	v_pk_fma_f32 v[10:11], v[24:25], v[34:35], v[10:11] op_sel_hi:[1,0,1]
	v_dual_mov_b32 v24, v51 :: v_dual_mov_b32 v25, v50
	v_pk_fma_f32 v[12:13], v[22:23], v[30:31], v[12:13] op_sel:[0,1,0]
	s_delay_alu instid0(VALU_DEP_3) | instskip(SKIP_1) | instid1(VALU_DEP_3)
	v_pk_fma_f32 v[10:11], v[22:23], v[34:35], v[10:11] op_sel:[0,1,0]
	v_mov_b32_e32 v22, v33
	v_pk_fma_f32 v[12:13], v[24:25], v[32:33], v[12:13] op_sel_hi:[1,0,1]
	s_delay_alu instid0(VALU_DEP_3) | instskip(NEXT) | instid1(VALU_DEP_2)
	v_pk_fma_f32 v[10:11], v[24:25], v[36:37], v[10:11] op_sel_hi:[1,0,1]
	v_pk_fma_f32 v[12:13], v[26:27], v[22:23], v[12:13] op_sel_hi:[1,0,1]
	s_delay_alu instid0(VALU_DEP_2)
	v_pk_fma_f32 v[10:11], v[26:27], v[28:29], v[10:11] op_sel_hi:[1,0,1]
	s_cbranch_vccnz .LBB399_5
.LBB399_6:                              ;   in Loop: Header=BB399_3 Depth=1
	s_mul_u64 s[16:17], s[22:23], s[2:3]
	s_and_not1_b32 vcc_lo, exec_lo, s1
	s_lshl_b64 s[16:17], s[16:17], 2
	s_delay_alu instid0(SALU_CYCLE_1) | instskip(NEXT) | instid1(SALU_CYCLE_1)
	s_add_nc_u64 s[16:17], s[10:11], s[16:17]
	v_lshl_add_u64 v[14:15], v[0:1], 2, s[16:17]
	s_delay_alu instid0(VALU_DEP_1)
	v_add_nc_u64_e32 v[16:17], v[14:15], v[6:7]
	v_lshl_add_u64 v[14:15], s[20:21], 2, v[14:15]
	s_cbranch_vccnz .LBB399_8
; %bb.7:                                ;   in Loop: Header=BB399_3 Depth=1
	s_delay_alu instid0(VALU_DEP_1)
	v_add_nc_u64_e32 v[22:23], v[14:15], v[6:7]
	v_dual_mul_f32 v24, s30, v13 :: v_dual_mul_f32 v25, s30, v12
	v_dual_mul_f32 v26, s30, v11 :: v_dual_mul_f32 v27, s30, v10
	s_clause 0x3
	global_store_b32 v[16:17], v24, off
	global_store_b32 v[16:17], v25, off offset:64
	global_store_b32 v[22:23], v26, off
	global_store_b32 v[22:23], v27, off offset:64
	s_cbranch_execnz .LBB399_2
	s_branch .LBB399_9
.LBB399_8:                              ;   in Loop: Header=BB399_3 Depth=1
.LBB399_9:                              ;   in Loop: Header=BB399_3 Depth=1
	s_mul_u64 s[16:17], s[8:9], s[2:3]
	s_wait_xcnt 0x0
	v_lshl_add_u64 v[22:23], s[16:17], 2, v[2:3]
	s_delay_alu instid0(VALU_DEP_1) | instskip(SKIP_1) | instid1(VALU_DEP_1)
	v_add_nc_u64_e32 v[24:25], v[22:23], v[6:7]
	v_lshl_add_u64 v[22:23], s[6:7], 2, v[22:23]
	v_add_nc_u64_e32 v[22:23], v[22:23], v[6:7]
	global_load_b32 v26, v[24:25], off
	s_wait_loadcnt 0x0
	v_mul_f32_e32 v26, s33, v26
	s_delay_alu instid0(VALU_DEP_1) | instskip(SKIP_4) | instid1(VALU_DEP_1)
	v_fmac_f32_e32 v26, s30, v13
	global_store_b32 v[16:17], v26, off
	global_load_b32 v13, v[24:25], off offset:64
	s_wait_loadcnt 0x0
	v_mul_f32_e32 v13, s33, v13
	v_fmac_f32_e32 v13, s30, v12
	global_store_b32 v[16:17], v13, off offset:64
	global_load_b32 v12, v[22:23], off
	s_wait_loadcnt 0x0
	s_wait_xcnt 0x1
	v_mul_f32_e32 v16, s33, v12
	v_add_nc_u64_e32 v[12:13], v[14:15], v[6:7]
	s_delay_alu instid0(VALU_DEP_2) | instskip(SKIP_4) | instid1(VALU_DEP_1)
	v_fmac_f32_e32 v16, s30, v11
	global_store_b32 v[12:13], v16, off
	global_load_b32 v11, v[22:23], off offset:64
	s_wait_loadcnt 0x0
	v_mul_f32_e32 v11, s33, v11
	v_fmac_f32_e32 v11, s30, v10
	global_store_b32 v[12:13], v11, off offset:64
	s_branch .LBB399_2
.LBB399_10:
	s_endpgm
	.section	.rodata,"a",@progbits
	.p2align	6, 0x0
	.amdhsa_kernel _ZN12_GLOBAL__N_127rocblas_gemm_batched_kernelIfLi16ELi16ELi32ELi32ELi8ELi32ELi8ELi8ELi32ELc78ELc78EKDF16_KffEEvlllT_PT11_llS5_llS3_PT12_llPT13_lli
		.amdhsa_group_segment_fixed_size 2048
		.amdhsa_private_segment_fixed_size 0
		.amdhsa_kernarg_size 140
		.amdhsa_user_sgpr_count 2
		.amdhsa_user_sgpr_dispatch_ptr 0
		.amdhsa_user_sgpr_queue_ptr 0
		.amdhsa_user_sgpr_kernarg_segment_ptr 1
		.amdhsa_user_sgpr_dispatch_id 0
		.amdhsa_user_sgpr_kernarg_preload_length 0
		.amdhsa_user_sgpr_kernarg_preload_offset 0
		.amdhsa_user_sgpr_private_segment_size 0
		.amdhsa_wavefront_size32 1
		.amdhsa_uses_dynamic_stack 0
		.amdhsa_enable_private_segment 0
		.amdhsa_system_sgpr_workgroup_id_x 1
		.amdhsa_system_sgpr_workgroup_id_y 1
		.amdhsa_system_sgpr_workgroup_id_z 1
		.amdhsa_system_sgpr_workgroup_info 0
		.amdhsa_system_vgpr_workitem_id 1
		.amdhsa_next_free_vgpr 56
		.amdhsa_next_free_sgpr 36
		.amdhsa_named_barrier_count 0
		.amdhsa_reserve_vcc 1
		.amdhsa_float_round_mode_32 0
		.amdhsa_float_round_mode_16_64 0
		.amdhsa_float_denorm_mode_32 3
		.amdhsa_float_denorm_mode_16_64 3
		.amdhsa_fp16_overflow 0
		.amdhsa_memory_ordered 1
		.amdhsa_forward_progress 1
		.amdhsa_inst_pref_size 11
		.amdhsa_round_robin_scheduling 0
		.amdhsa_exception_fp_ieee_invalid_op 0
		.amdhsa_exception_fp_denorm_src 0
		.amdhsa_exception_fp_ieee_div_zero 0
		.amdhsa_exception_fp_ieee_overflow 0
		.amdhsa_exception_fp_ieee_underflow 0
		.amdhsa_exception_fp_ieee_inexact 0
		.amdhsa_exception_int_div_zero 0
	.end_amdhsa_kernel
	.section	.text._ZN12_GLOBAL__N_127rocblas_gemm_batched_kernelIfLi16ELi16ELi32ELi32ELi8ELi32ELi8ELi8ELi32ELc78ELc78EKDF16_KffEEvlllT_PT11_llS5_llS3_PT12_llPT13_lli,"axG",@progbits,_ZN12_GLOBAL__N_127rocblas_gemm_batched_kernelIfLi16ELi16ELi32ELi32ELi8ELi32ELi8ELi8ELi32ELc78ELc78EKDF16_KffEEvlllT_PT11_llS5_llS3_PT12_llPT13_lli,comdat
.Lfunc_end399:
	.size	_ZN12_GLOBAL__N_127rocblas_gemm_batched_kernelIfLi16ELi16ELi32ELi32ELi8ELi32ELi8ELi8ELi32ELc78ELc78EKDF16_KffEEvlllT_PT11_llS5_llS3_PT12_llPT13_lli, .Lfunc_end399-_ZN12_GLOBAL__N_127rocblas_gemm_batched_kernelIfLi16ELi16ELi32ELi32ELi8ELi32ELi8ELi8ELi32ELc78ELc78EKDF16_KffEEvlllT_PT11_llS5_llS3_PT12_llPT13_lli
                                        ; -- End function
	.set _ZN12_GLOBAL__N_127rocblas_gemm_batched_kernelIfLi16ELi16ELi32ELi32ELi8ELi32ELi8ELi8ELi32ELc78ELc78EKDF16_KffEEvlllT_PT11_llS5_llS3_PT12_llPT13_lli.num_vgpr, 56
	.set _ZN12_GLOBAL__N_127rocblas_gemm_batched_kernelIfLi16ELi16ELi32ELi32ELi8ELi32ELi8ELi8ELi32ELc78ELc78EKDF16_KffEEvlllT_PT11_llS5_llS3_PT12_llPT13_lli.num_agpr, 0
	.set _ZN12_GLOBAL__N_127rocblas_gemm_batched_kernelIfLi16ELi16ELi32ELi32ELi8ELi32ELi8ELi8ELi32ELc78ELc78EKDF16_KffEEvlllT_PT11_llS5_llS3_PT12_llPT13_lli.numbered_sgpr, 36
	.set _ZN12_GLOBAL__N_127rocblas_gemm_batched_kernelIfLi16ELi16ELi32ELi32ELi8ELi32ELi8ELi8ELi32ELc78ELc78EKDF16_KffEEvlllT_PT11_llS5_llS3_PT12_llPT13_lli.num_named_barrier, 0
	.set _ZN12_GLOBAL__N_127rocblas_gemm_batched_kernelIfLi16ELi16ELi32ELi32ELi8ELi32ELi8ELi8ELi32ELc78ELc78EKDF16_KffEEvlllT_PT11_llS5_llS3_PT12_llPT13_lli.private_seg_size, 0
	.set _ZN12_GLOBAL__N_127rocblas_gemm_batched_kernelIfLi16ELi16ELi32ELi32ELi8ELi32ELi8ELi8ELi32ELc78ELc78EKDF16_KffEEvlllT_PT11_llS5_llS3_PT12_llPT13_lli.uses_vcc, 1
	.set _ZN12_GLOBAL__N_127rocblas_gemm_batched_kernelIfLi16ELi16ELi32ELi32ELi8ELi32ELi8ELi8ELi32ELc78ELc78EKDF16_KffEEvlllT_PT11_llS5_llS3_PT12_llPT13_lli.uses_flat_scratch, 0
	.set _ZN12_GLOBAL__N_127rocblas_gemm_batched_kernelIfLi16ELi16ELi32ELi32ELi8ELi32ELi8ELi8ELi32ELc78ELc78EKDF16_KffEEvlllT_PT11_llS5_llS3_PT12_llPT13_lli.has_dyn_sized_stack, 0
	.set _ZN12_GLOBAL__N_127rocblas_gemm_batched_kernelIfLi16ELi16ELi32ELi32ELi8ELi32ELi8ELi8ELi32ELc78ELc78EKDF16_KffEEvlllT_PT11_llS5_llS3_PT12_llPT13_lli.has_recursion, 0
	.set _ZN12_GLOBAL__N_127rocblas_gemm_batched_kernelIfLi16ELi16ELi32ELi32ELi8ELi32ELi8ELi8ELi32ELc78ELc78EKDF16_KffEEvlllT_PT11_llS5_llS3_PT12_llPT13_lli.has_indirect_call, 0
	.section	.AMDGPU.csdata,"",@progbits
; Kernel info:
; codeLenInByte = 1372
; TotalNumSgprs: 38
; NumVgprs: 56
; ScratchSize: 0
; MemoryBound: 0
; FloatMode: 240
; IeeeMode: 1
; LDSByteSize: 2048 bytes/workgroup (compile time only)
; SGPRBlocks: 0
; VGPRBlocks: 3
; NumSGPRsForWavesPerEU: 38
; NumVGPRsForWavesPerEU: 56
; NamedBarCnt: 0
; Occupancy: 16
; WaveLimiterHint : 0
; COMPUTE_PGM_RSRC2:SCRATCH_EN: 0
; COMPUTE_PGM_RSRC2:USER_SGPR: 2
; COMPUTE_PGM_RSRC2:TRAP_HANDLER: 0
; COMPUTE_PGM_RSRC2:TGID_X_EN: 1
; COMPUTE_PGM_RSRC2:TGID_Y_EN: 1
; COMPUTE_PGM_RSRC2:TGID_Z_EN: 1
; COMPUTE_PGM_RSRC2:TIDIG_COMP_CNT: 1
	.section	.text._ZN12_GLOBAL__N_127rocblas_gemm_batched_kernelIfLi16ELi16ELi32ELi32ELi8ELi32ELi8ELi8ELi32ELc84ELc78EKDF16_KffEEvlllT_PT11_llS5_llS3_PT12_llPT13_lli,"axG",@progbits,_ZN12_GLOBAL__N_127rocblas_gemm_batched_kernelIfLi16ELi16ELi32ELi32ELi8ELi32ELi8ELi8ELi32ELc84ELc78EKDF16_KffEEvlllT_PT11_llS5_llS3_PT12_llPT13_lli,comdat
	.globl	_ZN12_GLOBAL__N_127rocblas_gemm_batched_kernelIfLi16ELi16ELi32ELi32ELi8ELi32ELi8ELi8ELi32ELc84ELc78EKDF16_KffEEvlllT_PT11_llS5_llS3_PT12_llPT13_lli ; -- Begin function _ZN12_GLOBAL__N_127rocblas_gemm_batched_kernelIfLi16ELi16ELi32ELi32ELi8ELi32ELi8ELi8ELi32ELc84ELc78EKDF16_KffEEvlllT_PT11_llS5_llS3_PT12_llPT13_lli
	.p2align	8
	.type	_ZN12_GLOBAL__N_127rocblas_gemm_batched_kernelIfLi16ELi16ELi32ELi32ELi8ELi32ELi8ELi8ELi32ELc84ELc78EKDF16_KffEEvlllT_PT11_llS5_llS3_PT12_llPT13_lli,@function
_ZN12_GLOBAL__N_127rocblas_gemm_batched_kernelIfLi16ELi16ELi32ELi32ELi8ELi32ELi8ELi8ELi32ELc84ELc78EKDF16_KffEEvlllT_PT11_llS5_llS3_PT12_llPT13_lli: ; @_ZN12_GLOBAL__N_127rocblas_gemm_batched_kernelIfLi16ELi16ELi32ELi32ELi8ELi32ELi8ELi8ELi32ELc84ELc78EKDF16_KffEEvlllT_PT11_llS5_llS3_PT12_llPT13_lli
; %bb.0:
	s_load_b32 s31, s[0:1], 0x88
	s_bfe_u32 s2, ttmp6, 0x40014
	s_lshr_b32 s3, ttmp7, 16
	s_add_co_i32 s2, s2, 1
	s_bfe_u32 s5, ttmp6, 0x40008
	s_mul_i32 s2, s3, s2
	s_getreg_b32 s4, hwreg(HW_REG_IB_STS2, 6, 4)
	s_add_co_i32 s5, s5, s2
	s_cmp_eq_u32 s4, 0
	s_cselect_b32 s2, s3, s5
	s_mov_b32 s3, 0
	s_wait_kmcnt 0x0
	s_cmp_ge_i32 s2, s31
	s_cbranch_scc1 .LBB400_10
; %bb.1:
	s_bfe_u32 s6, ttmp6, 0x4000c
	s_bfe_u32 s7, ttmp6, 0x40010
	s_add_co_i32 s6, s6, 1
	s_and_b32 s8, ttmp7, 0xffff
	s_add_co_i32 s7, s7, 1
	v_bfe_u32 v4, v0, 10, 10
	v_and_b32_e32 v6, 0x3ff, v0
	s_and_b32 s5, ttmp6, 15
	s_mul_i32 s6, ttmp9, s6
	s_mul_i32 s7, s8, s7
	s_bfe_u32 s9, ttmp6, 0x40004
	s_clause 0x1
	s_load_b256 s[12:19], s[0:1], 0x20
	s_load_b128 s[24:27], s[0:1], 0x40
	s_add_co_i32 s5, s5, s6
	s_add_co_i32 s9, s9, s7
	s_cmp_eq_u32 s4, 0
	v_lshl_add_u32 v1, v4, 4, v6
	v_mov_b32_e32 v5, 0
	s_cselect_b32 s28, ttmp9, s5
	s_cselect_b32 s4, s8, s9
	s_ashr_i32 s29, s28, 31
	v_lshrrev_b32_e32 v8, 3, v1
	s_lshl_b64 s[36:37], s[28:29], 5
	v_mov_b32_e32 v9, v5
	s_lshl_b32 s34, s4, 5
	s_mov_b32 s35, s3
	s_clause 0x3
	s_load_b32 s33, s[0:1], 0x50
	s_load_b256 s[4:11], s[0:1], 0x58
	s_load_b128 s[20:23], s[0:1], 0x78
	s_load_b96 s[28:30], s[0:1], 0x10
	v_add_nc_u64_e32 v[2:3], s[34:35], v[8:9]
	v_dual_mov_b32 v7, v5 :: v_dual_bitop2_b32 v9, 31, v1 bitop3:0x40
	v_dual_lshrrev_b32 v17, 5, v1 :: v_dual_bitop2_b32 v0, 7, v0 bitop3:0x40
	v_lshl_add_u32 v18, v4, 5, 0x400
	v_lshlrev_b32_e32 v19, 2, v6
	s_wait_kmcnt 0x0
	v_mul_u64_e32 v[10:11], s[24:25], v[2:3]
	v_dual_lshlrev_b32 v16, 2, v0 :: v_dual_bitop2_b32 v2, s36, v9 bitop3:0x54
	v_mov_b32_e32 v3, s37
	v_add_nc_u64_e32 v[6:7], s[36:37], v[6:7]
	v_lshlrev_b32_e32 v9, 2, v9
	s_delay_alu instid0(VALU_DEP_4) | instskip(NEXT) | instid1(VALU_DEP_4)
	v_lshl_or_b32 v8, v8, 5, v16
	v_mul_u64_e32 v[12:13], s[14:15], v[2:3]
	v_add_nc_u64_e32 v[2:3], s[34:35], v[4:5]
	v_lshlrev_b32_e32 v4, 1, v0
	v_lshlrev_b64_e32 v[6:7], 2, v[6:7]
	v_cmp_gt_i64_e64 s0, s[28:29], 0
	s_cmp_eq_f32 s33, 0
	v_lshl_or_b32 v20, v17, 7, v9
	v_add_nc_u32_e32 v21, 0x400, v8
	v_mul_u64_e32 v[14:15], s[6:7], v[2:3]
	v_mul_u64_e32 v[2:3], s[20:21], v[2:3]
	s_cselect_b32 s1, -1, 0
	s_lshl_b64 s[14:15], s[20:21], 4
	v_lshl_add_u64 v[0:1], v[10:11], 1, v[4:5]
	v_lshlrev_b32_e32 v4, 1, v17
	v_cndmask_b32_e64 v10, 0, 1, s0
	s_delay_alu instid0(VALU_DEP_3) | instskip(NEXT) | instid1(VALU_DEP_2)
	v_add_nc_u64_e32 v[0:1], s[18:19], v[0:1]
	v_cmp_ne_u32_e64 s0, 1, v10
	s_delay_alu instid0(VALU_DEP_4) | instskip(NEXT) | instid1(VALU_DEP_1)
	v_lshl_add_u64 v[4:5], v[12:13], 1, v[4:5]
	v_add_nc_u64_e32 v[4:5], s[12:13], v[4:5]
	s_lshl_b64 s[12:13], s[16:17], 1
	v_lshl_add_u64 v[8:9], v[14:15], 2, s[4:5]
	s_lshl_b64 s[4:5], s[6:7], 4
	s_lshl_b64 s[6:7], s[26:27], 1
	s_branch .LBB400_3
.LBB400_2:                              ;   in Loop: Header=BB400_3 Depth=1
	s_add_co_i32 s2, s2, 0x10000
	s_delay_alu instid0(SALU_CYCLE_1)
	s_cmp_lt_i32 s2, s31
	s_cbranch_scc0 .LBB400_10
.LBB400_3:                              ; =>This Loop Header: Depth=1
                                        ;     Child Loop BB400_5 Depth 2
	s_wait_xcnt 0x0
	v_dual_mov_b32 v13, 0 :: v_dual_mov_b32 v12, 0
	v_dual_mov_b32 v11, 0 :: v_dual_mov_b32 v10, 0
	s_and_b32 vcc_lo, exec_lo, s0
	s_cbranch_vccnz .LBB400_6
; %bb.4:                                ;   in Loop: Header=BB400_3 Depth=1
	v_mad_nc_u64_u32 v[14:15], s6, s2, v[0:1]
	v_mad_nc_u64_u32 v[16:17], s12, s2, v[4:5]
	v_mov_b32_e32 v10, 0
	s_mov_b64 s[16:17], 0
	s_delay_alu instid0(VALU_DEP_1)
	v_dual_mov_b32 v11, v10 :: v_dual_mov_b32 v12, v10
	v_mov_b32_e32 v13, v10
	v_mad_u32 v15, s7, s2, v15
	v_mad_u32 v17, s13, s2, v17
.LBB400_5:                              ;   Parent Loop BB400_3 Depth=1
                                        ; =>  This Inner Loop Header: Depth=2
	global_load_u16 v22, v[16:17], off
	global_load_u16 v23, v[14:15], off
	s_add_nc_u64 s[16:17], s[16:17], 8
	s_wait_xcnt 0x0
	v_add_nc_u64_e32 v[14:15], 16, v[14:15]
	v_cmp_lt_i64_e64 s18, s[16:17], s[28:29]
	v_add_nc_u64_e32 v[16:17], 16, v[16:17]
	s_and_b32 vcc_lo, exec_lo, s18
	s_wait_loadcnt 0x1
	v_cvt_f32_f16_e32 v22, v22
	s_wait_loadcnt 0x0
	v_cvt_f32_f16_e32 v23, v23
	ds_store_b32 v20, v22
	ds_store_b32 v21, v23
	s_wait_dscnt 0x0
	s_barrier_signal -1
	s_barrier_wait -1
	ds_load_2addr_b32 v[38:39], v19 offset1:16
	ds_load_2addr_b32 v[40:41], v19 offset0:32 offset1:48
	ds_load_b128 v[22:25], v18
	ds_load_2addr_b32 v[42:43], v19 offset0:64 offset1:80
	ds_load_b128 v[26:29], v18 offset:512
	ds_load_2addr_b32 v[44:45], v19 offset0:96 offset1:112
	ds_load_b128 v[30:33], v18 offset:16
	;; [unrolled: 2-line block ×3, first 2 shown]
	ds_load_2addr_b32 v[48:49], v19 offset0:160 offset1:176
	ds_load_2addr_b32 v[50:51], v19 offset0:192 offset1:208
	ds_load_2addr_b32 v[52:53], v19 offset0:224 offset1:240
	s_wait_dscnt 0x0
	s_barrier_signal -1
	s_barrier_wait -1
	v_dual_mov_b32 v54, v39 :: v_dual_mov_b32 v55, v38
	v_dual_mov_b32 v38, v41 :: v_dual_mov_b32 v39, v40
	;; [unrolled: 1-line block ×3, first 2 shown]
	s_delay_alu instid0(VALU_DEP_3) | instskip(SKIP_3) | instid1(VALU_DEP_4)
	v_pk_fma_f32 v[12:13], v[54:55], v[22:23], v[12:13] op_sel_hi:[1,0,1]
	v_pk_fma_f32 v[10:11], v[54:55], v[26:27], v[10:11] op_sel_hi:[1,0,1]
	v_dual_mov_b32 v42, v45 :: v_dual_mov_b32 v43, v44
	v_mov_b32_e32 v44, v25
	v_pk_fma_f32 v[12:13], v[38:39], v[22:23], v[12:13] op_sel:[0,1,0]
	s_delay_alu instid0(VALU_DEP_4) | instskip(SKIP_2) | instid1(VALU_DEP_4)
	v_pk_fma_f32 v[10:11], v[38:39], v[26:27], v[10:11] op_sel:[0,1,0]
	v_dual_mov_b32 v22, v29 :: v_dual_mov_b32 v26, v53
	v_mov_b32_e32 v27, v52
	v_pk_fma_f32 v[12:13], v[40:41], v[24:25], v[12:13] op_sel_hi:[1,0,1]
	s_delay_alu instid0(VALU_DEP_4) | instskip(SKIP_2) | instid1(VALU_DEP_4)
	v_pk_fma_f32 v[10:11], v[40:41], v[28:29], v[10:11] op_sel_hi:[1,0,1]
	v_dual_mov_b32 v24, v47 :: v_dual_mov_b32 v25, v46
	v_mov_b32_e32 v28, v37
	v_pk_fma_f32 v[12:13], v[42:43], v[44:45], v[12:13] op_sel_hi:[1,0,1]
	s_delay_alu instid0(VALU_DEP_4) | instskip(SKIP_1) | instid1(VALU_DEP_3)
	v_pk_fma_f32 v[10:11], v[42:43], v[22:23], v[10:11] op_sel_hi:[1,0,1]
	v_dual_mov_b32 v22, v49 :: v_dual_mov_b32 v23, v48
	v_pk_fma_f32 v[12:13], v[24:25], v[30:31], v[12:13] op_sel_hi:[1,0,1]
	s_delay_alu instid0(VALU_DEP_3) | instskip(SKIP_1) | instid1(VALU_DEP_3)
	v_pk_fma_f32 v[10:11], v[24:25], v[34:35], v[10:11] op_sel_hi:[1,0,1]
	v_dual_mov_b32 v24, v51 :: v_dual_mov_b32 v25, v50
	v_pk_fma_f32 v[12:13], v[22:23], v[30:31], v[12:13] op_sel:[0,1,0]
	s_delay_alu instid0(VALU_DEP_3) | instskip(SKIP_1) | instid1(VALU_DEP_3)
	v_pk_fma_f32 v[10:11], v[22:23], v[34:35], v[10:11] op_sel:[0,1,0]
	v_mov_b32_e32 v22, v33
	v_pk_fma_f32 v[12:13], v[24:25], v[32:33], v[12:13] op_sel_hi:[1,0,1]
	s_delay_alu instid0(VALU_DEP_3) | instskip(NEXT) | instid1(VALU_DEP_2)
	v_pk_fma_f32 v[10:11], v[24:25], v[36:37], v[10:11] op_sel_hi:[1,0,1]
	v_pk_fma_f32 v[12:13], v[26:27], v[22:23], v[12:13] op_sel_hi:[1,0,1]
	s_delay_alu instid0(VALU_DEP_2)
	v_pk_fma_f32 v[10:11], v[26:27], v[28:29], v[10:11] op_sel_hi:[1,0,1]
	s_cbranch_vccnz .LBB400_5
.LBB400_6:                              ;   in Loop: Header=BB400_3 Depth=1
	s_mul_u64 s[16:17], s[22:23], s[2:3]
	s_and_not1_b32 vcc_lo, exec_lo, s1
	s_lshl_b64 s[16:17], s[16:17], 2
	s_delay_alu instid0(SALU_CYCLE_1) | instskip(NEXT) | instid1(SALU_CYCLE_1)
	s_add_nc_u64 s[16:17], s[10:11], s[16:17]
	v_lshl_add_u64 v[14:15], v[2:3], 2, s[16:17]
	s_delay_alu instid0(VALU_DEP_1)
	v_add_nc_u64_e32 v[16:17], v[14:15], v[6:7]
	v_lshl_add_u64 v[14:15], s[14:15], 2, v[14:15]
	s_cbranch_vccnz .LBB400_8
; %bb.7:                                ;   in Loop: Header=BB400_3 Depth=1
	s_delay_alu instid0(VALU_DEP_1)
	v_add_nc_u64_e32 v[22:23], v[14:15], v[6:7]
	v_dual_mul_f32 v24, s30, v13 :: v_dual_mul_f32 v25, s30, v12
	v_dual_mul_f32 v26, s30, v11 :: v_dual_mul_f32 v27, s30, v10
	s_clause 0x3
	global_store_b32 v[16:17], v24, off
	global_store_b32 v[16:17], v25, off offset:64
	global_store_b32 v[22:23], v26, off
	global_store_b32 v[22:23], v27, off offset:64
	s_cbranch_execnz .LBB400_2
	s_branch .LBB400_9
.LBB400_8:                              ;   in Loop: Header=BB400_3 Depth=1
.LBB400_9:                              ;   in Loop: Header=BB400_3 Depth=1
	s_mul_u64 s[16:17], s[8:9], s[2:3]
	s_wait_xcnt 0x0
	v_lshl_add_u64 v[22:23], s[16:17], 2, v[8:9]
	s_delay_alu instid0(VALU_DEP_1) | instskip(SKIP_1) | instid1(VALU_DEP_1)
	v_add_nc_u64_e32 v[24:25], v[22:23], v[6:7]
	v_lshl_add_u64 v[22:23], s[4:5], 2, v[22:23]
	v_add_nc_u64_e32 v[22:23], v[22:23], v[6:7]
	global_load_b32 v26, v[24:25], off
	s_wait_loadcnt 0x0
	v_mul_f32_e32 v26, s33, v26
	s_delay_alu instid0(VALU_DEP_1) | instskip(SKIP_4) | instid1(VALU_DEP_1)
	v_fmac_f32_e32 v26, s30, v13
	global_store_b32 v[16:17], v26, off
	global_load_b32 v13, v[24:25], off offset:64
	s_wait_loadcnt 0x0
	v_mul_f32_e32 v13, s33, v13
	v_fmac_f32_e32 v13, s30, v12
	global_store_b32 v[16:17], v13, off offset:64
	global_load_b32 v12, v[22:23], off
	s_wait_loadcnt 0x0
	s_wait_xcnt 0x1
	v_mul_f32_e32 v16, s33, v12
	v_add_nc_u64_e32 v[12:13], v[14:15], v[6:7]
	s_delay_alu instid0(VALU_DEP_2) | instskip(SKIP_4) | instid1(VALU_DEP_1)
	v_fmac_f32_e32 v16, s30, v11
	global_store_b32 v[12:13], v16, off
	global_load_b32 v11, v[22:23], off offset:64
	s_wait_loadcnt 0x0
	v_mul_f32_e32 v11, s33, v11
	v_fmac_f32_e32 v11, s30, v10
	global_store_b32 v[12:13], v11, off offset:64
	s_branch .LBB400_2
.LBB400_10:
	s_endpgm
	.section	.rodata,"a",@progbits
	.p2align	6, 0x0
	.amdhsa_kernel _ZN12_GLOBAL__N_127rocblas_gemm_batched_kernelIfLi16ELi16ELi32ELi32ELi8ELi32ELi8ELi8ELi32ELc84ELc78EKDF16_KffEEvlllT_PT11_llS5_llS3_PT12_llPT13_lli
		.amdhsa_group_segment_fixed_size 2048
		.amdhsa_private_segment_fixed_size 0
		.amdhsa_kernarg_size 140
		.amdhsa_user_sgpr_count 2
		.amdhsa_user_sgpr_dispatch_ptr 0
		.amdhsa_user_sgpr_queue_ptr 0
		.amdhsa_user_sgpr_kernarg_segment_ptr 1
		.amdhsa_user_sgpr_dispatch_id 0
		.amdhsa_user_sgpr_kernarg_preload_length 0
		.amdhsa_user_sgpr_kernarg_preload_offset 0
		.amdhsa_user_sgpr_private_segment_size 0
		.amdhsa_wavefront_size32 1
		.amdhsa_uses_dynamic_stack 0
		.amdhsa_enable_private_segment 0
		.amdhsa_system_sgpr_workgroup_id_x 1
		.amdhsa_system_sgpr_workgroup_id_y 1
		.amdhsa_system_sgpr_workgroup_id_z 1
		.amdhsa_system_sgpr_workgroup_info 0
		.amdhsa_system_vgpr_workitem_id 1
		.amdhsa_next_free_vgpr 56
		.amdhsa_next_free_sgpr 38
		.amdhsa_named_barrier_count 0
		.amdhsa_reserve_vcc 1
		.amdhsa_float_round_mode_32 0
		.amdhsa_float_round_mode_16_64 0
		.amdhsa_float_denorm_mode_32 3
		.amdhsa_float_denorm_mode_16_64 3
		.amdhsa_fp16_overflow 0
		.amdhsa_memory_ordered 1
		.amdhsa_forward_progress 1
		.amdhsa_inst_pref_size 11
		.amdhsa_round_robin_scheduling 0
		.amdhsa_exception_fp_ieee_invalid_op 0
		.amdhsa_exception_fp_denorm_src 0
		.amdhsa_exception_fp_ieee_div_zero 0
		.amdhsa_exception_fp_ieee_overflow 0
		.amdhsa_exception_fp_ieee_underflow 0
		.amdhsa_exception_fp_ieee_inexact 0
		.amdhsa_exception_int_div_zero 0
	.end_amdhsa_kernel
	.section	.text._ZN12_GLOBAL__N_127rocblas_gemm_batched_kernelIfLi16ELi16ELi32ELi32ELi8ELi32ELi8ELi8ELi32ELc84ELc78EKDF16_KffEEvlllT_PT11_llS5_llS3_PT12_llPT13_lli,"axG",@progbits,_ZN12_GLOBAL__N_127rocblas_gemm_batched_kernelIfLi16ELi16ELi32ELi32ELi8ELi32ELi8ELi8ELi32ELc84ELc78EKDF16_KffEEvlllT_PT11_llS5_llS3_PT12_llPT13_lli,comdat
.Lfunc_end400:
	.size	_ZN12_GLOBAL__N_127rocblas_gemm_batched_kernelIfLi16ELi16ELi32ELi32ELi8ELi32ELi8ELi8ELi32ELc84ELc78EKDF16_KffEEvlllT_PT11_llS5_llS3_PT12_llPT13_lli, .Lfunc_end400-_ZN12_GLOBAL__N_127rocblas_gemm_batched_kernelIfLi16ELi16ELi32ELi32ELi8ELi32ELi8ELi8ELi32ELc84ELc78EKDF16_KffEEvlllT_PT11_llS5_llS3_PT12_llPT13_lli
                                        ; -- End function
	.set _ZN12_GLOBAL__N_127rocblas_gemm_batched_kernelIfLi16ELi16ELi32ELi32ELi8ELi32ELi8ELi8ELi32ELc84ELc78EKDF16_KffEEvlllT_PT11_llS5_llS3_PT12_llPT13_lli.num_vgpr, 56
	.set _ZN12_GLOBAL__N_127rocblas_gemm_batched_kernelIfLi16ELi16ELi32ELi32ELi8ELi32ELi8ELi8ELi32ELc84ELc78EKDF16_KffEEvlllT_PT11_llS5_llS3_PT12_llPT13_lli.num_agpr, 0
	.set _ZN12_GLOBAL__N_127rocblas_gemm_batched_kernelIfLi16ELi16ELi32ELi32ELi8ELi32ELi8ELi8ELi32ELc84ELc78EKDF16_KffEEvlllT_PT11_llS5_llS3_PT12_llPT13_lli.numbered_sgpr, 38
	.set _ZN12_GLOBAL__N_127rocblas_gemm_batched_kernelIfLi16ELi16ELi32ELi32ELi8ELi32ELi8ELi8ELi32ELc84ELc78EKDF16_KffEEvlllT_PT11_llS5_llS3_PT12_llPT13_lli.num_named_barrier, 0
	.set _ZN12_GLOBAL__N_127rocblas_gemm_batched_kernelIfLi16ELi16ELi32ELi32ELi8ELi32ELi8ELi8ELi32ELc84ELc78EKDF16_KffEEvlllT_PT11_llS5_llS3_PT12_llPT13_lli.private_seg_size, 0
	.set _ZN12_GLOBAL__N_127rocblas_gemm_batched_kernelIfLi16ELi16ELi32ELi32ELi8ELi32ELi8ELi8ELi32ELc84ELc78EKDF16_KffEEvlllT_PT11_llS5_llS3_PT12_llPT13_lli.uses_vcc, 1
	.set _ZN12_GLOBAL__N_127rocblas_gemm_batched_kernelIfLi16ELi16ELi32ELi32ELi8ELi32ELi8ELi8ELi32ELc84ELc78EKDF16_KffEEvlllT_PT11_llS5_llS3_PT12_llPT13_lli.uses_flat_scratch, 0
	.set _ZN12_GLOBAL__N_127rocblas_gemm_batched_kernelIfLi16ELi16ELi32ELi32ELi8ELi32ELi8ELi8ELi32ELc84ELc78EKDF16_KffEEvlllT_PT11_llS5_llS3_PT12_llPT13_lli.has_dyn_sized_stack, 0
	.set _ZN12_GLOBAL__N_127rocblas_gemm_batched_kernelIfLi16ELi16ELi32ELi32ELi8ELi32ELi8ELi8ELi32ELc84ELc78EKDF16_KffEEvlllT_PT11_llS5_llS3_PT12_llPT13_lli.has_recursion, 0
	.set _ZN12_GLOBAL__N_127rocblas_gemm_batched_kernelIfLi16ELi16ELi32ELi32ELi8ELi32ELi8ELi8ELi32ELc84ELc78EKDF16_KffEEvlllT_PT11_llS5_llS3_PT12_llPT13_lli.has_indirect_call, 0
	.section	.AMDGPU.csdata,"",@progbits
; Kernel info:
; codeLenInByte = 1364
; TotalNumSgprs: 40
; NumVgprs: 56
; ScratchSize: 0
; MemoryBound: 0
; FloatMode: 240
; IeeeMode: 1
; LDSByteSize: 2048 bytes/workgroup (compile time only)
; SGPRBlocks: 0
; VGPRBlocks: 3
; NumSGPRsForWavesPerEU: 40
; NumVGPRsForWavesPerEU: 56
; NamedBarCnt: 0
; Occupancy: 16
; WaveLimiterHint : 0
; COMPUTE_PGM_RSRC2:SCRATCH_EN: 0
; COMPUTE_PGM_RSRC2:USER_SGPR: 2
; COMPUTE_PGM_RSRC2:TRAP_HANDLER: 0
; COMPUTE_PGM_RSRC2:TGID_X_EN: 1
; COMPUTE_PGM_RSRC2:TGID_Y_EN: 1
; COMPUTE_PGM_RSRC2:TGID_Z_EN: 1
; COMPUTE_PGM_RSRC2:TIDIG_COMP_CNT: 1
	.section	.text._ZN12_GLOBAL__N_127rocblas_gemm_batched_kernelIfLi16ELi16ELi32ELi32ELi8ELi32ELi8ELi8ELi32ELc78ELc84EKDF16_KffEEvlllT_PT11_llS5_llS3_PT12_llPT13_lli,"axG",@progbits,_ZN12_GLOBAL__N_127rocblas_gemm_batched_kernelIfLi16ELi16ELi32ELi32ELi8ELi32ELi8ELi8ELi32ELc78ELc84EKDF16_KffEEvlllT_PT11_llS5_llS3_PT12_llPT13_lli,comdat
	.globl	_ZN12_GLOBAL__N_127rocblas_gemm_batched_kernelIfLi16ELi16ELi32ELi32ELi8ELi32ELi8ELi8ELi32ELc78ELc84EKDF16_KffEEvlllT_PT11_llS5_llS3_PT12_llPT13_lli ; -- Begin function _ZN12_GLOBAL__N_127rocblas_gemm_batched_kernelIfLi16ELi16ELi32ELi32ELi8ELi32ELi8ELi8ELi32ELc78ELc84EKDF16_KffEEvlllT_PT11_llS5_llS3_PT12_llPT13_lli
	.p2align	8
	.type	_ZN12_GLOBAL__N_127rocblas_gemm_batched_kernelIfLi16ELi16ELi32ELi32ELi8ELi32ELi8ELi8ELi32ELc78ELc84EKDF16_KffEEvlllT_PT11_llS5_llS3_PT12_llPT13_lli,@function
_ZN12_GLOBAL__N_127rocblas_gemm_batched_kernelIfLi16ELi16ELi32ELi32ELi8ELi32ELi8ELi8ELi32ELc78ELc84EKDF16_KffEEvlllT_PT11_llS5_llS3_PT12_llPT13_lli: ; @_ZN12_GLOBAL__N_127rocblas_gemm_batched_kernelIfLi16ELi16ELi32ELi32ELi8ELi32ELi8ELi8ELi32ELc78ELc84EKDF16_KffEEvlllT_PT11_llS5_llS3_PT12_llPT13_lli
; %bb.0:
	s_load_b32 s31, s[0:1], 0x88
	s_bfe_u32 s2, ttmp6, 0x40014
	s_lshr_b32 s3, ttmp7, 16
	s_add_co_i32 s2, s2, 1
	s_bfe_u32 s4, ttmp6, 0x40008
	s_mul_i32 s2, s3, s2
	s_getreg_b32 s20, hwreg(HW_REG_IB_STS2, 6, 4)
	s_add_co_i32 s4, s4, s2
	s_cmp_eq_u32 s20, 0
	s_cselect_b32 s2, s3, s4
	s_mov_b32 s3, 0
	s_wait_kmcnt 0x0
	s_cmp_ge_i32 s2, s31
	s_cbranch_scc1 .LBB401_10
; %bb.1:
	s_bfe_u32 s21, ttmp6, 0x4000c
	s_bfe_u32 s23, ttmp6, 0x40010
	s_clause 0x2
	s_load_b256 s[12:19], s[0:1], 0x20
	s_load_b128 s[24:27], s[0:1], 0x40
	s_load_b256 s[4:11], s[0:1], 0x58
	s_add_co_i32 s21, s21, 1
	s_and_b32 s28, ttmp7, 0xffff
	s_add_co_i32 s23, s23, 1
	s_and_b32 s22, ttmp6, 15
	s_mul_i32 s21, ttmp9, s21
	s_mul_i32 s23, s28, s23
	s_bfe_u32 s29, ttmp6, 0x40004
	s_add_co_i32 s22, s22, s21
	s_add_co_i32 s29, s29, s23
	s_cmp_eq_u32 s20, 0
	v_bfe_u32 v2, v0, 10, 10
	v_dual_mov_b32 v3, 0 :: v_dual_bitop2_b32 v17, 7, v0 bitop3:0x40
	s_cselect_b32 s20, s28, s29
	s_cselect_b32 s28, ttmp9, s22
	s_lshl_b32 s34, s20, 5
	s_load_b128 s[20:23], s[0:1], 0x78
	s_mov_b32 s35, s3
	v_and_b32_e32 v4, 0x3ff, v0
	v_add_nc_u64_e32 v[6:7], s[34:35], v[2:3]
	v_mov_b32_e32 v9, v3
	s_ashr_i32 s29, s28, 31
	s_load_b32 s33, s[0:1], 0x50
	v_lshl_add_u32 v1, v2, 4, v4
	s_lshl_b64 s[36:37], s[28:29], 5
	s_load_b96 s[28:30], s[0:1], 0x10
	s_wait_kmcnt 0x0
	v_mul_u64_e32 v[10:11], s[6:7], v[6:7]
	v_dual_lshlrev_b32 v20, 2, v4 :: v_dual_lshrrev_b32 v8, 3, v1
	v_dual_lshrrev_b32 v18, 5, v1 :: v_dual_bitop2_b32 v16, 31, v1 bitop3:0x40
	v_mov_b32_e32 v5, v3
	v_lshl_add_u32 v21, v2, 5, 0x400
	s_delay_alu instid0(VALU_DEP_4) | instskip(NEXT) | instid1(VALU_DEP_4)
	v_mad_nc_u64_u32 v[12:13], s24, v17, v[8:9]
	v_mad_nc_u64_u32 v[14:15], s14, v18, s[36:37]
	v_mul_u64_e32 v[0:1], s[20:21], v[6:7]
	v_dual_lshlrev_b32 v6, 2, v17 :: v_dual_lshlrev_b32 v7, 2, v16
	s_delay_alu instid0(VALU_DEP_1)
	v_lshl_or_b32 v6, v8, 5, v6
	s_cmp_eq_f32 s33, 0
	v_mad_u32 v13, s25, v17, v13
	v_mad_u32 v15, s15, v18, v15
	v_mov_b32_e32 v17, v3
	v_cmp_gt_i64_e64 s0, s[28:29], 0
	v_lshl_or_b32 v18, v18, 7, v7
	v_add_nc_u32_e32 v19, 0x400, v6
	v_add_nc_u64_e32 v[6:7], s[36:37], v[4:5]
	s_cselect_b32 s1, -1, 0
	s_lshl_b64 s[20:21], s[20:21], 4
	s_lshl_b64 s[6:7], s[6:7], 4
	;; [unrolled: 1-line block ×3, first 2 shown]
	v_add_nc_u64_e32 v[4:5], s[34:35], v[12:13]
	v_add_nc_u64_e32 v[8:9], v[14:15], v[16:17]
	v_lshlrev_b64_e32 v[6:7], 2, v[6:7]
	v_lshl_add_u64 v[2:3], v[10:11], 2, s[4:5]
	v_cndmask_b32_e64 v10, 0, 1, s0
	s_lshl_b64 s[4:5], s[26:27], 1
	s_lshl_b64 s[14:15], s[14:15], 4
	v_lshl_add_u64 v[4:5], v[4:5], 1, s[18:19]
	v_lshl_add_u64 v[8:9], v[8:9], 1, s[12:13]
	v_cmp_ne_u32_e64 s0, 1, v10
	s_lshl_b64 s[12:13], s[24:25], 4
	s_branch .LBB401_3
.LBB401_2:                              ;   in Loop: Header=BB401_3 Depth=1
	s_add_co_i32 s2, s2, 0x10000
	s_delay_alu instid0(SALU_CYCLE_1)
	s_cmp_lt_i32 s2, s31
	s_cbranch_scc0 .LBB401_10
.LBB401_3:                              ; =>This Loop Header: Depth=1
                                        ;     Child Loop BB401_5 Depth 2
	s_wait_xcnt 0x0
	v_dual_mov_b32 v13, 0 :: v_dual_mov_b32 v12, 0
	v_dual_mov_b32 v11, 0 :: v_dual_mov_b32 v10, 0
	s_and_b32 vcc_lo, exec_lo, s0
	s_cbranch_vccnz .LBB401_6
; %bb.4:                                ;   in Loop: Header=BB401_3 Depth=1
	v_mad_nc_u64_u32 v[14:15], s4, s2, v[4:5]
	v_mad_nc_u64_u32 v[16:17], s16, s2, v[8:9]
	v_mov_b32_e32 v10, 0
	s_mov_b64 s[18:19], 0
	s_delay_alu instid0(VALU_DEP_1)
	v_dual_mov_b32 v11, v10 :: v_dual_mov_b32 v12, v10
	v_mov_b32_e32 v13, v10
	v_mad_u32 v15, s5, s2, v15
	v_mad_u32 v17, s17, s2, v17
.LBB401_5:                              ;   Parent Loop BB401_3 Depth=1
                                        ; =>  This Inner Loop Header: Depth=2
	global_load_u16 v22, v[16:17], off
	global_load_u16 v23, v[14:15], off
	s_add_nc_u64 s[18:19], s[18:19], 8
	s_wait_xcnt 0x0
	v_add_nc_u64_e32 v[14:15], s[12:13], v[14:15]
	v_cmp_lt_i64_e64 s24, s[18:19], s[28:29]
	v_add_nc_u64_e32 v[16:17], s[14:15], v[16:17]
	s_and_b32 vcc_lo, exec_lo, s24
	s_wait_loadcnt 0x1
	v_cvt_f32_f16_e32 v22, v22
	s_wait_loadcnt 0x0
	v_cvt_f32_f16_e32 v23, v23
	ds_store_b32 v18, v22
	ds_store_b32 v19, v23
	s_wait_dscnt 0x0
	s_barrier_signal -1
	s_barrier_wait -1
	ds_load_2addr_b32 v[38:39], v20 offset1:16
	ds_load_2addr_b32 v[40:41], v20 offset0:32 offset1:48
	ds_load_b128 v[22:25], v21
	ds_load_2addr_b32 v[42:43], v20 offset0:64 offset1:80
	ds_load_b128 v[26:29], v21 offset:512
	ds_load_2addr_b32 v[44:45], v20 offset0:96 offset1:112
	ds_load_b128 v[30:33], v21 offset:16
	;; [unrolled: 2-line block ×3, first 2 shown]
	ds_load_2addr_b32 v[48:49], v20 offset0:160 offset1:176
	ds_load_2addr_b32 v[50:51], v20 offset0:192 offset1:208
	;; [unrolled: 1-line block ×3, first 2 shown]
	s_wait_dscnt 0x0
	s_barrier_signal -1
	s_barrier_wait -1
	v_dual_mov_b32 v54, v39 :: v_dual_mov_b32 v55, v38
	v_dual_mov_b32 v38, v41 :: v_dual_mov_b32 v39, v40
	;; [unrolled: 1-line block ×3, first 2 shown]
	s_delay_alu instid0(VALU_DEP_3) | instskip(SKIP_3) | instid1(VALU_DEP_4)
	v_pk_fma_f32 v[12:13], v[54:55], v[22:23], v[12:13] op_sel_hi:[1,0,1]
	v_pk_fma_f32 v[10:11], v[54:55], v[26:27], v[10:11] op_sel_hi:[1,0,1]
	v_dual_mov_b32 v42, v45 :: v_dual_mov_b32 v43, v44
	v_mov_b32_e32 v44, v25
	v_pk_fma_f32 v[12:13], v[38:39], v[22:23], v[12:13] op_sel:[0,1,0]
	s_delay_alu instid0(VALU_DEP_4) | instskip(SKIP_2) | instid1(VALU_DEP_4)
	v_pk_fma_f32 v[10:11], v[38:39], v[26:27], v[10:11] op_sel:[0,1,0]
	v_dual_mov_b32 v22, v29 :: v_dual_mov_b32 v26, v53
	v_mov_b32_e32 v27, v52
	v_pk_fma_f32 v[12:13], v[40:41], v[24:25], v[12:13] op_sel_hi:[1,0,1]
	s_delay_alu instid0(VALU_DEP_4) | instskip(SKIP_2) | instid1(VALU_DEP_4)
	v_pk_fma_f32 v[10:11], v[40:41], v[28:29], v[10:11] op_sel_hi:[1,0,1]
	v_dual_mov_b32 v24, v47 :: v_dual_mov_b32 v25, v46
	v_mov_b32_e32 v28, v37
	v_pk_fma_f32 v[12:13], v[42:43], v[44:45], v[12:13] op_sel_hi:[1,0,1]
	s_delay_alu instid0(VALU_DEP_4) | instskip(SKIP_1) | instid1(VALU_DEP_3)
	v_pk_fma_f32 v[10:11], v[42:43], v[22:23], v[10:11] op_sel_hi:[1,0,1]
	v_dual_mov_b32 v22, v49 :: v_dual_mov_b32 v23, v48
	v_pk_fma_f32 v[12:13], v[24:25], v[30:31], v[12:13] op_sel_hi:[1,0,1]
	s_delay_alu instid0(VALU_DEP_3) | instskip(SKIP_1) | instid1(VALU_DEP_3)
	v_pk_fma_f32 v[10:11], v[24:25], v[34:35], v[10:11] op_sel_hi:[1,0,1]
	v_dual_mov_b32 v24, v51 :: v_dual_mov_b32 v25, v50
	v_pk_fma_f32 v[12:13], v[22:23], v[30:31], v[12:13] op_sel:[0,1,0]
	s_delay_alu instid0(VALU_DEP_3) | instskip(SKIP_1) | instid1(VALU_DEP_3)
	v_pk_fma_f32 v[10:11], v[22:23], v[34:35], v[10:11] op_sel:[0,1,0]
	v_mov_b32_e32 v22, v33
	v_pk_fma_f32 v[12:13], v[24:25], v[32:33], v[12:13] op_sel_hi:[1,0,1]
	s_delay_alu instid0(VALU_DEP_3) | instskip(NEXT) | instid1(VALU_DEP_2)
	v_pk_fma_f32 v[10:11], v[24:25], v[36:37], v[10:11] op_sel_hi:[1,0,1]
	v_pk_fma_f32 v[12:13], v[26:27], v[22:23], v[12:13] op_sel_hi:[1,0,1]
	s_delay_alu instid0(VALU_DEP_2)
	v_pk_fma_f32 v[10:11], v[26:27], v[28:29], v[10:11] op_sel_hi:[1,0,1]
	s_cbranch_vccnz .LBB401_5
.LBB401_6:                              ;   in Loop: Header=BB401_3 Depth=1
	s_mul_u64 s[18:19], s[22:23], s[2:3]
	s_and_not1_b32 vcc_lo, exec_lo, s1
	s_lshl_b64 s[18:19], s[18:19], 2
	s_delay_alu instid0(SALU_CYCLE_1) | instskip(NEXT) | instid1(SALU_CYCLE_1)
	s_add_nc_u64 s[18:19], s[10:11], s[18:19]
	v_lshl_add_u64 v[14:15], v[0:1], 2, s[18:19]
	s_delay_alu instid0(VALU_DEP_1)
	v_add_nc_u64_e32 v[16:17], v[14:15], v[6:7]
	v_lshl_add_u64 v[14:15], s[20:21], 2, v[14:15]
	s_cbranch_vccnz .LBB401_8
; %bb.7:                                ;   in Loop: Header=BB401_3 Depth=1
	s_delay_alu instid0(VALU_DEP_1)
	v_add_nc_u64_e32 v[22:23], v[14:15], v[6:7]
	v_dual_mul_f32 v24, s30, v13 :: v_dual_mul_f32 v25, s30, v12
	v_dual_mul_f32 v26, s30, v11 :: v_dual_mul_f32 v27, s30, v10
	s_clause 0x3
	global_store_b32 v[16:17], v24, off
	global_store_b32 v[16:17], v25, off offset:64
	global_store_b32 v[22:23], v26, off
	global_store_b32 v[22:23], v27, off offset:64
	s_cbranch_execnz .LBB401_2
	s_branch .LBB401_9
.LBB401_8:                              ;   in Loop: Header=BB401_3 Depth=1
.LBB401_9:                              ;   in Loop: Header=BB401_3 Depth=1
	s_mul_u64 s[18:19], s[8:9], s[2:3]
	s_wait_xcnt 0x0
	v_lshl_add_u64 v[22:23], s[18:19], 2, v[2:3]
	s_delay_alu instid0(VALU_DEP_1) | instskip(SKIP_1) | instid1(VALU_DEP_1)
	v_add_nc_u64_e32 v[24:25], v[22:23], v[6:7]
	v_lshl_add_u64 v[22:23], s[6:7], 2, v[22:23]
	v_add_nc_u64_e32 v[22:23], v[22:23], v[6:7]
	global_load_b32 v26, v[24:25], off
	s_wait_loadcnt 0x0
	v_mul_f32_e32 v26, s33, v26
	s_delay_alu instid0(VALU_DEP_1) | instskip(SKIP_4) | instid1(VALU_DEP_1)
	v_fmac_f32_e32 v26, s30, v13
	global_store_b32 v[16:17], v26, off
	global_load_b32 v13, v[24:25], off offset:64
	s_wait_loadcnt 0x0
	v_mul_f32_e32 v13, s33, v13
	v_fmac_f32_e32 v13, s30, v12
	global_store_b32 v[16:17], v13, off offset:64
	global_load_b32 v12, v[22:23], off
	s_wait_loadcnt 0x0
	s_wait_xcnt 0x1
	v_mul_f32_e32 v16, s33, v12
	v_add_nc_u64_e32 v[12:13], v[14:15], v[6:7]
	s_delay_alu instid0(VALU_DEP_2) | instskip(SKIP_4) | instid1(VALU_DEP_1)
	v_fmac_f32_e32 v16, s30, v11
	global_store_b32 v[12:13], v16, off
	global_load_b32 v11, v[22:23], off offset:64
	s_wait_loadcnt 0x0
	v_mul_f32_e32 v11, s33, v11
	v_fmac_f32_e32 v11, s30, v10
	global_store_b32 v[12:13], v11, off offset:64
	s_branch .LBB401_2
.LBB401_10:
	s_endpgm
	.section	.rodata,"a",@progbits
	.p2align	6, 0x0
	.amdhsa_kernel _ZN12_GLOBAL__N_127rocblas_gemm_batched_kernelIfLi16ELi16ELi32ELi32ELi8ELi32ELi8ELi8ELi32ELc78ELc84EKDF16_KffEEvlllT_PT11_llS5_llS3_PT12_llPT13_lli
		.amdhsa_group_segment_fixed_size 2048
		.amdhsa_private_segment_fixed_size 0
		.amdhsa_kernarg_size 140
		.amdhsa_user_sgpr_count 2
		.amdhsa_user_sgpr_dispatch_ptr 0
		.amdhsa_user_sgpr_queue_ptr 0
		.amdhsa_user_sgpr_kernarg_segment_ptr 1
		.amdhsa_user_sgpr_dispatch_id 0
		.amdhsa_user_sgpr_kernarg_preload_length 0
		.amdhsa_user_sgpr_kernarg_preload_offset 0
		.amdhsa_user_sgpr_private_segment_size 0
		.amdhsa_wavefront_size32 1
		.amdhsa_uses_dynamic_stack 0
		.amdhsa_enable_private_segment 0
		.amdhsa_system_sgpr_workgroup_id_x 1
		.amdhsa_system_sgpr_workgroup_id_y 1
		.amdhsa_system_sgpr_workgroup_id_z 1
		.amdhsa_system_sgpr_workgroup_info 0
		.amdhsa_system_vgpr_workitem_id 1
		.amdhsa_next_free_vgpr 56
		.amdhsa_next_free_sgpr 38
		.amdhsa_named_barrier_count 0
		.amdhsa_reserve_vcc 1
		.amdhsa_float_round_mode_32 0
		.amdhsa_float_round_mode_16_64 0
		.amdhsa_float_denorm_mode_32 3
		.amdhsa_float_denorm_mode_16_64 3
		.amdhsa_fp16_overflow 0
		.amdhsa_memory_ordered 1
		.amdhsa_forward_progress 1
		.amdhsa_inst_pref_size 11
		.amdhsa_round_robin_scheduling 0
		.amdhsa_exception_fp_ieee_invalid_op 0
		.amdhsa_exception_fp_denorm_src 0
		.amdhsa_exception_fp_ieee_div_zero 0
		.amdhsa_exception_fp_ieee_overflow 0
		.amdhsa_exception_fp_ieee_underflow 0
		.amdhsa_exception_fp_ieee_inexact 0
		.amdhsa_exception_int_div_zero 0
	.end_amdhsa_kernel
	.section	.text._ZN12_GLOBAL__N_127rocblas_gemm_batched_kernelIfLi16ELi16ELi32ELi32ELi8ELi32ELi8ELi8ELi32ELc78ELc84EKDF16_KffEEvlllT_PT11_llS5_llS3_PT12_llPT13_lli,"axG",@progbits,_ZN12_GLOBAL__N_127rocblas_gemm_batched_kernelIfLi16ELi16ELi32ELi32ELi8ELi32ELi8ELi8ELi32ELc78ELc84EKDF16_KffEEvlllT_PT11_llS5_llS3_PT12_llPT13_lli,comdat
.Lfunc_end401:
	.size	_ZN12_GLOBAL__N_127rocblas_gemm_batched_kernelIfLi16ELi16ELi32ELi32ELi8ELi32ELi8ELi8ELi32ELc78ELc84EKDF16_KffEEvlllT_PT11_llS5_llS3_PT12_llPT13_lli, .Lfunc_end401-_ZN12_GLOBAL__N_127rocblas_gemm_batched_kernelIfLi16ELi16ELi32ELi32ELi8ELi32ELi8ELi8ELi32ELc78ELc84EKDF16_KffEEvlllT_PT11_llS5_llS3_PT12_llPT13_lli
                                        ; -- End function
	.set _ZN12_GLOBAL__N_127rocblas_gemm_batched_kernelIfLi16ELi16ELi32ELi32ELi8ELi32ELi8ELi8ELi32ELc78ELc84EKDF16_KffEEvlllT_PT11_llS5_llS3_PT12_llPT13_lli.num_vgpr, 56
	.set _ZN12_GLOBAL__N_127rocblas_gemm_batched_kernelIfLi16ELi16ELi32ELi32ELi8ELi32ELi8ELi8ELi32ELc78ELc84EKDF16_KffEEvlllT_PT11_llS5_llS3_PT12_llPT13_lli.num_agpr, 0
	.set _ZN12_GLOBAL__N_127rocblas_gemm_batched_kernelIfLi16ELi16ELi32ELi32ELi8ELi32ELi8ELi8ELi32ELc78ELc84EKDF16_KffEEvlllT_PT11_llS5_llS3_PT12_llPT13_lli.numbered_sgpr, 38
	.set _ZN12_GLOBAL__N_127rocblas_gemm_batched_kernelIfLi16ELi16ELi32ELi32ELi8ELi32ELi8ELi8ELi32ELc78ELc84EKDF16_KffEEvlllT_PT11_llS5_llS3_PT12_llPT13_lli.num_named_barrier, 0
	.set _ZN12_GLOBAL__N_127rocblas_gemm_batched_kernelIfLi16ELi16ELi32ELi32ELi8ELi32ELi8ELi8ELi32ELc78ELc84EKDF16_KffEEvlllT_PT11_llS5_llS3_PT12_llPT13_lli.private_seg_size, 0
	.set _ZN12_GLOBAL__N_127rocblas_gemm_batched_kernelIfLi16ELi16ELi32ELi32ELi8ELi32ELi8ELi8ELi32ELc78ELc84EKDF16_KffEEvlllT_PT11_llS5_llS3_PT12_llPT13_lli.uses_vcc, 1
	.set _ZN12_GLOBAL__N_127rocblas_gemm_batched_kernelIfLi16ELi16ELi32ELi32ELi8ELi32ELi8ELi8ELi32ELc78ELc84EKDF16_KffEEvlllT_PT11_llS5_llS3_PT12_llPT13_lli.uses_flat_scratch, 0
	.set _ZN12_GLOBAL__N_127rocblas_gemm_batched_kernelIfLi16ELi16ELi32ELi32ELi8ELi32ELi8ELi8ELi32ELc78ELc84EKDF16_KffEEvlllT_PT11_llS5_llS3_PT12_llPT13_lli.has_dyn_sized_stack, 0
	.set _ZN12_GLOBAL__N_127rocblas_gemm_batched_kernelIfLi16ELi16ELi32ELi32ELi8ELi32ELi8ELi8ELi32ELc78ELc84EKDF16_KffEEvlllT_PT11_llS5_llS3_PT12_llPT13_lli.has_recursion, 0
	.set _ZN12_GLOBAL__N_127rocblas_gemm_batched_kernelIfLi16ELi16ELi32ELi32ELi8ELi32ELi8ELi8ELi32ELc78ELc84EKDF16_KffEEvlllT_PT11_llS5_llS3_PT12_llPT13_lli.has_indirect_call, 0
	.section	.AMDGPU.csdata,"",@progbits
; Kernel info:
; codeLenInByte = 1376
; TotalNumSgprs: 40
; NumVgprs: 56
; ScratchSize: 0
; MemoryBound: 0
; FloatMode: 240
; IeeeMode: 1
; LDSByteSize: 2048 bytes/workgroup (compile time only)
; SGPRBlocks: 0
; VGPRBlocks: 3
; NumSGPRsForWavesPerEU: 40
; NumVGPRsForWavesPerEU: 56
; NamedBarCnt: 0
; Occupancy: 16
; WaveLimiterHint : 0
; COMPUTE_PGM_RSRC2:SCRATCH_EN: 0
; COMPUTE_PGM_RSRC2:USER_SGPR: 2
; COMPUTE_PGM_RSRC2:TRAP_HANDLER: 0
; COMPUTE_PGM_RSRC2:TGID_X_EN: 1
; COMPUTE_PGM_RSRC2:TGID_Y_EN: 1
; COMPUTE_PGM_RSRC2:TGID_Z_EN: 1
; COMPUTE_PGM_RSRC2:TIDIG_COMP_CNT: 1
	.section	.text._ZN12_GLOBAL__N_127rocblas_gemm_batched_kernelIfLi16ELi16ELi32ELi32ELi8ELi32ELi8ELi8ELi32ELc84ELc84EKDF16_KffEEvlllT_PT11_llS5_llS3_PT12_llPT13_lli,"axG",@progbits,_ZN12_GLOBAL__N_127rocblas_gemm_batched_kernelIfLi16ELi16ELi32ELi32ELi8ELi32ELi8ELi8ELi32ELc84ELc84EKDF16_KffEEvlllT_PT11_llS5_llS3_PT12_llPT13_lli,comdat
	.globl	_ZN12_GLOBAL__N_127rocblas_gemm_batched_kernelIfLi16ELi16ELi32ELi32ELi8ELi32ELi8ELi8ELi32ELc84ELc84EKDF16_KffEEvlllT_PT11_llS5_llS3_PT12_llPT13_lli ; -- Begin function _ZN12_GLOBAL__N_127rocblas_gemm_batched_kernelIfLi16ELi16ELi32ELi32ELi8ELi32ELi8ELi8ELi32ELc84ELc84EKDF16_KffEEvlllT_PT11_llS5_llS3_PT12_llPT13_lli
	.p2align	8
	.type	_ZN12_GLOBAL__N_127rocblas_gemm_batched_kernelIfLi16ELi16ELi32ELi32ELi8ELi32ELi8ELi8ELi32ELc84ELc84EKDF16_KffEEvlllT_PT11_llS5_llS3_PT12_llPT13_lli,@function
_ZN12_GLOBAL__N_127rocblas_gemm_batched_kernelIfLi16ELi16ELi32ELi32ELi8ELi32ELi8ELi8ELi32ELc84ELc84EKDF16_KffEEvlllT_PT11_llS5_llS3_PT12_llPT13_lli: ; @_ZN12_GLOBAL__N_127rocblas_gemm_batched_kernelIfLi16ELi16ELi32ELi32ELi8ELi32ELi8ELi8ELi32ELc84ELc84EKDF16_KffEEvlllT_PT11_llS5_llS3_PT12_llPT13_lli
; %bb.0:
	s_load_b32 s31, s[0:1], 0x88
	s_bfe_u32 s2, ttmp6, 0x40014
	s_lshr_b32 s3, ttmp7, 16
	s_add_co_i32 s2, s2, 1
	s_bfe_u32 s4, ttmp6, 0x40008
	s_mul_i32 s2, s3, s2
	s_getreg_b32 s28, hwreg(HW_REG_IB_STS2, 6, 4)
	s_add_co_i32 s4, s4, s2
	s_cmp_eq_u32 s28, 0
	s_cselect_b32 s2, s3, s4
	s_mov_b32 s3, 0
	s_wait_kmcnt 0x0
	s_cmp_ge_i32 s2, s31
	s_cbranch_scc1 .LBB402_10
; %bb.1:
	v_bfe_u32 v2, v0, 10, 10
	v_and_b32_e32 v4, 0x3ff, v0
	s_bfe_u32 s29, ttmp6, 0x4000c
	s_bfe_u32 s33, ttmp6, 0x40010
	s_add_co_i32 s29, s29, 1
	s_and_b32 s34, ttmp7, 0xffff
	s_add_co_i32 s33, s33, 1
	s_clause 0x3
	s_load_b256 s[12:19], s[0:1], 0x20
	s_load_b128 s[24:27], s[0:1], 0x40
	s_load_b128 s[20:23], s[0:1], 0x78
	s_load_b256 s[4:11], s[0:1], 0x58
	s_and_b32 s30, ttmp6, 15
	s_mul_i32 s29, ttmp9, s29
	s_mul_i32 s33, s34, s33
	s_bfe_u32 s35, ttmp6, 0x40004
	v_lshl_add_u32 v5, v2, 4, v4
	s_add_co_i32 s30, s30, s29
	s_add_co_i32 s35, s35, s33
	s_cmp_eq_u32 s28, 0
	s_delay_alu instid0(VALU_DEP_1)
	v_dual_mov_b32 v3, 0 :: v_dual_bitop2_b32 v16, 31, v5 bitop3:0x40
	s_cselect_b32 s28, ttmp9, s30
	s_cselect_b32 s30, s34, s35
	s_ashr_i32 s29, s28, 31
	s_lshl_b32 s36, s30, 5
	s_lshl_b64 s[34:35], s[28:29], 5
	s_mov_b32 s37, s3
	v_dual_mov_b32 v7, s35 :: v_dual_bitop2_b32 v6, s34, v16 bitop3:0x54
	v_add_nc_u64_e32 v[8:9], s[36:37], v[2:3]
	v_dual_lshrrev_b32 v10, 3, v5 :: v_dual_bitop2_b32 v17, 7, v0 bitop3:0x40
	v_mov_b32_e32 v11, v3
	s_wait_kmcnt 0x0
	v_mul_u64_e32 v[6:7], s[14:15], v[6:7]
	s_clause 0x1
	s_load_b32 s33, s[0:1], 0x50
	s_load_b96 s[28:30], s[0:1], 0x10
	v_mul_u64_e32 v[12:13], s[6:7], v[8:9]
	v_mul_u64_e32 v[0:1], s[20:21], v[8:9]
	v_lshrrev_b32_e32 v8, 5, v5
	v_mad_nc_u64_u32 v[14:15], s24, v17, v[10:11]
	v_dual_lshlrev_b32 v11, 2, v17 :: v_dual_lshlrev_b32 v9, 2, v16
	v_dual_mov_b32 v5, v3 :: v_dual_lshlrev_b32 v20, 2, v4
	v_lshl_add_u32 v21, v2, 5, 0x400
	s_delay_alu instid0(VALU_DEP_3)
	v_lshl_or_b32 v10, v10, 5, v11
	v_lshlrev_b32_e32 v2, 1, v8
	v_lshl_or_b32 v18, v8, 7, v9
	v_add_nc_u64_e32 v[8:9], s[34:35], v[4:5]
	v_mad_u32 v15, s25, v17, v15
	v_add_nc_u32_e32 v19, 0x400, v10
	s_wait_kmcnt 0x0
	s_cmp_eq_f32 s33, 0
	v_cmp_gt_i64_e64 s0, s[28:29], 0
	s_cselect_b32 s1, -1, 0
	s_lshl_b64 s[14:15], s[20:21], 4
	s_lshl_b64 s[6:7], s[6:7], 4
	v_add_nc_u64_e32 v[10:11], s[36:37], v[14:15]
	v_cndmask_b32_e64 v14, 0, 1, s0
	s_lshl_b64 s[16:17], s[16:17], 1
	v_lshl_add_u64 v[4:5], v[6:7], 1, v[2:3]
	v_lshlrev_b64_e32 v[6:7], 2, v[8:9]
	s_delay_alu instid0(VALU_DEP_3)
	v_cmp_ne_u32_e64 s0, 1, v14
	v_lshl_add_u64 v[2:3], v[12:13], 2, s[4:5]
	v_lshl_add_u64 v[8:9], v[10:11], 1, s[18:19]
	v_add_nc_u64_e32 v[4:5], s[12:13], v[4:5]
	s_lshl_b64 s[4:5], s[26:27], 1
	s_lshl_b64 s[12:13], s[24:25], 4
	s_branch .LBB402_3
.LBB402_2:                              ;   in Loop: Header=BB402_3 Depth=1
	s_add_co_i32 s2, s2, 0x10000
	s_delay_alu instid0(SALU_CYCLE_1)
	s_cmp_lt_i32 s2, s31
	s_cbranch_scc0 .LBB402_10
.LBB402_3:                              ; =>This Loop Header: Depth=1
                                        ;     Child Loop BB402_5 Depth 2
	s_wait_xcnt 0x0
	v_dual_mov_b32 v13, 0 :: v_dual_mov_b32 v12, 0
	v_dual_mov_b32 v11, 0 :: v_dual_mov_b32 v10, 0
	s_and_b32 vcc_lo, exec_lo, s0
	s_cbranch_vccnz .LBB402_6
; %bb.4:                                ;   in Loop: Header=BB402_3 Depth=1
	v_mad_nc_u64_u32 v[14:15], s4, s2, v[8:9]
	v_mad_nc_u64_u32 v[16:17], s16, s2, v[4:5]
	v_mov_b32_e32 v10, 0
	s_mov_b64 s[18:19], 0
	s_delay_alu instid0(VALU_DEP_1)
	v_dual_mov_b32 v11, v10 :: v_dual_mov_b32 v12, v10
	v_mov_b32_e32 v13, v10
	v_mad_u32 v15, s5, s2, v15
	v_mad_u32 v17, s17, s2, v17
.LBB402_5:                              ;   Parent Loop BB402_3 Depth=1
                                        ; =>  This Inner Loop Header: Depth=2
	global_load_u16 v22, v[16:17], off
	global_load_u16 v23, v[14:15], off
	s_add_nc_u64 s[18:19], s[18:19], 8
	s_wait_xcnt 0x0
	v_add_nc_u64_e32 v[14:15], s[12:13], v[14:15]
	v_cmp_lt_i64_e64 s20, s[18:19], s[28:29]
	v_add_nc_u64_e32 v[16:17], 16, v[16:17]
	s_and_b32 vcc_lo, exec_lo, s20
	s_wait_loadcnt 0x1
	v_cvt_f32_f16_e32 v22, v22
	s_wait_loadcnt 0x0
	v_cvt_f32_f16_e32 v23, v23
	ds_store_b32 v18, v22
	ds_store_b32 v19, v23
	s_wait_dscnt 0x0
	s_barrier_signal -1
	s_barrier_wait -1
	ds_load_2addr_b32 v[38:39], v20 offset1:16
	ds_load_2addr_b32 v[40:41], v20 offset0:32 offset1:48
	ds_load_b128 v[22:25], v21
	ds_load_2addr_b32 v[42:43], v20 offset0:64 offset1:80
	ds_load_b128 v[26:29], v21 offset:512
	ds_load_2addr_b32 v[44:45], v20 offset0:96 offset1:112
	ds_load_b128 v[30:33], v21 offset:16
	;; [unrolled: 2-line block ×3, first 2 shown]
	ds_load_2addr_b32 v[48:49], v20 offset0:160 offset1:176
	ds_load_2addr_b32 v[50:51], v20 offset0:192 offset1:208
	;; [unrolled: 1-line block ×3, first 2 shown]
	s_wait_dscnt 0x0
	s_barrier_signal -1
	s_barrier_wait -1
	v_dual_mov_b32 v54, v39 :: v_dual_mov_b32 v55, v38
	v_dual_mov_b32 v38, v41 :: v_dual_mov_b32 v39, v40
	;; [unrolled: 1-line block ×3, first 2 shown]
	s_delay_alu instid0(VALU_DEP_3) | instskip(SKIP_3) | instid1(VALU_DEP_4)
	v_pk_fma_f32 v[12:13], v[54:55], v[22:23], v[12:13] op_sel_hi:[1,0,1]
	v_pk_fma_f32 v[10:11], v[54:55], v[26:27], v[10:11] op_sel_hi:[1,0,1]
	v_dual_mov_b32 v42, v45 :: v_dual_mov_b32 v43, v44
	v_mov_b32_e32 v44, v25
	v_pk_fma_f32 v[12:13], v[38:39], v[22:23], v[12:13] op_sel:[0,1,0]
	s_delay_alu instid0(VALU_DEP_4) | instskip(SKIP_2) | instid1(VALU_DEP_4)
	v_pk_fma_f32 v[10:11], v[38:39], v[26:27], v[10:11] op_sel:[0,1,0]
	v_dual_mov_b32 v22, v29 :: v_dual_mov_b32 v26, v53
	v_mov_b32_e32 v27, v52
	v_pk_fma_f32 v[12:13], v[40:41], v[24:25], v[12:13] op_sel_hi:[1,0,1]
	s_delay_alu instid0(VALU_DEP_4) | instskip(SKIP_2) | instid1(VALU_DEP_4)
	v_pk_fma_f32 v[10:11], v[40:41], v[28:29], v[10:11] op_sel_hi:[1,0,1]
	v_dual_mov_b32 v24, v47 :: v_dual_mov_b32 v25, v46
	v_mov_b32_e32 v28, v37
	v_pk_fma_f32 v[12:13], v[42:43], v[44:45], v[12:13] op_sel_hi:[1,0,1]
	s_delay_alu instid0(VALU_DEP_4) | instskip(SKIP_1) | instid1(VALU_DEP_3)
	v_pk_fma_f32 v[10:11], v[42:43], v[22:23], v[10:11] op_sel_hi:[1,0,1]
	v_dual_mov_b32 v22, v49 :: v_dual_mov_b32 v23, v48
	v_pk_fma_f32 v[12:13], v[24:25], v[30:31], v[12:13] op_sel_hi:[1,0,1]
	s_delay_alu instid0(VALU_DEP_3) | instskip(SKIP_1) | instid1(VALU_DEP_3)
	v_pk_fma_f32 v[10:11], v[24:25], v[34:35], v[10:11] op_sel_hi:[1,0,1]
	v_dual_mov_b32 v24, v51 :: v_dual_mov_b32 v25, v50
	v_pk_fma_f32 v[12:13], v[22:23], v[30:31], v[12:13] op_sel:[0,1,0]
	s_delay_alu instid0(VALU_DEP_3) | instskip(SKIP_1) | instid1(VALU_DEP_3)
	v_pk_fma_f32 v[10:11], v[22:23], v[34:35], v[10:11] op_sel:[0,1,0]
	v_mov_b32_e32 v22, v33
	v_pk_fma_f32 v[12:13], v[24:25], v[32:33], v[12:13] op_sel_hi:[1,0,1]
	s_delay_alu instid0(VALU_DEP_3) | instskip(NEXT) | instid1(VALU_DEP_2)
	v_pk_fma_f32 v[10:11], v[24:25], v[36:37], v[10:11] op_sel_hi:[1,0,1]
	v_pk_fma_f32 v[12:13], v[26:27], v[22:23], v[12:13] op_sel_hi:[1,0,1]
	s_delay_alu instid0(VALU_DEP_2)
	v_pk_fma_f32 v[10:11], v[26:27], v[28:29], v[10:11] op_sel_hi:[1,0,1]
	s_cbranch_vccnz .LBB402_5
.LBB402_6:                              ;   in Loop: Header=BB402_3 Depth=1
	s_mul_u64 s[18:19], s[22:23], s[2:3]
	s_and_not1_b32 vcc_lo, exec_lo, s1
	s_lshl_b64 s[18:19], s[18:19], 2
	s_delay_alu instid0(SALU_CYCLE_1) | instskip(NEXT) | instid1(SALU_CYCLE_1)
	s_add_nc_u64 s[18:19], s[10:11], s[18:19]
	v_lshl_add_u64 v[14:15], v[0:1], 2, s[18:19]
	s_delay_alu instid0(VALU_DEP_1)
	v_add_nc_u64_e32 v[16:17], v[14:15], v[6:7]
	v_lshl_add_u64 v[14:15], s[14:15], 2, v[14:15]
	s_cbranch_vccnz .LBB402_8
; %bb.7:                                ;   in Loop: Header=BB402_3 Depth=1
	s_delay_alu instid0(VALU_DEP_1)
	v_add_nc_u64_e32 v[22:23], v[14:15], v[6:7]
	v_dual_mul_f32 v24, s30, v13 :: v_dual_mul_f32 v25, s30, v12
	v_dual_mul_f32 v26, s30, v11 :: v_dual_mul_f32 v27, s30, v10
	s_clause 0x3
	global_store_b32 v[16:17], v24, off
	global_store_b32 v[16:17], v25, off offset:64
	global_store_b32 v[22:23], v26, off
	global_store_b32 v[22:23], v27, off offset:64
	s_cbranch_execnz .LBB402_2
	s_branch .LBB402_9
.LBB402_8:                              ;   in Loop: Header=BB402_3 Depth=1
.LBB402_9:                              ;   in Loop: Header=BB402_3 Depth=1
	s_mul_u64 s[18:19], s[8:9], s[2:3]
	s_wait_xcnt 0x0
	v_lshl_add_u64 v[22:23], s[18:19], 2, v[2:3]
	s_delay_alu instid0(VALU_DEP_1) | instskip(SKIP_1) | instid1(VALU_DEP_1)
	v_add_nc_u64_e32 v[24:25], v[22:23], v[6:7]
	v_lshl_add_u64 v[22:23], s[6:7], 2, v[22:23]
	v_add_nc_u64_e32 v[22:23], v[22:23], v[6:7]
	global_load_b32 v26, v[24:25], off
	s_wait_loadcnt 0x0
	v_mul_f32_e32 v26, s33, v26
	s_delay_alu instid0(VALU_DEP_1) | instskip(SKIP_4) | instid1(VALU_DEP_1)
	v_fmac_f32_e32 v26, s30, v13
	global_store_b32 v[16:17], v26, off
	global_load_b32 v13, v[24:25], off offset:64
	s_wait_loadcnt 0x0
	v_mul_f32_e32 v13, s33, v13
	v_fmac_f32_e32 v13, s30, v12
	global_store_b32 v[16:17], v13, off offset:64
	global_load_b32 v12, v[22:23], off
	s_wait_loadcnt 0x0
	s_wait_xcnt 0x1
	v_mul_f32_e32 v16, s33, v12
	v_add_nc_u64_e32 v[12:13], v[14:15], v[6:7]
	s_delay_alu instid0(VALU_DEP_2) | instskip(SKIP_4) | instid1(VALU_DEP_1)
	v_fmac_f32_e32 v16, s30, v11
	global_store_b32 v[12:13], v16, off
	global_load_b32 v11, v[22:23], off offset:64
	s_wait_loadcnt 0x0
	v_mul_f32_e32 v11, s33, v11
	v_fmac_f32_e32 v11, s30, v10
	global_store_b32 v[12:13], v11, off offset:64
	s_branch .LBB402_2
.LBB402_10:
	s_endpgm
	.section	.rodata,"a",@progbits
	.p2align	6, 0x0
	.amdhsa_kernel _ZN12_GLOBAL__N_127rocblas_gemm_batched_kernelIfLi16ELi16ELi32ELi32ELi8ELi32ELi8ELi8ELi32ELc84ELc84EKDF16_KffEEvlllT_PT11_llS5_llS3_PT12_llPT13_lli
		.amdhsa_group_segment_fixed_size 2048
		.amdhsa_private_segment_fixed_size 0
		.amdhsa_kernarg_size 140
		.amdhsa_user_sgpr_count 2
		.amdhsa_user_sgpr_dispatch_ptr 0
		.amdhsa_user_sgpr_queue_ptr 0
		.amdhsa_user_sgpr_kernarg_segment_ptr 1
		.amdhsa_user_sgpr_dispatch_id 0
		.amdhsa_user_sgpr_kernarg_preload_length 0
		.amdhsa_user_sgpr_kernarg_preload_offset 0
		.amdhsa_user_sgpr_private_segment_size 0
		.amdhsa_wavefront_size32 1
		.amdhsa_uses_dynamic_stack 0
		.amdhsa_enable_private_segment 0
		.amdhsa_system_sgpr_workgroup_id_x 1
		.amdhsa_system_sgpr_workgroup_id_y 1
		.amdhsa_system_sgpr_workgroup_id_z 1
		.amdhsa_system_sgpr_workgroup_info 0
		.amdhsa_system_vgpr_workitem_id 1
		.amdhsa_next_free_vgpr 56
		.amdhsa_next_free_sgpr 38
		.amdhsa_named_barrier_count 0
		.amdhsa_reserve_vcc 1
		.amdhsa_float_round_mode_32 0
		.amdhsa_float_round_mode_16_64 0
		.amdhsa_float_denorm_mode_32 3
		.amdhsa_float_denorm_mode_16_64 3
		.amdhsa_fp16_overflow 0
		.amdhsa_memory_ordered 1
		.amdhsa_forward_progress 1
		.amdhsa_inst_pref_size 11
		.amdhsa_round_robin_scheduling 0
		.amdhsa_exception_fp_ieee_invalid_op 0
		.amdhsa_exception_fp_denorm_src 0
		.amdhsa_exception_fp_ieee_div_zero 0
		.amdhsa_exception_fp_ieee_overflow 0
		.amdhsa_exception_fp_ieee_underflow 0
		.amdhsa_exception_fp_ieee_inexact 0
		.amdhsa_exception_int_div_zero 0
	.end_amdhsa_kernel
	.section	.text._ZN12_GLOBAL__N_127rocblas_gemm_batched_kernelIfLi16ELi16ELi32ELi32ELi8ELi32ELi8ELi8ELi32ELc84ELc84EKDF16_KffEEvlllT_PT11_llS5_llS3_PT12_llPT13_lli,"axG",@progbits,_ZN12_GLOBAL__N_127rocblas_gemm_batched_kernelIfLi16ELi16ELi32ELi32ELi8ELi32ELi8ELi8ELi32ELc84ELc84EKDF16_KffEEvlllT_PT11_llS5_llS3_PT12_llPT13_lli,comdat
.Lfunc_end402:
	.size	_ZN12_GLOBAL__N_127rocblas_gemm_batched_kernelIfLi16ELi16ELi32ELi32ELi8ELi32ELi8ELi8ELi32ELc84ELc84EKDF16_KffEEvlllT_PT11_llS5_llS3_PT12_llPT13_lli, .Lfunc_end402-_ZN12_GLOBAL__N_127rocblas_gemm_batched_kernelIfLi16ELi16ELi32ELi32ELi8ELi32ELi8ELi8ELi32ELc84ELc84EKDF16_KffEEvlllT_PT11_llS5_llS3_PT12_llPT13_lli
                                        ; -- End function
	.set _ZN12_GLOBAL__N_127rocblas_gemm_batched_kernelIfLi16ELi16ELi32ELi32ELi8ELi32ELi8ELi8ELi32ELc84ELc84EKDF16_KffEEvlllT_PT11_llS5_llS3_PT12_llPT13_lli.num_vgpr, 56
	.set _ZN12_GLOBAL__N_127rocblas_gemm_batched_kernelIfLi16ELi16ELi32ELi32ELi8ELi32ELi8ELi8ELi32ELc84ELc84EKDF16_KffEEvlllT_PT11_llS5_llS3_PT12_llPT13_lli.num_agpr, 0
	.set _ZN12_GLOBAL__N_127rocblas_gemm_batched_kernelIfLi16ELi16ELi32ELi32ELi8ELi32ELi8ELi8ELi32ELc84ELc84EKDF16_KffEEvlllT_PT11_llS5_llS3_PT12_llPT13_lli.numbered_sgpr, 38
	.set _ZN12_GLOBAL__N_127rocblas_gemm_batched_kernelIfLi16ELi16ELi32ELi32ELi8ELi32ELi8ELi8ELi32ELc84ELc84EKDF16_KffEEvlllT_PT11_llS5_llS3_PT12_llPT13_lli.num_named_barrier, 0
	.set _ZN12_GLOBAL__N_127rocblas_gemm_batched_kernelIfLi16ELi16ELi32ELi32ELi8ELi32ELi8ELi8ELi32ELc84ELc84EKDF16_KffEEvlllT_PT11_llS5_llS3_PT12_llPT13_lli.private_seg_size, 0
	.set _ZN12_GLOBAL__N_127rocblas_gemm_batched_kernelIfLi16ELi16ELi32ELi32ELi8ELi32ELi8ELi8ELi32ELc84ELc84EKDF16_KffEEvlllT_PT11_llS5_llS3_PT12_llPT13_lli.uses_vcc, 1
	.set _ZN12_GLOBAL__N_127rocblas_gemm_batched_kernelIfLi16ELi16ELi32ELi32ELi8ELi32ELi8ELi8ELi32ELc84ELc84EKDF16_KffEEvlllT_PT11_llS5_llS3_PT12_llPT13_lli.uses_flat_scratch, 0
	.set _ZN12_GLOBAL__N_127rocblas_gemm_batched_kernelIfLi16ELi16ELi32ELi32ELi8ELi32ELi8ELi8ELi32ELc84ELc84EKDF16_KffEEvlllT_PT11_llS5_llS3_PT12_llPT13_lli.has_dyn_sized_stack, 0
	.set _ZN12_GLOBAL__N_127rocblas_gemm_batched_kernelIfLi16ELi16ELi32ELi32ELi8ELi32ELi8ELi8ELi32ELc84ELc84EKDF16_KffEEvlllT_PT11_llS5_llS3_PT12_llPT13_lli.has_recursion, 0
	.set _ZN12_GLOBAL__N_127rocblas_gemm_batched_kernelIfLi16ELi16ELi32ELi32ELi8ELi32ELi8ELi8ELi32ELc84ELc84EKDF16_KffEEvlllT_PT11_llS5_llS3_PT12_llPT13_lli.has_indirect_call, 0
	.section	.AMDGPU.csdata,"",@progbits
; Kernel info:
; codeLenInByte = 1380
; TotalNumSgprs: 40
; NumVgprs: 56
; ScratchSize: 0
; MemoryBound: 0
; FloatMode: 240
; IeeeMode: 1
; LDSByteSize: 2048 bytes/workgroup (compile time only)
; SGPRBlocks: 0
; VGPRBlocks: 3
; NumSGPRsForWavesPerEU: 40
; NumVGPRsForWavesPerEU: 56
; NamedBarCnt: 0
; Occupancy: 16
; WaveLimiterHint : 0
; COMPUTE_PGM_RSRC2:SCRATCH_EN: 0
; COMPUTE_PGM_RSRC2:USER_SGPR: 2
; COMPUTE_PGM_RSRC2:TRAP_HANDLER: 0
; COMPUTE_PGM_RSRC2:TGID_X_EN: 1
; COMPUTE_PGM_RSRC2:TGID_Y_EN: 1
; COMPUTE_PGM_RSRC2:TGID_Z_EN: 1
; COMPUTE_PGM_RSRC2:TIDIG_COMP_CNT: 1
	.section	.text._ZN12_GLOBAL__N_127rocblas_gemm_batched_kernelIfLi16ELi16ELi32ELi32ELi8ELi32ELi8ELi8ELi32ELc67ELc67EKDF16_KffEEvlllT_PT11_llS5_llS3_PT12_llPT13_lli,"axG",@progbits,_ZN12_GLOBAL__N_127rocblas_gemm_batched_kernelIfLi16ELi16ELi32ELi32ELi8ELi32ELi8ELi8ELi32ELc67ELc67EKDF16_KffEEvlllT_PT11_llS5_llS3_PT12_llPT13_lli,comdat
	.globl	_ZN12_GLOBAL__N_127rocblas_gemm_batched_kernelIfLi16ELi16ELi32ELi32ELi8ELi32ELi8ELi8ELi32ELc67ELc67EKDF16_KffEEvlllT_PT11_llS5_llS3_PT12_llPT13_lli ; -- Begin function _ZN12_GLOBAL__N_127rocblas_gemm_batched_kernelIfLi16ELi16ELi32ELi32ELi8ELi32ELi8ELi8ELi32ELc67ELc67EKDF16_KffEEvlllT_PT11_llS5_llS3_PT12_llPT13_lli
	.p2align	8
	.type	_ZN12_GLOBAL__N_127rocblas_gemm_batched_kernelIfLi16ELi16ELi32ELi32ELi8ELi32ELi8ELi8ELi32ELc67ELc67EKDF16_KffEEvlllT_PT11_llS5_llS3_PT12_llPT13_lli,@function
_ZN12_GLOBAL__N_127rocblas_gemm_batched_kernelIfLi16ELi16ELi32ELi32ELi8ELi32ELi8ELi8ELi32ELc67ELc67EKDF16_KffEEvlllT_PT11_llS5_llS3_PT12_llPT13_lli: ; @_ZN12_GLOBAL__N_127rocblas_gemm_batched_kernelIfLi16ELi16ELi32ELi32ELi8ELi32ELi8ELi8ELi32ELc67ELc67EKDF16_KffEEvlllT_PT11_llS5_llS3_PT12_llPT13_lli
; %bb.0:
	s_load_b32 s31, s[0:1], 0x88
	s_bfe_u32 s2, ttmp6, 0x40014
	s_lshr_b32 s3, ttmp7, 16
	s_add_co_i32 s2, s2, 1
	s_bfe_u32 s4, ttmp6, 0x40008
	s_mul_i32 s2, s3, s2
	s_getreg_b32 s28, hwreg(HW_REG_IB_STS2, 6, 4)
	s_add_co_i32 s4, s4, s2
	s_cmp_eq_u32 s28, 0
	s_cselect_b32 s2, s3, s4
	s_mov_b32 s3, 0
	s_wait_kmcnt 0x0
	s_cmp_ge_i32 s2, s31
	s_cbranch_scc1 .LBB403_10
; %bb.1:
	v_bfe_u32 v2, v0, 10, 10
	v_and_b32_e32 v4, 0x3ff, v0
	s_bfe_u32 s29, ttmp6, 0x4000c
	s_bfe_u32 s33, ttmp6, 0x40010
	s_add_co_i32 s29, s29, 1
	s_and_b32 s34, ttmp7, 0xffff
	s_add_co_i32 s33, s33, 1
	s_clause 0x3
	s_load_b256 s[12:19], s[0:1], 0x20
	s_load_b128 s[24:27], s[0:1], 0x40
	s_load_b128 s[20:23], s[0:1], 0x78
	s_load_b256 s[4:11], s[0:1], 0x58
	s_and_b32 s30, ttmp6, 15
	s_mul_i32 s29, ttmp9, s29
	s_mul_i32 s33, s34, s33
	s_bfe_u32 s35, ttmp6, 0x40004
	v_lshl_add_u32 v5, v2, 4, v4
	s_add_co_i32 s30, s30, s29
	s_add_co_i32 s35, s35, s33
	s_cmp_eq_u32 s28, 0
	s_delay_alu instid0(VALU_DEP_1)
	v_dual_mov_b32 v3, 0 :: v_dual_bitop2_b32 v16, 31, v5 bitop3:0x40
	s_cselect_b32 s28, ttmp9, s30
	s_cselect_b32 s30, s34, s35
	s_ashr_i32 s29, s28, 31
	s_lshl_b32 s36, s30, 5
	s_lshl_b64 s[34:35], s[28:29], 5
	s_mov_b32 s37, s3
	v_dual_mov_b32 v7, s35 :: v_dual_bitop2_b32 v6, s34, v16 bitop3:0x54
	v_add_nc_u64_e32 v[8:9], s[36:37], v[2:3]
	v_dual_lshrrev_b32 v10, 3, v5 :: v_dual_bitop2_b32 v17, 7, v0 bitop3:0x40
	v_mov_b32_e32 v11, v3
	s_wait_kmcnt 0x0
	v_mul_u64_e32 v[6:7], s[14:15], v[6:7]
	s_clause 0x1
	s_load_b32 s33, s[0:1], 0x50
	s_load_b96 s[28:30], s[0:1], 0x10
	v_mul_u64_e32 v[12:13], s[6:7], v[8:9]
	v_mul_u64_e32 v[0:1], s[20:21], v[8:9]
	v_lshrrev_b32_e32 v8, 5, v5
	v_mad_nc_u64_u32 v[14:15], s24, v17, v[10:11]
	v_dual_lshlrev_b32 v11, 2, v17 :: v_dual_lshlrev_b32 v9, 2, v16
	v_dual_mov_b32 v5, v3 :: v_dual_lshlrev_b32 v20, 2, v4
	v_lshl_add_u32 v21, v2, 5, 0x400
	s_delay_alu instid0(VALU_DEP_3)
	v_lshl_or_b32 v10, v10, 5, v11
	v_lshlrev_b32_e32 v2, 1, v8
	v_lshl_or_b32 v18, v8, 7, v9
	v_add_nc_u64_e32 v[8:9], s[34:35], v[4:5]
	v_mad_u32 v15, s25, v17, v15
	v_add_nc_u32_e32 v19, 0x400, v10
	s_wait_kmcnt 0x0
	s_cmp_eq_f32 s33, 0
	v_cmp_gt_i64_e64 s0, s[28:29], 0
	s_cselect_b32 s1, -1, 0
	s_lshl_b64 s[14:15], s[20:21], 4
	s_lshl_b64 s[6:7], s[6:7], 4
	v_add_nc_u64_e32 v[10:11], s[36:37], v[14:15]
	v_cndmask_b32_e64 v14, 0, 1, s0
	s_lshl_b64 s[16:17], s[16:17], 1
	v_lshl_add_u64 v[4:5], v[6:7], 1, v[2:3]
	v_lshlrev_b64_e32 v[6:7], 2, v[8:9]
	s_delay_alu instid0(VALU_DEP_3)
	v_cmp_ne_u32_e64 s0, 1, v14
	v_lshl_add_u64 v[2:3], v[12:13], 2, s[4:5]
	v_lshl_add_u64 v[8:9], v[10:11], 1, s[18:19]
	v_add_nc_u64_e32 v[4:5], s[12:13], v[4:5]
	s_lshl_b64 s[4:5], s[26:27], 1
	s_lshl_b64 s[12:13], s[24:25], 4
	s_branch .LBB403_3
.LBB403_2:                              ;   in Loop: Header=BB403_3 Depth=1
	s_add_co_i32 s2, s2, 0x10000
	s_delay_alu instid0(SALU_CYCLE_1)
	s_cmp_lt_i32 s2, s31
	s_cbranch_scc0 .LBB403_10
.LBB403_3:                              ; =>This Loop Header: Depth=1
                                        ;     Child Loop BB403_5 Depth 2
	s_wait_xcnt 0x0
	v_dual_mov_b32 v13, 0 :: v_dual_mov_b32 v12, 0
	v_dual_mov_b32 v11, 0 :: v_dual_mov_b32 v10, 0
	s_and_b32 vcc_lo, exec_lo, s0
	s_cbranch_vccnz .LBB403_6
; %bb.4:                                ;   in Loop: Header=BB403_3 Depth=1
	v_mad_nc_u64_u32 v[14:15], s4, s2, v[8:9]
	v_mad_nc_u64_u32 v[16:17], s16, s2, v[4:5]
	v_mov_b32_e32 v10, 0
	s_mov_b64 s[18:19], 0
	s_delay_alu instid0(VALU_DEP_1)
	v_dual_mov_b32 v11, v10 :: v_dual_mov_b32 v12, v10
	v_mov_b32_e32 v13, v10
	v_mad_u32 v15, s5, s2, v15
	v_mad_u32 v17, s17, s2, v17
.LBB403_5:                              ;   Parent Loop BB403_3 Depth=1
                                        ; =>  This Inner Loop Header: Depth=2
	global_load_u16 v22, v[16:17], off
	global_load_u16 v23, v[14:15], off
	s_add_nc_u64 s[18:19], s[18:19], 8
	s_wait_xcnt 0x0
	v_add_nc_u64_e32 v[14:15], s[12:13], v[14:15]
	v_cmp_lt_i64_e64 s20, s[18:19], s[28:29]
	v_add_nc_u64_e32 v[16:17], 16, v[16:17]
	s_and_b32 vcc_lo, exec_lo, s20
	s_wait_loadcnt 0x1
	v_cvt_f32_f16_e32 v22, v22
	s_wait_loadcnt 0x0
	v_cvt_f32_f16_e32 v23, v23
	ds_store_b32 v18, v22
	ds_store_b32 v19, v23
	s_wait_dscnt 0x0
	s_barrier_signal -1
	s_barrier_wait -1
	ds_load_2addr_b32 v[38:39], v20 offset1:16
	ds_load_2addr_b32 v[40:41], v20 offset0:32 offset1:48
	ds_load_b128 v[22:25], v21
	ds_load_2addr_b32 v[42:43], v20 offset0:64 offset1:80
	ds_load_b128 v[26:29], v21 offset:512
	ds_load_2addr_b32 v[44:45], v20 offset0:96 offset1:112
	ds_load_b128 v[30:33], v21 offset:16
	;; [unrolled: 2-line block ×3, first 2 shown]
	ds_load_2addr_b32 v[48:49], v20 offset0:160 offset1:176
	ds_load_2addr_b32 v[50:51], v20 offset0:192 offset1:208
	;; [unrolled: 1-line block ×3, first 2 shown]
	s_wait_dscnt 0x0
	s_barrier_signal -1
	s_barrier_wait -1
	v_dual_mov_b32 v54, v39 :: v_dual_mov_b32 v55, v38
	v_dual_mov_b32 v38, v41 :: v_dual_mov_b32 v39, v40
	;; [unrolled: 1-line block ×3, first 2 shown]
	s_delay_alu instid0(VALU_DEP_3) | instskip(SKIP_3) | instid1(VALU_DEP_4)
	v_pk_fma_f32 v[12:13], v[54:55], v[22:23], v[12:13] op_sel_hi:[1,0,1]
	v_pk_fma_f32 v[10:11], v[54:55], v[26:27], v[10:11] op_sel_hi:[1,0,1]
	v_dual_mov_b32 v42, v45 :: v_dual_mov_b32 v43, v44
	v_mov_b32_e32 v44, v25
	v_pk_fma_f32 v[12:13], v[38:39], v[22:23], v[12:13] op_sel:[0,1,0]
	s_delay_alu instid0(VALU_DEP_4) | instskip(SKIP_2) | instid1(VALU_DEP_4)
	v_pk_fma_f32 v[10:11], v[38:39], v[26:27], v[10:11] op_sel:[0,1,0]
	v_dual_mov_b32 v22, v29 :: v_dual_mov_b32 v26, v53
	v_mov_b32_e32 v27, v52
	v_pk_fma_f32 v[12:13], v[40:41], v[24:25], v[12:13] op_sel_hi:[1,0,1]
	s_delay_alu instid0(VALU_DEP_4) | instskip(SKIP_2) | instid1(VALU_DEP_4)
	v_pk_fma_f32 v[10:11], v[40:41], v[28:29], v[10:11] op_sel_hi:[1,0,1]
	v_dual_mov_b32 v24, v47 :: v_dual_mov_b32 v25, v46
	v_mov_b32_e32 v28, v37
	v_pk_fma_f32 v[12:13], v[42:43], v[44:45], v[12:13] op_sel_hi:[1,0,1]
	s_delay_alu instid0(VALU_DEP_4) | instskip(SKIP_1) | instid1(VALU_DEP_3)
	v_pk_fma_f32 v[10:11], v[42:43], v[22:23], v[10:11] op_sel_hi:[1,0,1]
	v_dual_mov_b32 v22, v49 :: v_dual_mov_b32 v23, v48
	v_pk_fma_f32 v[12:13], v[24:25], v[30:31], v[12:13] op_sel_hi:[1,0,1]
	s_delay_alu instid0(VALU_DEP_3) | instskip(SKIP_1) | instid1(VALU_DEP_3)
	v_pk_fma_f32 v[10:11], v[24:25], v[34:35], v[10:11] op_sel_hi:[1,0,1]
	v_dual_mov_b32 v24, v51 :: v_dual_mov_b32 v25, v50
	v_pk_fma_f32 v[12:13], v[22:23], v[30:31], v[12:13] op_sel:[0,1,0]
	s_delay_alu instid0(VALU_DEP_3) | instskip(SKIP_1) | instid1(VALU_DEP_3)
	v_pk_fma_f32 v[10:11], v[22:23], v[34:35], v[10:11] op_sel:[0,1,0]
	v_mov_b32_e32 v22, v33
	v_pk_fma_f32 v[12:13], v[24:25], v[32:33], v[12:13] op_sel_hi:[1,0,1]
	s_delay_alu instid0(VALU_DEP_3) | instskip(NEXT) | instid1(VALU_DEP_2)
	v_pk_fma_f32 v[10:11], v[24:25], v[36:37], v[10:11] op_sel_hi:[1,0,1]
	v_pk_fma_f32 v[12:13], v[26:27], v[22:23], v[12:13] op_sel_hi:[1,0,1]
	s_delay_alu instid0(VALU_DEP_2)
	v_pk_fma_f32 v[10:11], v[26:27], v[28:29], v[10:11] op_sel_hi:[1,0,1]
	s_cbranch_vccnz .LBB403_5
.LBB403_6:                              ;   in Loop: Header=BB403_3 Depth=1
	s_mul_u64 s[18:19], s[22:23], s[2:3]
	s_and_not1_b32 vcc_lo, exec_lo, s1
	s_lshl_b64 s[18:19], s[18:19], 2
	s_delay_alu instid0(SALU_CYCLE_1) | instskip(NEXT) | instid1(SALU_CYCLE_1)
	s_add_nc_u64 s[18:19], s[10:11], s[18:19]
	v_lshl_add_u64 v[14:15], v[0:1], 2, s[18:19]
	s_delay_alu instid0(VALU_DEP_1)
	v_add_nc_u64_e32 v[16:17], v[14:15], v[6:7]
	v_lshl_add_u64 v[14:15], s[14:15], 2, v[14:15]
	s_cbranch_vccnz .LBB403_8
; %bb.7:                                ;   in Loop: Header=BB403_3 Depth=1
	s_delay_alu instid0(VALU_DEP_1)
	v_add_nc_u64_e32 v[22:23], v[14:15], v[6:7]
	v_dual_mul_f32 v24, s30, v13 :: v_dual_mul_f32 v25, s30, v12
	v_dual_mul_f32 v26, s30, v11 :: v_dual_mul_f32 v27, s30, v10
	s_clause 0x3
	global_store_b32 v[16:17], v24, off
	global_store_b32 v[16:17], v25, off offset:64
	global_store_b32 v[22:23], v26, off
	global_store_b32 v[22:23], v27, off offset:64
	s_cbranch_execnz .LBB403_2
	s_branch .LBB403_9
.LBB403_8:                              ;   in Loop: Header=BB403_3 Depth=1
.LBB403_9:                              ;   in Loop: Header=BB403_3 Depth=1
	s_mul_u64 s[18:19], s[8:9], s[2:3]
	s_wait_xcnt 0x0
	v_lshl_add_u64 v[22:23], s[18:19], 2, v[2:3]
	s_delay_alu instid0(VALU_DEP_1) | instskip(SKIP_1) | instid1(VALU_DEP_1)
	v_add_nc_u64_e32 v[24:25], v[22:23], v[6:7]
	v_lshl_add_u64 v[22:23], s[6:7], 2, v[22:23]
	v_add_nc_u64_e32 v[22:23], v[22:23], v[6:7]
	global_load_b32 v26, v[24:25], off
	s_wait_loadcnt 0x0
	v_mul_f32_e32 v26, s33, v26
	s_delay_alu instid0(VALU_DEP_1) | instskip(SKIP_4) | instid1(VALU_DEP_1)
	v_fmac_f32_e32 v26, s30, v13
	global_store_b32 v[16:17], v26, off
	global_load_b32 v13, v[24:25], off offset:64
	s_wait_loadcnt 0x0
	v_mul_f32_e32 v13, s33, v13
	v_fmac_f32_e32 v13, s30, v12
	global_store_b32 v[16:17], v13, off offset:64
	global_load_b32 v12, v[22:23], off
	s_wait_loadcnt 0x0
	s_wait_xcnt 0x1
	v_mul_f32_e32 v16, s33, v12
	v_add_nc_u64_e32 v[12:13], v[14:15], v[6:7]
	s_delay_alu instid0(VALU_DEP_2) | instskip(SKIP_4) | instid1(VALU_DEP_1)
	v_fmac_f32_e32 v16, s30, v11
	global_store_b32 v[12:13], v16, off
	global_load_b32 v11, v[22:23], off offset:64
	s_wait_loadcnt 0x0
	v_mul_f32_e32 v11, s33, v11
	v_fmac_f32_e32 v11, s30, v10
	global_store_b32 v[12:13], v11, off offset:64
	s_branch .LBB403_2
.LBB403_10:
	s_endpgm
	.section	.rodata,"a",@progbits
	.p2align	6, 0x0
	.amdhsa_kernel _ZN12_GLOBAL__N_127rocblas_gemm_batched_kernelIfLi16ELi16ELi32ELi32ELi8ELi32ELi8ELi8ELi32ELc67ELc67EKDF16_KffEEvlllT_PT11_llS5_llS3_PT12_llPT13_lli
		.amdhsa_group_segment_fixed_size 2048
		.amdhsa_private_segment_fixed_size 0
		.amdhsa_kernarg_size 140
		.amdhsa_user_sgpr_count 2
		.amdhsa_user_sgpr_dispatch_ptr 0
		.amdhsa_user_sgpr_queue_ptr 0
		.amdhsa_user_sgpr_kernarg_segment_ptr 1
		.amdhsa_user_sgpr_dispatch_id 0
		.amdhsa_user_sgpr_kernarg_preload_length 0
		.amdhsa_user_sgpr_kernarg_preload_offset 0
		.amdhsa_user_sgpr_private_segment_size 0
		.amdhsa_wavefront_size32 1
		.amdhsa_uses_dynamic_stack 0
		.amdhsa_enable_private_segment 0
		.amdhsa_system_sgpr_workgroup_id_x 1
		.amdhsa_system_sgpr_workgroup_id_y 1
		.amdhsa_system_sgpr_workgroup_id_z 1
		.amdhsa_system_sgpr_workgroup_info 0
		.amdhsa_system_vgpr_workitem_id 1
		.amdhsa_next_free_vgpr 56
		.amdhsa_next_free_sgpr 38
		.amdhsa_named_barrier_count 0
		.amdhsa_reserve_vcc 1
		.amdhsa_float_round_mode_32 0
		.amdhsa_float_round_mode_16_64 0
		.amdhsa_float_denorm_mode_32 3
		.amdhsa_float_denorm_mode_16_64 3
		.amdhsa_fp16_overflow 0
		.amdhsa_memory_ordered 1
		.amdhsa_forward_progress 1
		.amdhsa_inst_pref_size 11
		.amdhsa_round_robin_scheduling 0
		.amdhsa_exception_fp_ieee_invalid_op 0
		.amdhsa_exception_fp_denorm_src 0
		.amdhsa_exception_fp_ieee_div_zero 0
		.amdhsa_exception_fp_ieee_overflow 0
		.amdhsa_exception_fp_ieee_underflow 0
		.amdhsa_exception_fp_ieee_inexact 0
		.amdhsa_exception_int_div_zero 0
	.end_amdhsa_kernel
	.section	.text._ZN12_GLOBAL__N_127rocblas_gemm_batched_kernelIfLi16ELi16ELi32ELi32ELi8ELi32ELi8ELi8ELi32ELc67ELc67EKDF16_KffEEvlllT_PT11_llS5_llS3_PT12_llPT13_lli,"axG",@progbits,_ZN12_GLOBAL__N_127rocblas_gemm_batched_kernelIfLi16ELi16ELi32ELi32ELi8ELi32ELi8ELi8ELi32ELc67ELc67EKDF16_KffEEvlllT_PT11_llS5_llS3_PT12_llPT13_lli,comdat
.Lfunc_end403:
	.size	_ZN12_GLOBAL__N_127rocblas_gemm_batched_kernelIfLi16ELi16ELi32ELi32ELi8ELi32ELi8ELi8ELi32ELc67ELc67EKDF16_KffEEvlllT_PT11_llS5_llS3_PT12_llPT13_lli, .Lfunc_end403-_ZN12_GLOBAL__N_127rocblas_gemm_batched_kernelIfLi16ELi16ELi32ELi32ELi8ELi32ELi8ELi8ELi32ELc67ELc67EKDF16_KffEEvlllT_PT11_llS5_llS3_PT12_llPT13_lli
                                        ; -- End function
	.set _ZN12_GLOBAL__N_127rocblas_gemm_batched_kernelIfLi16ELi16ELi32ELi32ELi8ELi32ELi8ELi8ELi32ELc67ELc67EKDF16_KffEEvlllT_PT11_llS5_llS3_PT12_llPT13_lli.num_vgpr, 56
	.set _ZN12_GLOBAL__N_127rocblas_gemm_batched_kernelIfLi16ELi16ELi32ELi32ELi8ELi32ELi8ELi8ELi32ELc67ELc67EKDF16_KffEEvlllT_PT11_llS5_llS3_PT12_llPT13_lli.num_agpr, 0
	.set _ZN12_GLOBAL__N_127rocblas_gemm_batched_kernelIfLi16ELi16ELi32ELi32ELi8ELi32ELi8ELi8ELi32ELc67ELc67EKDF16_KffEEvlllT_PT11_llS5_llS3_PT12_llPT13_lli.numbered_sgpr, 38
	.set _ZN12_GLOBAL__N_127rocblas_gemm_batched_kernelIfLi16ELi16ELi32ELi32ELi8ELi32ELi8ELi8ELi32ELc67ELc67EKDF16_KffEEvlllT_PT11_llS5_llS3_PT12_llPT13_lli.num_named_barrier, 0
	.set _ZN12_GLOBAL__N_127rocblas_gemm_batched_kernelIfLi16ELi16ELi32ELi32ELi8ELi32ELi8ELi8ELi32ELc67ELc67EKDF16_KffEEvlllT_PT11_llS5_llS3_PT12_llPT13_lli.private_seg_size, 0
	.set _ZN12_GLOBAL__N_127rocblas_gemm_batched_kernelIfLi16ELi16ELi32ELi32ELi8ELi32ELi8ELi8ELi32ELc67ELc67EKDF16_KffEEvlllT_PT11_llS5_llS3_PT12_llPT13_lli.uses_vcc, 1
	.set _ZN12_GLOBAL__N_127rocblas_gemm_batched_kernelIfLi16ELi16ELi32ELi32ELi8ELi32ELi8ELi8ELi32ELc67ELc67EKDF16_KffEEvlllT_PT11_llS5_llS3_PT12_llPT13_lli.uses_flat_scratch, 0
	.set _ZN12_GLOBAL__N_127rocblas_gemm_batched_kernelIfLi16ELi16ELi32ELi32ELi8ELi32ELi8ELi8ELi32ELc67ELc67EKDF16_KffEEvlllT_PT11_llS5_llS3_PT12_llPT13_lli.has_dyn_sized_stack, 0
	.set _ZN12_GLOBAL__N_127rocblas_gemm_batched_kernelIfLi16ELi16ELi32ELi32ELi8ELi32ELi8ELi8ELi32ELc67ELc67EKDF16_KffEEvlllT_PT11_llS5_llS3_PT12_llPT13_lli.has_recursion, 0
	.set _ZN12_GLOBAL__N_127rocblas_gemm_batched_kernelIfLi16ELi16ELi32ELi32ELi8ELi32ELi8ELi8ELi32ELc67ELc67EKDF16_KffEEvlllT_PT11_llS5_llS3_PT12_llPT13_lli.has_indirect_call, 0
	.section	.AMDGPU.csdata,"",@progbits
; Kernel info:
; codeLenInByte = 1380
; TotalNumSgprs: 40
; NumVgprs: 56
; ScratchSize: 0
; MemoryBound: 0
; FloatMode: 240
; IeeeMode: 1
; LDSByteSize: 2048 bytes/workgroup (compile time only)
; SGPRBlocks: 0
; VGPRBlocks: 3
; NumSGPRsForWavesPerEU: 40
; NumVGPRsForWavesPerEU: 56
; NamedBarCnt: 0
; Occupancy: 16
; WaveLimiterHint : 0
; COMPUTE_PGM_RSRC2:SCRATCH_EN: 0
; COMPUTE_PGM_RSRC2:USER_SGPR: 2
; COMPUTE_PGM_RSRC2:TRAP_HANDLER: 0
; COMPUTE_PGM_RSRC2:TGID_X_EN: 1
; COMPUTE_PGM_RSRC2:TGID_Y_EN: 1
; COMPUTE_PGM_RSRC2:TGID_Z_EN: 1
; COMPUTE_PGM_RSRC2:TIDIG_COMP_CNT: 1
	.section	.text._ZN12_GLOBAL__N_127rocblas_gemm_batched_kernelIfLi16ELi16ELi32ELi32ELi8ELi32ELi8ELi8ELi32ELc67ELc78EKDF16_KffEEvlllT_PT11_llS5_llS3_PT12_llPT13_lli,"axG",@progbits,_ZN12_GLOBAL__N_127rocblas_gemm_batched_kernelIfLi16ELi16ELi32ELi32ELi8ELi32ELi8ELi8ELi32ELc67ELc78EKDF16_KffEEvlllT_PT11_llS5_llS3_PT12_llPT13_lli,comdat
	.globl	_ZN12_GLOBAL__N_127rocblas_gemm_batched_kernelIfLi16ELi16ELi32ELi32ELi8ELi32ELi8ELi8ELi32ELc67ELc78EKDF16_KffEEvlllT_PT11_llS5_llS3_PT12_llPT13_lli ; -- Begin function _ZN12_GLOBAL__N_127rocblas_gemm_batched_kernelIfLi16ELi16ELi32ELi32ELi8ELi32ELi8ELi8ELi32ELc67ELc78EKDF16_KffEEvlllT_PT11_llS5_llS3_PT12_llPT13_lli
	.p2align	8
	.type	_ZN12_GLOBAL__N_127rocblas_gemm_batched_kernelIfLi16ELi16ELi32ELi32ELi8ELi32ELi8ELi8ELi32ELc67ELc78EKDF16_KffEEvlllT_PT11_llS5_llS3_PT12_llPT13_lli,@function
_ZN12_GLOBAL__N_127rocblas_gemm_batched_kernelIfLi16ELi16ELi32ELi32ELi8ELi32ELi8ELi8ELi32ELc67ELc78EKDF16_KffEEvlllT_PT11_llS5_llS3_PT12_llPT13_lli: ; @_ZN12_GLOBAL__N_127rocblas_gemm_batched_kernelIfLi16ELi16ELi32ELi32ELi8ELi32ELi8ELi8ELi32ELc67ELc78EKDF16_KffEEvlllT_PT11_llS5_llS3_PT12_llPT13_lli
; %bb.0:
	s_load_b32 s31, s[0:1], 0x88
	s_bfe_u32 s2, ttmp6, 0x40014
	s_lshr_b32 s3, ttmp7, 16
	s_add_co_i32 s2, s2, 1
	s_bfe_u32 s5, ttmp6, 0x40008
	s_mul_i32 s2, s3, s2
	s_getreg_b32 s4, hwreg(HW_REG_IB_STS2, 6, 4)
	s_add_co_i32 s5, s5, s2
	s_cmp_eq_u32 s4, 0
	s_cselect_b32 s2, s3, s5
	s_mov_b32 s3, 0
	s_wait_kmcnt 0x0
	s_cmp_ge_i32 s2, s31
	s_cbranch_scc1 .LBB404_10
; %bb.1:
	s_bfe_u32 s6, ttmp6, 0x4000c
	s_bfe_u32 s7, ttmp6, 0x40010
	s_add_co_i32 s6, s6, 1
	s_and_b32 s8, ttmp7, 0xffff
	s_add_co_i32 s7, s7, 1
	v_bfe_u32 v4, v0, 10, 10
	v_and_b32_e32 v6, 0x3ff, v0
	s_and_b32 s5, ttmp6, 15
	s_mul_i32 s6, ttmp9, s6
	s_mul_i32 s7, s8, s7
	s_bfe_u32 s9, ttmp6, 0x40004
	s_clause 0x1
	s_load_b256 s[12:19], s[0:1], 0x20
	s_load_b128 s[24:27], s[0:1], 0x40
	s_add_co_i32 s5, s5, s6
	s_add_co_i32 s9, s9, s7
	s_cmp_eq_u32 s4, 0
	v_lshl_add_u32 v1, v4, 4, v6
	v_mov_b32_e32 v5, 0
	s_cselect_b32 s28, ttmp9, s5
	s_cselect_b32 s4, s8, s9
	s_ashr_i32 s29, s28, 31
	v_lshrrev_b32_e32 v8, 3, v1
	s_lshl_b64 s[36:37], s[28:29], 5
	v_mov_b32_e32 v9, v5
	s_lshl_b32 s34, s4, 5
	s_mov_b32 s35, s3
	s_clause 0x3
	s_load_b32 s33, s[0:1], 0x50
	s_load_b256 s[4:11], s[0:1], 0x58
	s_load_b128 s[20:23], s[0:1], 0x78
	s_load_b96 s[28:30], s[0:1], 0x10
	v_add_nc_u64_e32 v[2:3], s[34:35], v[8:9]
	v_dual_mov_b32 v7, v5 :: v_dual_bitop2_b32 v9, 31, v1 bitop3:0x40
	v_dual_lshrrev_b32 v17, 5, v1 :: v_dual_bitop2_b32 v0, 7, v0 bitop3:0x40
	v_lshl_add_u32 v18, v4, 5, 0x400
	v_lshlrev_b32_e32 v19, 2, v6
	s_wait_kmcnt 0x0
	v_mul_u64_e32 v[10:11], s[24:25], v[2:3]
	v_dual_lshlrev_b32 v16, 2, v0 :: v_dual_bitop2_b32 v2, s36, v9 bitop3:0x54
	v_mov_b32_e32 v3, s37
	v_add_nc_u64_e32 v[6:7], s[36:37], v[6:7]
	v_lshlrev_b32_e32 v9, 2, v9
	s_delay_alu instid0(VALU_DEP_4) | instskip(NEXT) | instid1(VALU_DEP_4)
	v_lshl_or_b32 v8, v8, 5, v16
	v_mul_u64_e32 v[12:13], s[14:15], v[2:3]
	v_add_nc_u64_e32 v[2:3], s[34:35], v[4:5]
	v_lshlrev_b32_e32 v4, 1, v0
	v_lshlrev_b64_e32 v[6:7], 2, v[6:7]
	v_cmp_gt_i64_e64 s0, s[28:29], 0
	s_cmp_eq_f32 s33, 0
	v_lshl_or_b32 v20, v17, 7, v9
	v_add_nc_u32_e32 v21, 0x400, v8
	v_mul_u64_e32 v[14:15], s[6:7], v[2:3]
	v_mul_u64_e32 v[2:3], s[20:21], v[2:3]
	s_cselect_b32 s1, -1, 0
	s_lshl_b64 s[14:15], s[20:21], 4
	v_lshl_add_u64 v[0:1], v[10:11], 1, v[4:5]
	v_lshlrev_b32_e32 v4, 1, v17
	v_cndmask_b32_e64 v10, 0, 1, s0
	s_delay_alu instid0(VALU_DEP_3) | instskip(NEXT) | instid1(VALU_DEP_2)
	v_add_nc_u64_e32 v[0:1], s[18:19], v[0:1]
	v_cmp_ne_u32_e64 s0, 1, v10
	s_delay_alu instid0(VALU_DEP_4) | instskip(NEXT) | instid1(VALU_DEP_1)
	v_lshl_add_u64 v[4:5], v[12:13], 1, v[4:5]
	v_add_nc_u64_e32 v[4:5], s[12:13], v[4:5]
	s_lshl_b64 s[12:13], s[16:17], 1
	v_lshl_add_u64 v[8:9], v[14:15], 2, s[4:5]
	s_lshl_b64 s[4:5], s[6:7], 4
	s_lshl_b64 s[6:7], s[26:27], 1
	s_branch .LBB404_3
.LBB404_2:                              ;   in Loop: Header=BB404_3 Depth=1
	s_add_co_i32 s2, s2, 0x10000
	s_delay_alu instid0(SALU_CYCLE_1)
	s_cmp_lt_i32 s2, s31
	s_cbranch_scc0 .LBB404_10
.LBB404_3:                              ; =>This Loop Header: Depth=1
                                        ;     Child Loop BB404_5 Depth 2
	s_wait_xcnt 0x0
	v_dual_mov_b32 v13, 0 :: v_dual_mov_b32 v12, 0
	v_dual_mov_b32 v11, 0 :: v_dual_mov_b32 v10, 0
	s_and_b32 vcc_lo, exec_lo, s0
	s_cbranch_vccnz .LBB404_6
; %bb.4:                                ;   in Loop: Header=BB404_3 Depth=1
	v_mad_nc_u64_u32 v[14:15], s6, s2, v[0:1]
	v_mad_nc_u64_u32 v[16:17], s12, s2, v[4:5]
	v_mov_b32_e32 v10, 0
	s_mov_b64 s[16:17], 0
	s_delay_alu instid0(VALU_DEP_1)
	v_dual_mov_b32 v11, v10 :: v_dual_mov_b32 v12, v10
	v_mov_b32_e32 v13, v10
	v_mad_u32 v15, s7, s2, v15
	v_mad_u32 v17, s13, s2, v17
.LBB404_5:                              ;   Parent Loop BB404_3 Depth=1
                                        ; =>  This Inner Loop Header: Depth=2
	global_load_u16 v22, v[16:17], off
	global_load_u16 v23, v[14:15], off
	s_add_nc_u64 s[16:17], s[16:17], 8
	s_wait_xcnt 0x0
	v_add_nc_u64_e32 v[14:15], 16, v[14:15]
	v_cmp_lt_i64_e64 s18, s[16:17], s[28:29]
	v_add_nc_u64_e32 v[16:17], 16, v[16:17]
	s_and_b32 vcc_lo, exec_lo, s18
	s_wait_loadcnt 0x1
	v_cvt_f32_f16_e32 v22, v22
	s_wait_loadcnt 0x0
	v_cvt_f32_f16_e32 v23, v23
	ds_store_b32 v20, v22
	ds_store_b32 v21, v23
	s_wait_dscnt 0x0
	s_barrier_signal -1
	s_barrier_wait -1
	ds_load_2addr_b32 v[38:39], v19 offset1:16
	ds_load_2addr_b32 v[40:41], v19 offset0:32 offset1:48
	ds_load_b128 v[22:25], v18
	ds_load_2addr_b32 v[42:43], v19 offset0:64 offset1:80
	ds_load_b128 v[26:29], v18 offset:512
	ds_load_2addr_b32 v[44:45], v19 offset0:96 offset1:112
	ds_load_b128 v[30:33], v18 offset:16
	;; [unrolled: 2-line block ×3, first 2 shown]
	ds_load_2addr_b32 v[48:49], v19 offset0:160 offset1:176
	ds_load_2addr_b32 v[50:51], v19 offset0:192 offset1:208
	;; [unrolled: 1-line block ×3, first 2 shown]
	s_wait_dscnt 0x0
	s_barrier_signal -1
	s_barrier_wait -1
	v_dual_mov_b32 v54, v39 :: v_dual_mov_b32 v55, v38
	v_dual_mov_b32 v38, v41 :: v_dual_mov_b32 v39, v40
	;; [unrolled: 1-line block ×3, first 2 shown]
	s_delay_alu instid0(VALU_DEP_3) | instskip(SKIP_3) | instid1(VALU_DEP_4)
	v_pk_fma_f32 v[12:13], v[54:55], v[22:23], v[12:13] op_sel_hi:[1,0,1]
	v_pk_fma_f32 v[10:11], v[54:55], v[26:27], v[10:11] op_sel_hi:[1,0,1]
	v_dual_mov_b32 v42, v45 :: v_dual_mov_b32 v43, v44
	v_mov_b32_e32 v44, v25
	v_pk_fma_f32 v[12:13], v[38:39], v[22:23], v[12:13] op_sel:[0,1,0]
	s_delay_alu instid0(VALU_DEP_4) | instskip(SKIP_2) | instid1(VALU_DEP_4)
	v_pk_fma_f32 v[10:11], v[38:39], v[26:27], v[10:11] op_sel:[0,1,0]
	v_dual_mov_b32 v22, v29 :: v_dual_mov_b32 v26, v53
	v_mov_b32_e32 v27, v52
	v_pk_fma_f32 v[12:13], v[40:41], v[24:25], v[12:13] op_sel_hi:[1,0,1]
	s_delay_alu instid0(VALU_DEP_4) | instskip(SKIP_2) | instid1(VALU_DEP_4)
	v_pk_fma_f32 v[10:11], v[40:41], v[28:29], v[10:11] op_sel_hi:[1,0,1]
	v_dual_mov_b32 v24, v47 :: v_dual_mov_b32 v25, v46
	v_mov_b32_e32 v28, v37
	v_pk_fma_f32 v[12:13], v[42:43], v[44:45], v[12:13] op_sel_hi:[1,0,1]
	s_delay_alu instid0(VALU_DEP_4) | instskip(SKIP_1) | instid1(VALU_DEP_3)
	v_pk_fma_f32 v[10:11], v[42:43], v[22:23], v[10:11] op_sel_hi:[1,0,1]
	v_dual_mov_b32 v22, v49 :: v_dual_mov_b32 v23, v48
	v_pk_fma_f32 v[12:13], v[24:25], v[30:31], v[12:13] op_sel_hi:[1,0,1]
	s_delay_alu instid0(VALU_DEP_3) | instskip(SKIP_1) | instid1(VALU_DEP_3)
	v_pk_fma_f32 v[10:11], v[24:25], v[34:35], v[10:11] op_sel_hi:[1,0,1]
	v_dual_mov_b32 v24, v51 :: v_dual_mov_b32 v25, v50
	v_pk_fma_f32 v[12:13], v[22:23], v[30:31], v[12:13] op_sel:[0,1,0]
	s_delay_alu instid0(VALU_DEP_3) | instskip(SKIP_1) | instid1(VALU_DEP_3)
	v_pk_fma_f32 v[10:11], v[22:23], v[34:35], v[10:11] op_sel:[0,1,0]
	v_mov_b32_e32 v22, v33
	v_pk_fma_f32 v[12:13], v[24:25], v[32:33], v[12:13] op_sel_hi:[1,0,1]
	s_delay_alu instid0(VALU_DEP_3) | instskip(NEXT) | instid1(VALU_DEP_2)
	v_pk_fma_f32 v[10:11], v[24:25], v[36:37], v[10:11] op_sel_hi:[1,0,1]
	v_pk_fma_f32 v[12:13], v[26:27], v[22:23], v[12:13] op_sel_hi:[1,0,1]
	s_delay_alu instid0(VALU_DEP_2)
	v_pk_fma_f32 v[10:11], v[26:27], v[28:29], v[10:11] op_sel_hi:[1,0,1]
	s_cbranch_vccnz .LBB404_5
.LBB404_6:                              ;   in Loop: Header=BB404_3 Depth=1
	s_mul_u64 s[16:17], s[22:23], s[2:3]
	s_and_not1_b32 vcc_lo, exec_lo, s1
	s_lshl_b64 s[16:17], s[16:17], 2
	s_delay_alu instid0(SALU_CYCLE_1) | instskip(NEXT) | instid1(SALU_CYCLE_1)
	s_add_nc_u64 s[16:17], s[10:11], s[16:17]
	v_lshl_add_u64 v[14:15], v[2:3], 2, s[16:17]
	s_delay_alu instid0(VALU_DEP_1)
	v_add_nc_u64_e32 v[16:17], v[14:15], v[6:7]
	v_lshl_add_u64 v[14:15], s[14:15], 2, v[14:15]
	s_cbranch_vccnz .LBB404_8
; %bb.7:                                ;   in Loop: Header=BB404_3 Depth=1
	s_delay_alu instid0(VALU_DEP_1)
	v_add_nc_u64_e32 v[22:23], v[14:15], v[6:7]
	v_dual_mul_f32 v24, s30, v13 :: v_dual_mul_f32 v25, s30, v12
	v_dual_mul_f32 v26, s30, v11 :: v_dual_mul_f32 v27, s30, v10
	s_clause 0x3
	global_store_b32 v[16:17], v24, off
	global_store_b32 v[16:17], v25, off offset:64
	global_store_b32 v[22:23], v26, off
	global_store_b32 v[22:23], v27, off offset:64
	s_cbranch_execnz .LBB404_2
	s_branch .LBB404_9
.LBB404_8:                              ;   in Loop: Header=BB404_3 Depth=1
.LBB404_9:                              ;   in Loop: Header=BB404_3 Depth=1
	s_mul_u64 s[16:17], s[8:9], s[2:3]
	s_wait_xcnt 0x0
	v_lshl_add_u64 v[22:23], s[16:17], 2, v[8:9]
	s_delay_alu instid0(VALU_DEP_1) | instskip(SKIP_1) | instid1(VALU_DEP_1)
	v_add_nc_u64_e32 v[24:25], v[22:23], v[6:7]
	v_lshl_add_u64 v[22:23], s[4:5], 2, v[22:23]
	v_add_nc_u64_e32 v[22:23], v[22:23], v[6:7]
	global_load_b32 v26, v[24:25], off
	s_wait_loadcnt 0x0
	v_mul_f32_e32 v26, s33, v26
	s_delay_alu instid0(VALU_DEP_1) | instskip(SKIP_4) | instid1(VALU_DEP_1)
	v_fmac_f32_e32 v26, s30, v13
	global_store_b32 v[16:17], v26, off
	global_load_b32 v13, v[24:25], off offset:64
	s_wait_loadcnt 0x0
	v_mul_f32_e32 v13, s33, v13
	v_fmac_f32_e32 v13, s30, v12
	global_store_b32 v[16:17], v13, off offset:64
	global_load_b32 v12, v[22:23], off
	s_wait_loadcnt 0x0
	s_wait_xcnt 0x1
	v_mul_f32_e32 v16, s33, v12
	v_add_nc_u64_e32 v[12:13], v[14:15], v[6:7]
	s_delay_alu instid0(VALU_DEP_2) | instskip(SKIP_4) | instid1(VALU_DEP_1)
	v_fmac_f32_e32 v16, s30, v11
	global_store_b32 v[12:13], v16, off
	global_load_b32 v11, v[22:23], off offset:64
	s_wait_loadcnt 0x0
	v_mul_f32_e32 v11, s33, v11
	v_fmac_f32_e32 v11, s30, v10
	global_store_b32 v[12:13], v11, off offset:64
	s_branch .LBB404_2
.LBB404_10:
	s_endpgm
	.section	.rodata,"a",@progbits
	.p2align	6, 0x0
	.amdhsa_kernel _ZN12_GLOBAL__N_127rocblas_gemm_batched_kernelIfLi16ELi16ELi32ELi32ELi8ELi32ELi8ELi8ELi32ELc67ELc78EKDF16_KffEEvlllT_PT11_llS5_llS3_PT12_llPT13_lli
		.amdhsa_group_segment_fixed_size 2048
		.amdhsa_private_segment_fixed_size 0
		.amdhsa_kernarg_size 140
		.amdhsa_user_sgpr_count 2
		.amdhsa_user_sgpr_dispatch_ptr 0
		.amdhsa_user_sgpr_queue_ptr 0
		.amdhsa_user_sgpr_kernarg_segment_ptr 1
		.amdhsa_user_sgpr_dispatch_id 0
		.amdhsa_user_sgpr_kernarg_preload_length 0
		.amdhsa_user_sgpr_kernarg_preload_offset 0
		.amdhsa_user_sgpr_private_segment_size 0
		.amdhsa_wavefront_size32 1
		.amdhsa_uses_dynamic_stack 0
		.amdhsa_enable_private_segment 0
		.amdhsa_system_sgpr_workgroup_id_x 1
		.amdhsa_system_sgpr_workgroup_id_y 1
		.amdhsa_system_sgpr_workgroup_id_z 1
		.amdhsa_system_sgpr_workgroup_info 0
		.amdhsa_system_vgpr_workitem_id 1
		.amdhsa_next_free_vgpr 56
		.amdhsa_next_free_sgpr 38
		.amdhsa_named_barrier_count 0
		.amdhsa_reserve_vcc 1
		.amdhsa_float_round_mode_32 0
		.amdhsa_float_round_mode_16_64 0
		.amdhsa_float_denorm_mode_32 3
		.amdhsa_float_denorm_mode_16_64 3
		.amdhsa_fp16_overflow 0
		.amdhsa_memory_ordered 1
		.amdhsa_forward_progress 1
		.amdhsa_inst_pref_size 11
		.amdhsa_round_robin_scheduling 0
		.amdhsa_exception_fp_ieee_invalid_op 0
		.amdhsa_exception_fp_denorm_src 0
		.amdhsa_exception_fp_ieee_div_zero 0
		.amdhsa_exception_fp_ieee_overflow 0
		.amdhsa_exception_fp_ieee_underflow 0
		.amdhsa_exception_fp_ieee_inexact 0
		.amdhsa_exception_int_div_zero 0
	.end_amdhsa_kernel
	.section	.text._ZN12_GLOBAL__N_127rocblas_gemm_batched_kernelIfLi16ELi16ELi32ELi32ELi8ELi32ELi8ELi8ELi32ELc67ELc78EKDF16_KffEEvlllT_PT11_llS5_llS3_PT12_llPT13_lli,"axG",@progbits,_ZN12_GLOBAL__N_127rocblas_gemm_batched_kernelIfLi16ELi16ELi32ELi32ELi8ELi32ELi8ELi8ELi32ELc67ELc78EKDF16_KffEEvlllT_PT11_llS5_llS3_PT12_llPT13_lli,comdat
.Lfunc_end404:
	.size	_ZN12_GLOBAL__N_127rocblas_gemm_batched_kernelIfLi16ELi16ELi32ELi32ELi8ELi32ELi8ELi8ELi32ELc67ELc78EKDF16_KffEEvlllT_PT11_llS5_llS3_PT12_llPT13_lli, .Lfunc_end404-_ZN12_GLOBAL__N_127rocblas_gemm_batched_kernelIfLi16ELi16ELi32ELi32ELi8ELi32ELi8ELi8ELi32ELc67ELc78EKDF16_KffEEvlllT_PT11_llS5_llS3_PT12_llPT13_lli
                                        ; -- End function
	.set _ZN12_GLOBAL__N_127rocblas_gemm_batched_kernelIfLi16ELi16ELi32ELi32ELi8ELi32ELi8ELi8ELi32ELc67ELc78EKDF16_KffEEvlllT_PT11_llS5_llS3_PT12_llPT13_lli.num_vgpr, 56
	.set _ZN12_GLOBAL__N_127rocblas_gemm_batched_kernelIfLi16ELi16ELi32ELi32ELi8ELi32ELi8ELi8ELi32ELc67ELc78EKDF16_KffEEvlllT_PT11_llS5_llS3_PT12_llPT13_lli.num_agpr, 0
	.set _ZN12_GLOBAL__N_127rocblas_gemm_batched_kernelIfLi16ELi16ELi32ELi32ELi8ELi32ELi8ELi8ELi32ELc67ELc78EKDF16_KffEEvlllT_PT11_llS5_llS3_PT12_llPT13_lli.numbered_sgpr, 38
	.set _ZN12_GLOBAL__N_127rocblas_gemm_batched_kernelIfLi16ELi16ELi32ELi32ELi8ELi32ELi8ELi8ELi32ELc67ELc78EKDF16_KffEEvlllT_PT11_llS5_llS3_PT12_llPT13_lli.num_named_barrier, 0
	.set _ZN12_GLOBAL__N_127rocblas_gemm_batched_kernelIfLi16ELi16ELi32ELi32ELi8ELi32ELi8ELi8ELi32ELc67ELc78EKDF16_KffEEvlllT_PT11_llS5_llS3_PT12_llPT13_lli.private_seg_size, 0
	.set _ZN12_GLOBAL__N_127rocblas_gemm_batched_kernelIfLi16ELi16ELi32ELi32ELi8ELi32ELi8ELi8ELi32ELc67ELc78EKDF16_KffEEvlllT_PT11_llS5_llS3_PT12_llPT13_lli.uses_vcc, 1
	.set _ZN12_GLOBAL__N_127rocblas_gemm_batched_kernelIfLi16ELi16ELi32ELi32ELi8ELi32ELi8ELi8ELi32ELc67ELc78EKDF16_KffEEvlllT_PT11_llS5_llS3_PT12_llPT13_lli.uses_flat_scratch, 0
	.set _ZN12_GLOBAL__N_127rocblas_gemm_batched_kernelIfLi16ELi16ELi32ELi32ELi8ELi32ELi8ELi8ELi32ELc67ELc78EKDF16_KffEEvlllT_PT11_llS5_llS3_PT12_llPT13_lli.has_dyn_sized_stack, 0
	.set _ZN12_GLOBAL__N_127rocblas_gemm_batched_kernelIfLi16ELi16ELi32ELi32ELi8ELi32ELi8ELi8ELi32ELc67ELc78EKDF16_KffEEvlllT_PT11_llS5_llS3_PT12_llPT13_lli.has_recursion, 0
	.set _ZN12_GLOBAL__N_127rocblas_gemm_batched_kernelIfLi16ELi16ELi32ELi32ELi8ELi32ELi8ELi8ELi32ELc67ELc78EKDF16_KffEEvlllT_PT11_llS5_llS3_PT12_llPT13_lli.has_indirect_call, 0
	.section	.AMDGPU.csdata,"",@progbits
; Kernel info:
; codeLenInByte = 1364
; TotalNumSgprs: 40
; NumVgprs: 56
; ScratchSize: 0
; MemoryBound: 0
; FloatMode: 240
; IeeeMode: 1
; LDSByteSize: 2048 bytes/workgroup (compile time only)
; SGPRBlocks: 0
; VGPRBlocks: 3
; NumSGPRsForWavesPerEU: 40
; NumVGPRsForWavesPerEU: 56
; NamedBarCnt: 0
; Occupancy: 16
; WaveLimiterHint : 0
; COMPUTE_PGM_RSRC2:SCRATCH_EN: 0
; COMPUTE_PGM_RSRC2:USER_SGPR: 2
; COMPUTE_PGM_RSRC2:TRAP_HANDLER: 0
; COMPUTE_PGM_RSRC2:TGID_X_EN: 1
; COMPUTE_PGM_RSRC2:TGID_Y_EN: 1
; COMPUTE_PGM_RSRC2:TGID_Z_EN: 1
; COMPUTE_PGM_RSRC2:TIDIG_COMP_CNT: 1
	.section	.text._ZN12_GLOBAL__N_127rocblas_gemm_batched_kernelIfLi16ELi16ELi32ELi32ELi8ELi32ELi8ELi8ELi32ELc67ELc84EKDF16_KffEEvlllT_PT11_llS5_llS3_PT12_llPT13_lli,"axG",@progbits,_ZN12_GLOBAL__N_127rocblas_gemm_batched_kernelIfLi16ELi16ELi32ELi32ELi8ELi32ELi8ELi8ELi32ELc67ELc84EKDF16_KffEEvlllT_PT11_llS5_llS3_PT12_llPT13_lli,comdat
	.globl	_ZN12_GLOBAL__N_127rocblas_gemm_batched_kernelIfLi16ELi16ELi32ELi32ELi8ELi32ELi8ELi8ELi32ELc67ELc84EKDF16_KffEEvlllT_PT11_llS5_llS3_PT12_llPT13_lli ; -- Begin function _ZN12_GLOBAL__N_127rocblas_gemm_batched_kernelIfLi16ELi16ELi32ELi32ELi8ELi32ELi8ELi8ELi32ELc67ELc84EKDF16_KffEEvlllT_PT11_llS5_llS3_PT12_llPT13_lli
	.p2align	8
	.type	_ZN12_GLOBAL__N_127rocblas_gemm_batched_kernelIfLi16ELi16ELi32ELi32ELi8ELi32ELi8ELi8ELi32ELc67ELc84EKDF16_KffEEvlllT_PT11_llS5_llS3_PT12_llPT13_lli,@function
_ZN12_GLOBAL__N_127rocblas_gemm_batched_kernelIfLi16ELi16ELi32ELi32ELi8ELi32ELi8ELi8ELi32ELc67ELc84EKDF16_KffEEvlllT_PT11_llS5_llS3_PT12_llPT13_lli: ; @_ZN12_GLOBAL__N_127rocblas_gemm_batched_kernelIfLi16ELi16ELi32ELi32ELi8ELi32ELi8ELi8ELi32ELc67ELc84EKDF16_KffEEvlllT_PT11_llS5_llS3_PT12_llPT13_lli
; %bb.0:
	s_load_b32 s31, s[0:1], 0x88
	s_bfe_u32 s2, ttmp6, 0x40014
	s_lshr_b32 s3, ttmp7, 16
	s_add_co_i32 s2, s2, 1
	s_bfe_u32 s4, ttmp6, 0x40008
	s_mul_i32 s2, s3, s2
	s_getreg_b32 s28, hwreg(HW_REG_IB_STS2, 6, 4)
	s_add_co_i32 s4, s4, s2
	s_cmp_eq_u32 s28, 0
	s_cselect_b32 s2, s3, s4
	s_mov_b32 s3, 0
	s_wait_kmcnt 0x0
	s_cmp_ge_i32 s2, s31
	s_cbranch_scc1 .LBB405_10
; %bb.1:
	v_bfe_u32 v2, v0, 10, 10
	v_and_b32_e32 v4, 0x3ff, v0
	s_bfe_u32 s29, ttmp6, 0x4000c
	s_bfe_u32 s33, ttmp6, 0x40010
	s_add_co_i32 s29, s29, 1
	s_and_b32 s34, ttmp7, 0xffff
	s_add_co_i32 s33, s33, 1
	s_clause 0x3
	s_load_b256 s[12:19], s[0:1], 0x20
	s_load_b128 s[24:27], s[0:1], 0x40
	s_load_b128 s[20:23], s[0:1], 0x78
	s_load_b256 s[4:11], s[0:1], 0x58
	s_and_b32 s30, ttmp6, 15
	s_mul_i32 s29, ttmp9, s29
	s_mul_i32 s33, s34, s33
	s_bfe_u32 s35, ttmp6, 0x40004
	v_lshl_add_u32 v5, v2, 4, v4
	s_add_co_i32 s30, s30, s29
	s_add_co_i32 s35, s35, s33
	s_cmp_eq_u32 s28, 0
	s_delay_alu instid0(VALU_DEP_1)
	v_dual_mov_b32 v3, 0 :: v_dual_bitop2_b32 v16, 31, v5 bitop3:0x40
	s_cselect_b32 s28, ttmp9, s30
	s_cselect_b32 s30, s34, s35
	s_ashr_i32 s29, s28, 31
	s_lshl_b32 s36, s30, 5
	s_lshl_b64 s[34:35], s[28:29], 5
	s_mov_b32 s37, s3
	v_dual_mov_b32 v7, s35 :: v_dual_bitop2_b32 v6, s34, v16 bitop3:0x54
	v_add_nc_u64_e32 v[8:9], s[36:37], v[2:3]
	v_dual_lshrrev_b32 v10, 3, v5 :: v_dual_bitop2_b32 v17, 7, v0 bitop3:0x40
	v_mov_b32_e32 v11, v3
	s_wait_kmcnt 0x0
	v_mul_u64_e32 v[6:7], s[14:15], v[6:7]
	s_clause 0x1
	s_load_b32 s33, s[0:1], 0x50
	s_load_b96 s[28:30], s[0:1], 0x10
	v_mul_u64_e32 v[12:13], s[6:7], v[8:9]
	v_mul_u64_e32 v[0:1], s[20:21], v[8:9]
	v_lshrrev_b32_e32 v8, 5, v5
	v_mad_nc_u64_u32 v[14:15], s24, v17, v[10:11]
	v_dual_lshlrev_b32 v11, 2, v17 :: v_dual_lshlrev_b32 v9, 2, v16
	v_dual_mov_b32 v5, v3 :: v_dual_lshlrev_b32 v20, 2, v4
	v_lshl_add_u32 v21, v2, 5, 0x400
	s_delay_alu instid0(VALU_DEP_3)
	v_lshl_or_b32 v10, v10, 5, v11
	v_lshlrev_b32_e32 v2, 1, v8
	v_lshl_or_b32 v18, v8, 7, v9
	v_add_nc_u64_e32 v[8:9], s[34:35], v[4:5]
	v_mad_u32 v15, s25, v17, v15
	v_add_nc_u32_e32 v19, 0x400, v10
	s_wait_kmcnt 0x0
	s_cmp_eq_f32 s33, 0
	v_cmp_gt_i64_e64 s0, s[28:29], 0
	s_cselect_b32 s1, -1, 0
	s_lshl_b64 s[14:15], s[20:21], 4
	s_lshl_b64 s[6:7], s[6:7], 4
	v_add_nc_u64_e32 v[10:11], s[36:37], v[14:15]
	v_cndmask_b32_e64 v14, 0, 1, s0
	s_lshl_b64 s[16:17], s[16:17], 1
	v_lshl_add_u64 v[4:5], v[6:7], 1, v[2:3]
	v_lshlrev_b64_e32 v[6:7], 2, v[8:9]
	s_delay_alu instid0(VALU_DEP_3)
	v_cmp_ne_u32_e64 s0, 1, v14
	v_lshl_add_u64 v[2:3], v[12:13], 2, s[4:5]
	v_lshl_add_u64 v[8:9], v[10:11], 1, s[18:19]
	v_add_nc_u64_e32 v[4:5], s[12:13], v[4:5]
	s_lshl_b64 s[4:5], s[26:27], 1
	s_lshl_b64 s[12:13], s[24:25], 4
	s_branch .LBB405_3
.LBB405_2:                              ;   in Loop: Header=BB405_3 Depth=1
	s_add_co_i32 s2, s2, 0x10000
	s_delay_alu instid0(SALU_CYCLE_1)
	s_cmp_lt_i32 s2, s31
	s_cbranch_scc0 .LBB405_10
.LBB405_3:                              ; =>This Loop Header: Depth=1
                                        ;     Child Loop BB405_5 Depth 2
	s_wait_xcnt 0x0
	v_dual_mov_b32 v13, 0 :: v_dual_mov_b32 v12, 0
	v_dual_mov_b32 v11, 0 :: v_dual_mov_b32 v10, 0
	s_and_b32 vcc_lo, exec_lo, s0
	s_cbranch_vccnz .LBB405_6
; %bb.4:                                ;   in Loop: Header=BB405_3 Depth=1
	v_mad_nc_u64_u32 v[14:15], s4, s2, v[8:9]
	v_mad_nc_u64_u32 v[16:17], s16, s2, v[4:5]
	v_mov_b32_e32 v10, 0
	s_mov_b64 s[18:19], 0
	s_delay_alu instid0(VALU_DEP_1)
	v_dual_mov_b32 v11, v10 :: v_dual_mov_b32 v12, v10
	v_mov_b32_e32 v13, v10
	v_mad_u32 v15, s5, s2, v15
	v_mad_u32 v17, s17, s2, v17
.LBB405_5:                              ;   Parent Loop BB405_3 Depth=1
                                        ; =>  This Inner Loop Header: Depth=2
	global_load_u16 v22, v[16:17], off
	global_load_u16 v23, v[14:15], off
	s_add_nc_u64 s[18:19], s[18:19], 8
	s_wait_xcnt 0x0
	v_add_nc_u64_e32 v[14:15], s[12:13], v[14:15]
	v_cmp_lt_i64_e64 s20, s[18:19], s[28:29]
	v_add_nc_u64_e32 v[16:17], 16, v[16:17]
	s_and_b32 vcc_lo, exec_lo, s20
	s_wait_loadcnt 0x1
	v_cvt_f32_f16_e32 v22, v22
	s_wait_loadcnt 0x0
	v_cvt_f32_f16_e32 v23, v23
	ds_store_b32 v18, v22
	ds_store_b32 v19, v23
	s_wait_dscnt 0x0
	s_barrier_signal -1
	s_barrier_wait -1
	ds_load_2addr_b32 v[38:39], v20 offset1:16
	ds_load_2addr_b32 v[40:41], v20 offset0:32 offset1:48
	ds_load_b128 v[22:25], v21
	ds_load_2addr_b32 v[42:43], v20 offset0:64 offset1:80
	ds_load_b128 v[26:29], v21 offset:512
	ds_load_2addr_b32 v[44:45], v20 offset0:96 offset1:112
	ds_load_b128 v[30:33], v21 offset:16
	;; [unrolled: 2-line block ×3, first 2 shown]
	ds_load_2addr_b32 v[48:49], v20 offset0:160 offset1:176
	ds_load_2addr_b32 v[50:51], v20 offset0:192 offset1:208
	;; [unrolled: 1-line block ×3, first 2 shown]
	s_wait_dscnt 0x0
	s_barrier_signal -1
	s_barrier_wait -1
	v_dual_mov_b32 v54, v39 :: v_dual_mov_b32 v55, v38
	v_dual_mov_b32 v38, v41 :: v_dual_mov_b32 v39, v40
	;; [unrolled: 1-line block ×3, first 2 shown]
	s_delay_alu instid0(VALU_DEP_3) | instskip(SKIP_3) | instid1(VALU_DEP_4)
	v_pk_fma_f32 v[12:13], v[54:55], v[22:23], v[12:13] op_sel_hi:[1,0,1]
	v_pk_fma_f32 v[10:11], v[54:55], v[26:27], v[10:11] op_sel_hi:[1,0,1]
	v_dual_mov_b32 v42, v45 :: v_dual_mov_b32 v43, v44
	v_mov_b32_e32 v44, v25
	v_pk_fma_f32 v[12:13], v[38:39], v[22:23], v[12:13] op_sel:[0,1,0]
	s_delay_alu instid0(VALU_DEP_4) | instskip(SKIP_2) | instid1(VALU_DEP_4)
	v_pk_fma_f32 v[10:11], v[38:39], v[26:27], v[10:11] op_sel:[0,1,0]
	v_dual_mov_b32 v22, v29 :: v_dual_mov_b32 v26, v53
	v_mov_b32_e32 v27, v52
	v_pk_fma_f32 v[12:13], v[40:41], v[24:25], v[12:13] op_sel_hi:[1,0,1]
	s_delay_alu instid0(VALU_DEP_4) | instskip(SKIP_2) | instid1(VALU_DEP_4)
	v_pk_fma_f32 v[10:11], v[40:41], v[28:29], v[10:11] op_sel_hi:[1,0,1]
	v_dual_mov_b32 v24, v47 :: v_dual_mov_b32 v25, v46
	v_mov_b32_e32 v28, v37
	v_pk_fma_f32 v[12:13], v[42:43], v[44:45], v[12:13] op_sel_hi:[1,0,1]
	s_delay_alu instid0(VALU_DEP_4) | instskip(SKIP_1) | instid1(VALU_DEP_3)
	v_pk_fma_f32 v[10:11], v[42:43], v[22:23], v[10:11] op_sel_hi:[1,0,1]
	v_dual_mov_b32 v22, v49 :: v_dual_mov_b32 v23, v48
	v_pk_fma_f32 v[12:13], v[24:25], v[30:31], v[12:13] op_sel_hi:[1,0,1]
	s_delay_alu instid0(VALU_DEP_3) | instskip(SKIP_1) | instid1(VALU_DEP_3)
	v_pk_fma_f32 v[10:11], v[24:25], v[34:35], v[10:11] op_sel_hi:[1,0,1]
	v_dual_mov_b32 v24, v51 :: v_dual_mov_b32 v25, v50
	v_pk_fma_f32 v[12:13], v[22:23], v[30:31], v[12:13] op_sel:[0,1,0]
	s_delay_alu instid0(VALU_DEP_3) | instskip(SKIP_1) | instid1(VALU_DEP_3)
	v_pk_fma_f32 v[10:11], v[22:23], v[34:35], v[10:11] op_sel:[0,1,0]
	v_mov_b32_e32 v22, v33
	v_pk_fma_f32 v[12:13], v[24:25], v[32:33], v[12:13] op_sel_hi:[1,0,1]
	s_delay_alu instid0(VALU_DEP_3) | instskip(NEXT) | instid1(VALU_DEP_2)
	v_pk_fma_f32 v[10:11], v[24:25], v[36:37], v[10:11] op_sel_hi:[1,0,1]
	v_pk_fma_f32 v[12:13], v[26:27], v[22:23], v[12:13] op_sel_hi:[1,0,1]
	s_delay_alu instid0(VALU_DEP_2)
	v_pk_fma_f32 v[10:11], v[26:27], v[28:29], v[10:11] op_sel_hi:[1,0,1]
	s_cbranch_vccnz .LBB405_5
.LBB405_6:                              ;   in Loop: Header=BB405_3 Depth=1
	s_mul_u64 s[18:19], s[22:23], s[2:3]
	s_and_not1_b32 vcc_lo, exec_lo, s1
	s_lshl_b64 s[18:19], s[18:19], 2
	s_delay_alu instid0(SALU_CYCLE_1) | instskip(NEXT) | instid1(SALU_CYCLE_1)
	s_add_nc_u64 s[18:19], s[10:11], s[18:19]
	v_lshl_add_u64 v[14:15], v[0:1], 2, s[18:19]
	s_delay_alu instid0(VALU_DEP_1)
	v_add_nc_u64_e32 v[16:17], v[14:15], v[6:7]
	v_lshl_add_u64 v[14:15], s[14:15], 2, v[14:15]
	s_cbranch_vccnz .LBB405_8
; %bb.7:                                ;   in Loop: Header=BB405_3 Depth=1
	s_delay_alu instid0(VALU_DEP_1)
	v_add_nc_u64_e32 v[22:23], v[14:15], v[6:7]
	v_dual_mul_f32 v24, s30, v13 :: v_dual_mul_f32 v25, s30, v12
	v_dual_mul_f32 v26, s30, v11 :: v_dual_mul_f32 v27, s30, v10
	s_clause 0x3
	global_store_b32 v[16:17], v24, off
	global_store_b32 v[16:17], v25, off offset:64
	global_store_b32 v[22:23], v26, off
	global_store_b32 v[22:23], v27, off offset:64
	s_cbranch_execnz .LBB405_2
	s_branch .LBB405_9
.LBB405_8:                              ;   in Loop: Header=BB405_3 Depth=1
.LBB405_9:                              ;   in Loop: Header=BB405_3 Depth=1
	s_mul_u64 s[18:19], s[8:9], s[2:3]
	s_wait_xcnt 0x0
	v_lshl_add_u64 v[22:23], s[18:19], 2, v[2:3]
	s_delay_alu instid0(VALU_DEP_1) | instskip(SKIP_1) | instid1(VALU_DEP_1)
	v_add_nc_u64_e32 v[24:25], v[22:23], v[6:7]
	v_lshl_add_u64 v[22:23], s[6:7], 2, v[22:23]
	v_add_nc_u64_e32 v[22:23], v[22:23], v[6:7]
	global_load_b32 v26, v[24:25], off
	s_wait_loadcnt 0x0
	v_mul_f32_e32 v26, s33, v26
	s_delay_alu instid0(VALU_DEP_1) | instskip(SKIP_4) | instid1(VALU_DEP_1)
	v_fmac_f32_e32 v26, s30, v13
	global_store_b32 v[16:17], v26, off
	global_load_b32 v13, v[24:25], off offset:64
	s_wait_loadcnt 0x0
	v_mul_f32_e32 v13, s33, v13
	v_fmac_f32_e32 v13, s30, v12
	global_store_b32 v[16:17], v13, off offset:64
	global_load_b32 v12, v[22:23], off
	s_wait_loadcnt 0x0
	s_wait_xcnt 0x1
	v_mul_f32_e32 v16, s33, v12
	v_add_nc_u64_e32 v[12:13], v[14:15], v[6:7]
	s_delay_alu instid0(VALU_DEP_2) | instskip(SKIP_4) | instid1(VALU_DEP_1)
	v_fmac_f32_e32 v16, s30, v11
	global_store_b32 v[12:13], v16, off
	global_load_b32 v11, v[22:23], off offset:64
	s_wait_loadcnt 0x0
	v_mul_f32_e32 v11, s33, v11
	v_fmac_f32_e32 v11, s30, v10
	global_store_b32 v[12:13], v11, off offset:64
	s_branch .LBB405_2
.LBB405_10:
	s_endpgm
	.section	.rodata,"a",@progbits
	.p2align	6, 0x0
	.amdhsa_kernel _ZN12_GLOBAL__N_127rocblas_gemm_batched_kernelIfLi16ELi16ELi32ELi32ELi8ELi32ELi8ELi8ELi32ELc67ELc84EKDF16_KffEEvlllT_PT11_llS5_llS3_PT12_llPT13_lli
		.amdhsa_group_segment_fixed_size 2048
		.amdhsa_private_segment_fixed_size 0
		.amdhsa_kernarg_size 140
		.amdhsa_user_sgpr_count 2
		.amdhsa_user_sgpr_dispatch_ptr 0
		.amdhsa_user_sgpr_queue_ptr 0
		.amdhsa_user_sgpr_kernarg_segment_ptr 1
		.amdhsa_user_sgpr_dispatch_id 0
		.amdhsa_user_sgpr_kernarg_preload_length 0
		.amdhsa_user_sgpr_kernarg_preload_offset 0
		.amdhsa_user_sgpr_private_segment_size 0
		.amdhsa_wavefront_size32 1
		.amdhsa_uses_dynamic_stack 0
		.amdhsa_enable_private_segment 0
		.amdhsa_system_sgpr_workgroup_id_x 1
		.amdhsa_system_sgpr_workgroup_id_y 1
		.amdhsa_system_sgpr_workgroup_id_z 1
		.amdhsa_system_sgpr_workgroup_info 0
		.amdhsa_system_vgpr_workitem_id 1
		.amdhsa_next_free_vgpr 56
		.amdhsa_next_free_sgpr 38
		.amdhsa_named_barrier_count 0
		.amdhsa_reserve_vcc 1
		.amdhsa_float_round_mode_32 0
		.amdhsa_float_round_mode_16_64 0
		.amdhsa_float_denorm_mode_32 3
		.amdhsa_float_denorm_mode_16_64 3
		.amdhsa_fp16_overflow 0
		.amdhsa_memory_ordered 1
		.amdhsa_forward_progress 1
		.amdhsa_inst_pref_size 11
		.amdhsa_round_robin_scheduling 0
		.amdhsa_exception_fp_ieee_invalid_op 0
		.amdhsa_exception_fp_denorm_src 0
		.amdhsa_exception_fp_ieee_div_zero 0
		.amdhsa_exception_fp_ieee_overflow 0
		.amdhsa_exception_fp_ieee_underflow 0
		.amdhsa_exception_fp_ieee_inexact 0
		.amdhsa_exception_int_div_zero 0
	.end_amdhsa_kernel
	.section	.text._ZN12_GLOBAL__N_127rocblas_gemm_batched_kernelIfLi16ELi16ELi32ELi32ELi8ELi32ELi8ELi8ELi32ELc67ELc84EKDF16_KffEEvlllT_PT11_llS5_llS3_PT12_llPT13_lli,"axG",@progbits,_ZN12_GLOBAL__N_127rocblas_gemm_batched_kernelIfLi16ELi16ELi32ELi32ELi8ELi32ELi8ELi8ELi32ELc67ELc84EKDF16_KffEEvlllT_PT11_llS5_llS3_PT12_llPT13_lli,comdat
.Lfunc_end405:
	.size	_ZN12_GLOBAL__N_127rocblas_gemm_batched_kernelIfLi16ELi16ELi32ELi32ELi8ELi32ELi8ELi8ELi32ELc67ELc84EKDF16_KffEEvlllT_PT11_llS5_llS3_PT12_llPT13_lli, .Lfunc_end405-_ZN12_GLOBAL__N_127rocblas_gemm_batched_kernelIfLi16ELi16ELi32ELi32ELi8ELi32ELi8ELi8ELi32ELc67ELc84EKDF16_KffEEvlllT_PT11_llS5_llS3_PT12_llPT13_lli
                                        ; -- End function
	.set _ZN12_GLOBAL__N_127rocblas_gemm_batched_kernelIfLi16ELi16ELi32ELi32ELi8ELi32ELi8ELi8ELi32ELc67ELc84EKDF16_KffEEvlllT_PT11_llS5_llS3_PT12_llPT13_lli.num_vgpr, 56
	.set _ZN12_GLOBAL__N_127rocblas_gemm_batched_kernelIfLi16ELi16ELi32ELi32ELi8ELi32ELi8ELi8ELi32ELc67ELc84EKDF16_KffEEvlllT_PT11_llS5_llS3_PT12_llPT13_lli.num_agpr, 0
	.set _ZN12_GLOBAL__N_127rocblas_gemm_batched_kernelIfLi16ELi16ELi32ELi32ELi8ELi32ELi8ELi8ELi32ELc67ELc84EKDF16_KffEEvlllT_PT11_llS5_llS3_PT12_llPT13_lli.numbered_sgpr, 38
	.set _ZN12_GLOBAL__N_127rocblas_gemm_batched_kernelIfLi16ELi16ELi32ELi32ELi8ELi32ELi8ELi8ELi32ELc67ELc84EKDF16_KffEEvlllT_PT11_llS5_llS3_PT12_llPT13_lli.num_named_barrier, 0
	.set _ZN12_GLOBAL__N_127rocblas_gemm_batched_kernelIfLi16ELi16ELi32ELi32ELi8ELi32ELi8ELi8ELi32ELc67ELc84EKDF16_KffEEvlllT_PT11_llS5_llS3_PT12_llPT13_lli.private_seg_size, 0
	.set _ZN12_GLOBAL__N_127rocblas_gemm_batched_kernelIfLi16ELi16ELi32ELi32ELi8ELi32ELi8ELi8ELi32ELc67ELc84EKDF16_KffEEvlllT_PT11_llS5_llS3_PT12_llPT13_lli.uses_vcc, 1
	.set _ZN12_GLOBAL__N_127rocblas_gemm_batched_kernelIfLi16ELi16ELi32ELi32ELi8ELi32ELi8ELi8ELi32ELc67ELc84EKDF16_KffEEvlllT_PT11_llS5_llS3_PT12_llPT13_lli.uses_flat_scratch, 0
	.set _ZN12_GLOBAL__N_127rocblas_gemm_batched_kernelIfLi16ELi16ELi32ELi32ELi8ELi32ELi8ELi8ELi32ELc67ELc84EKDF16_KffEEvlllT_PT11_llS5_llS3_PT12_llPT13_lli.has_dyn_sized_stack, 0
	.set _ZN12_GLOBAL__N_127rocblas_gemm_batched_kernelIfLi16ELi16ELi32ELi32ELi8ELi32ELi8ELi8ELi32ELc67ELc84EKDF16_KffEEvlllT_PT11_llS5_llS3_PT12_llPT13_lli.has_recursion, 0
	.set _ZN12_GLOBAL__N_127rocblas_gemm_batched_kernelIfLi16ELi16ELi32ELi32ELi8ELi32ELi8ELi8ELi32ELc67ELc84EKDF16_KffEEvlllT_PT11_llS5_llS3_PT12_llPT13_lli.has_indirect_call, 0
	.section	.AMDGPU.csdata,"",@progbits
; Kernel info:
; codeLenInByte = 1380
; TotalNumSgprs: 40
; NumVgprs: 56
; ScratchSize: 0
; MemoryBound: 0
; FloatMode: 240
; IeeeMode: 1
; LDSByteSize: 2048 bytes/workgroup (compile time only)
; SGPRBlocks: 0
; VGPRBlocks: 3
; NumSGPRsForWavesPerEU: 40
; NumVGPRsForWavesPerEU: 56
; NamedBarCnt: 0
; Occupancy: 16
; WaveLimiterHint : 0
; COMPUTE_PGM_RSRC2:SCRATCH_EN: 0
; COMPUTE_PGM_RSRC2:USER_SGPR: 2
; COMPUTE_PGM_RSRC2:TRAP_HANDLER: 0
; COMPUTE_PGM_RSRC2:TGID_X_EN: 1
; COMPUTE_PGM_RSRC2:TGID_Y_EN: 1
; COMPUTE_PGM_RSRC2:TGID_Z_EN: 1
; COMPUTE_PGM_RSRC2:TIDIG_COMP_CNT: 1
	.section	.text._ZN12_GLOBAL__N_127rocblas_gemm_batched_kernelIfLi16ELi16ELi32ELi32ELi8ELi32ELi8ELi8ELi32ELc78ELc67EKDF16_KffEEvlllT_PT11_llS5_llS3_PT12_llPT13_lli,"axG",@progbits,_ZN12_GLOBAL__N_127rocblas_gemm_batched_kernelIfLi16ELi16ELi32ELi32ELi8ELi32ELi8ELi8ELi32ELc78ELc67EKDF16_KffEEvlllT_PT11_llS5_llS3_PT12_llPT13_lli,comdat
	.globl	_ZN12_GLOBAL__N_127rocblas_gemm_batched_kernelIfLi16ELi16ELi32ELi32ELi8ELi32ELi8ELi8ELi32ELc78ELc67EKDF16_KffEEvlllT_PT11_llS5_llS3_PT12_llPT13_lli ; -- Begin function _ZN12_GLOBAL__N_127rocblas_gemm_batched_kernelIfLi16ELi16ELi32ELi32ELi8ELi32ELi8ELi8ELi32ELc78ELc67EKDF16_KffEEvlllT_PT11_llS5_llS3_PT12_llPT13_lli
	.p2align	8
	.type	_ZN12_GLOBAL__N_127rocblas_gemm_batched_kernelIfLi16ELi16ELi32ELi32ELi8ELi32ELi8ELi8ELi32ELc78ELc67EKDF16_KffEEvlllT_PT11_llS5_llS3_PT12_llPT13_lli,@function
_ZN12_GLOBAL__N_127rocblas_gemm_batched_kernelIfLi16ELi16ELi32ELi32ELi8ELi32ELi8ELi8ELi32ELc78ELc67EKDF16_KffEEvlllT_PT11_llS5_llS3_PT12_llPT13_lli: ; @_ZN12_GLOBAL__N_127rocblas_gemm_batched_kernelIfLi16ELi16ELi32ELi32ELi8ELi32ELi8ELi8ELi32ELc78ELc67EKDF16_KffEEvlllT_PT11_llS5_llS3_PT12_llPT13_lli
; %bb.0:
	s_load_b32 s31, s[0:1], 0x88
	s_bfe_u32 s2, ttmp6, 0x40014
	s_lshr_b32 s3, ttmp7, 16
	s_add_co_i32 s2, s2, 1
	s_bfe_u32 s4, ttmp6, 0x40008
	s_mul_i32 s2, s3, s2
	s_getreg_b32 s20, hwreg(HW_REG_IB_STS2, 6, 4)
	s_add_co_i32 s4, s4, s2
	s_cmp_eq_u32 s20, 0
	s_cselect_b32 s2, s3, s4
	s_mov_b32 s3, 0
	s_wait_kmcnt 0x0
	s_cmp_ge_i32 s2, s31
	s_cbranch_scc1 .LBB406_10
; %bb.1:
	s_bfe_u32 s21, ttmp6, 0x4000c
	s_bfe_u32 s23, ttmp6, 0x40010
	s_clause 0x2
	s_load_b256 s[12:19], s[0:1], 0x20
	s_load_b128 s[24:27], s[0:1], 0x40
	s_load_b256 s[4:11], s[0:1], 0x58
	s_add_co_i32 s21, s21, 1
	s_and_b32 s28, ttmp7, 0xffff
	s_add_co_i32 s23, s23, 1
	s_and_b32 s22, ttmp6, 15
	s_mul_i32 s21, ttmp9, s21
	s_mul_i32 s23, s28, s23
	s_bfe_u32 s29, ttmp6, 0x40004
	s_add_co_i32 s22, s22, s21
	s_add_co_i32 s29, s29, s23
	s_cmp_eq_u32 s20, 0
	v_bfe_u32 v2, v0, 10, 10
	v_dual_mov_b32 v3, 0 :: v_dual_bitop2_b32 v17, 7, v0 bitop3:0x40
	s_cselect_b32 s20, s28, s29
	s_cselect_b32 s28, ttmp9, s22
	s_lshl_b32 s34, s20, 5
	s_load_b128 s[20:23], s[0:1], 0x78
	s_mov_b32 s35, s3
	v_and_b32_e32 v4, 0x3ff, v0
	v_add_nc_u64_e32 v[6:7], s[34:35], v[2:3]
	v_mov_b32_e32 v9, v3
	s_ashr_i32 s29, s28, 31
	s_load_b32 s33, s[0:1], 0x50
	v_lshl_add_u32 v1, v2, 4, v4
	s_lshl_b64 s[36:37], s[28:29], 5
	s_load_b96 s[28:30], s[0:1], 0x10
	s_wait_kmcnt 0x0
	v_mul_u64_e32 v[10:11], s[6:7], v[6:7]
	v_dual_lshlrev_b32 v20, 2, v4 :: v_dual_lshrrev_b32 v8, 3, v1
	v_dual_lshrrev_b32 v18, 5, v1 :: v_dual_bitop2_b32 v16, 31, v1 bitop3:0x40
	v_mov_b32_e32 v5, v3
	v_lshl_add_u32 v21, v2, 5, 0x400
	s_delay_alu instid0(VALU_DEP_4) | instskip(NEXT) | instid1(VALU_DEP_4)
	v_mad_nc_u64_u32 v[12:13], s24, v17, v[8:9]
	v_mad_nc_u64_u32 v[14:15], s14, v18, s[36:37]
	v_mul_u64_e32 v[0:1], s[20:21], v[6:7]
	v_dual_lshlrev_b32 v6, 2, v17 :: v_dual_lshlrev_b32 v7, 2, v16
	s_delay_alu instid0(VALU_DEP_1)
	v_lshl_or_b32 v6, v8, 5, v6
	s_cmp_eq_f32 s33, 0
	v_mad_u32 v13, s25, v17, v13
	v_mad_u32 v15, s15, v18, v15
	v_mov_b32_e32 v17, v3
	v_cmp_gt_i64_e64 s0, s[28:29], 0
	v_lshl_or_b32 v18, v18, 7, v7
	v_add_nc_u32_e32 v19, 0x400, v6
	v_add_nc_u64_e32 v[6:7], s[36:37], v[4:5]
	s_cselect_b32 s1, -1, 0
	s_lshl_b64 s[20:21], s[20:21], 4
	s_lshl_b64 s[6:7], s[6:7], 4
	;; [unrolled: 1-line block ×3, first 2 shown]
	v_add_nc_u64_e32 v[4:5], s[34:35], v[12:13]
	v_add_nc_u64_e32 v[8:9], v[14:15], v[16:17]
	v_lshlrev_b64_e32 v[6:7], 2, v[6:7]
	v_lshl_add_u64 v[2:3], v[10:11], 2, s[4:5]
	v_cndmask_b32_e64 v10, 0, 1, s0
	s_lshl_b64 s[4:5], s[26:27], 1
	s_lshl_b64 s[14:15], s[14:15], 4
	v_lshl_add_u64 v[4:5], v[4:5], 1, s[18:19]
	v_lshl_add_u64 v[8:9], v[8:9], 1, s[12:13]
	v_cmp_ne_u32_e64 s0, 1, v10
	s_lshl_b64 s[12:13], s[24:25], 4
	s_branch .LBB406_3
.LBB406_2:                              ;   in Loop: Header=BB406_3 Depth=1
	s_add_co_i32 s2, s2, 0x10000
	s_delay_alu instid0(SALU_CYCLE_1)
	s_cmp_lt_i32 s2, s31
	s_cbranch_scc0 .LBB406_10
.LBB406_3:                              ; =>This Loop Header: Depth=1
                                        ;     Child Loop BB406_5 Depth 2
	s_wait_xcnt 0x0
	v_dual_mov_b32 v13, 0 :: v_dual_mov_b32 v12, 0
	v_dual_mov_b32 v11, 0 :: v_dual_mov_b32 v10, 0
	s_and_b32 vcc_lo, exec_lo, s0
	s_cbranch_vccnz .LBB406_6
; %bb.4:                                ;   in Loop: Header=BB406_3 Depth=1
	v_mad_nc_u64_u32 v[14:15], s4, s2, v[4:5]
	v_mad_nc_u64_u32 v[16:17], s16, s2, v[8:9]
	v_mov_b32_e32 v10, 0
	s_mov_b64 s[18:19], 0
	s_delay_alu instid0(VALU_DEP_1)
	v_dual_mov_b32 v11, v10 :: v_dual_mov_b32 v12, v10
	v_mov_b32_e32 v13, v10
	v_mad_u32 v15, s5, s2, v15
	v_mad_u32 v17, s17, s2, v17
.LBB406_5:                              ;   Parent Loop BB406_3 Depth=1
                                        ; =>  This Inner Loop Header: Depth=2
	global_load_u16 v22, v[16:17], off
	global_load_u16 v23, v[14:15], off
	s_add_nc_u64 s[18:19], s[18:19], 8
	s_wait_xcnt 0x0
	v_add_nc_u64_e32 v[14:15], s[12:13], v[14:15]
	v_cmp_lt_i64_e64 s24, s[18:19], s[28:29]
	v_add_nc_u64_e32 v[16:17], s[14:15], v[16:17]
	s_and_b32 vcc_lo, exec_lo, s24
	s_wait_loadcnt 0x1
	v_cvt_f32_f16_e32 v22, v22
	s_wait_loadcnt 0x0
	v_cvt_f32_f16_e32 v23, v23
	ds_store_b32 v18, v22
	ds_store_b32 v19, v23
	s_wait_dscnt 0x0
	s_barrier_signal -1
	s_barrier_wait -1
	ds_load_2addr_b32 v[38:39], v20 offset1:16
	ds_load_2addr_b32 v[40:41], v20 offset0:32 offset1:48
	ds_load_b128 v[22:25], v21
	ds_load_2addr_b32 v[42:43], v20 offset0:64 offset1:80
	ds_load_b128 v[26:29], v21 offset:512
	ds_load_2addr_b32 v[44:45], v20 offset0:96 offset1:112
	ds_load_b128 v[30:33], v21 offset:16
	ds_load_2addr_b32 v[46:47], v20 offset0:128 offset1:144
	ds_load_b128 v[34:37], v21 offset:528
	ds_load_2addr_b32 v[48:49], v20 offset0:160 offset1:176
	ds_load_2addr_b32 v[50:51], v20 offset0:192 offset1:208
	;; [unrolled: 1-line block ×3, first 2 shown]
	s_wait_dscnt 0x0
	s_barrier_signal -1
	s_barrier_wait -1
	v_dual_mov_b32 v54, v39 :: v_dual_mov_b32 v55, v38
	v_dual_mov_b32 v38, v41 :: v_dual_mov_b32 v39, v40
	;; [unrolled: 1-line block ×3, first 2 shown]
	s_delay_alu instid0(VALU_DEP_3) | instskip(SKIP_3) | instid1(VALU_DEP_4)
	v_pk_fma_f32 v[12:13], v[54:55], v[22:23], v[12:13] op_sel_hi:[1,0,1]
	v_pk_fma_f32 v[10:11], v[54:55], v[26:27], v[10:11] op_sel_hi:[1,0,1]
	v_dual_mov_b32 v42, v45 :: v_dual_mov_b32 v43, v44
	v_mov_b32_e32 v44, v25
	v_pk_fma_f32 v[12:13], v[38:39], v[22:23], v[12:13] op_sel:[0,1,0]
	s_delay_alu instid0(VALU_DEP_4) | instskip(SKIP_2) | instid1(VALU_DEP_4)
	v_pk_fma_f32 v[10:11], v[38:39], v[26:27], v[10:11] op_sel:[0,1,0]
	v_dual_mov_b32 v22, v29 :: v_dual_mov_b32 v26, v53
	v_mov_b32_e32 v27, v52
	v_pk_fma_f32 v[12:13], v[40:41], v[24:25], v[12:13] op_sel_hi:[1,0,1]
	s_delay_alu instid0(VALU_DEP_4) | instskip(SKIP_2) | instid1(VALU_DEP_4)
	v_pk_fma_f32 v[10:11], v[40:41], v[28:29], v[10:11] op_sel_hi:[1,0,1]
	v_dual_mov_b32 v24, v47 :: v_dual_mov_b32 v25, v46
	v_mov_b32_e32 v28, v37
	v_pk_fma_f32 v[12:13], v[42:43], v[44:45], v[12:13] op_sel_hi:[1,0,1]
	s_delay_alu instid0(VALU_DEP_4) | instskip(SKIP_1) | instid1(VALU_DEP_3)
	v_pk_fma_f32 v[10:11], v[42:43], v[22:23], v[10:11] op_sel_hi:[1,0,1]
	v_dual_mov_b32 v22, v49 :: v_dual_mov_b32 v23, v48
	v_pk_fma_f32 v[12:13], v[24:25], v[30:31], v[12:13] op_sel_hi:[1,0,1]
	s_delay_alu instid0(VALU_DEP_3) | instskip(SKIP_1) | instid1(VALU_DEP_3)
	v_pk_fma_f32 v[10:11], v[24:25], v[34:35], v[10:11] op_sel_hi:[1,0,1]
	v_dual_mov_b32 v24, v51 :: v_dual_mov_b32 v25, v50
	v_pk_fma_f32 v[12:13], v[22:23], v[30:31], v[12:13] op_sel:[0,1,0]
	s_delay_alu instid0(VALU_DEP_3) | instskip(SKIP_1) | instid1(VALU_DEP_3)
	v_pk_fma_f32 v[10:11], v[22:23], v[34:35], v[10:11] op_sel:[0,1,0]
	v_mov_b32_e32 v22, v33
	v_pk_fma_f32 v[12:13], v[24:25], v[32:33], v[12:13] op_sel_hi:[1,0,1]
	s_delay_alu instid0(VALU_DEP_3) | instskip(NEXT) | instid1(VALU_DEP_2)
	v_pk_fma_f32 v[10:11], v[24:25], v[36:37], v[10:11] op_sel_hi:[1,0,1]
	v_pk_fma_f32 v[12:13], v[26:27], v[22:23], v[12:13] op_sel_hi:[1,0,1]
	s_delay_alu instid0(VALU_DEP_2)
	v_pk_fma_f32 v[10:11], v[26:27], v[28:29], v[10:11] op_sel_hi:[1,0,1]
	s_cbranch_vccnz .LBB406_5
.LBB406_6:                              ;   in Loop: Header=BB406_3 Depth=1
	s_mul_u64 s[18:19], s[22:23], s[2:3]
	s_and_not1_b32 vcc_lo, exec_lo, s1
	s_lshl_b64 s[18:19], s[18:19], 2
	s_delay_alu instid0(SALU_CYCLE_1) | instskip(NEXT) | instid1(SALU_CYCLE_1)
	s_add_nc_u64 s[18:19], s[10:11], s[18:19]
	v_lshl_add_u64 v[14:15], v[0:1], 2, s[18:19]
	s_delay_alu instid0(VALU_DEP_1)
	v_add_nc_u64_e32 v[16:17], v[14:15], v[6:7]
	v_lshl_add_u64 v[14:15], s[20:21], 2, v[14:15]
	s_cbranch_vccnz .LBB406_8
; %bb.7:                                ;   in Loop: Header=BB406_3 Depth=1
	s_delay_alu instid0(VALU_DEP_1)
	v_add_nc_u64_e32 v[22:23], v[14:15], v[6:7]
	v_dual_mul_f32 v24, s30, v13 :: v_dual_mul_f32 v25, s30, v12
	v_dual_mul_f32 v26, s30, v11 :: v_dual_mul_f32 v27, s30, v10
	s_clause 0x3
	global_store_b32 v[16:17], v24, off
	global_store_b32 v[16:17], v25, off offset:64
	global_store_b32 v[22:23], v26, off
	global_store_b32 v[22:23], v27, off offset:64
	s_cbranch_execnz .LBB406_2
	s_branch .LBB406_9
.LBB406_8:                              ;   in Loop: Header=BB406_3 Depth=1
.LBB406_9:                              ;   in Loop: Header=BB406_3 Depth=1
	s_mul_u64 s[18:19], s[8:9], s[2:3]
	s_wait_xcnt 0x0
	v_lshl_add_u64 v[22:23], s[18:19], 2, v[2:3]
	s_delay_alu instid0(VALU_DEP_1) | instskip(SKIP_1) | instid1(VALU_DEP_1)
	v_add_nc_u64_e32 v[24:25], v[22:23], v[6:7]
	v_lshl_add_u64 v[22:23], s[6:7], 2, v[22:23]
	v_add_nc_u64_e32 v[22:23], v[22:23], v[6:7]
	global_load_b32 v26, v[24:25], off
	s_wait_loadcnt 0x0
	v_mul_f32_e32 v26, s33, v26
	s_delay_alu instid0(VALU_DEP_1) | instskip(SKIP_4) | instid1(VALU_DEP_1)
	v_fmac_f32_e32 v26, s30, v13
	global_store_b32 v[16:17], v26, off
	global_load_b32 v13, v[24:25], off offset:64
	s_wait_loadcnt 0x0
	v_mul_f32_e32 v13, s33, v13
	v_fmac_f32_e32 v13, s30, v12
	global_store_b32 v[16:17], v13, off offset:64
	global_load_b32 v12, v[22:23], off
	s_wait_loadcnt 0x0
	s_wait_xcnt 0x1
	v_mul_f32_e32 v16, s33, v12
	v_add_nc_u64_e32 v[12:13], v[14:15], v[6:7]
	s_delay_alu instid0(VALU_DEP_2) | instskip(SKIP_4) | instid1(VALU_DEP_1)
	v_fmac_f32_e32 v16, s30, v11
	global_store_b32 v[12:13], v16, off
	global_load_b32 v11, v[22:23], off offset:64
	s_wait_loadcnt 0x0
	v_mul_f32_e32 v11, s33, v11
	v_fmac_f32_e32 v11, s30, v10
	global_store_b32 v[12:13], v11, off offset:64
	s_branch .LBB406_2
.LBB406_10:
	s_endpgm
	.section	.rodata,"a",@progbits
	.p2align	6, 0x0
	.amdhsa_kernel _ZN12_GLOBAL__N_127rocblas_gemm_batched_kernelIfLi16ELi16ELi32ELi32ELi8ELi32ELi8ELi8ELi32ELc78ELc67EKDF16_KffEEvlllT_PT11_llS5_llS3_PT12_llPT13_lli
		.amdhsa_group_segment_fixed_size 2048
		.amdhsa_private_segment_fixed_size 0
		.amdhsa_kernarg_size 140
		.amdhsa_user_sgpr_count 2
		.amdhsa_user_sgpr_dispatch_ptr 0
		.amdhsa_user_sgpr_queue_ptr 0
		.amdhsa_user_sgpr_kernarg_segment_ptr 1
		.amdhsa_user_sgpr_dispatch_id 0
		.amdhsa_user_sgpr_kernarg_preload_length 0
		.amdhsa_user_sgpr_kernarg_preload_offset 0
		.amdhsa_user_sgpr_private_segment_size 0
		.amdhsa_wavefront_size32 1
		.amdhsa_uses_dynamic_stack 0
		.amdhsa_enable_private_segment 0
		.amdhsa_system_sgpr_workgroup_id_x 1
		.amdhsa_system_sgpr_workgroup_id_y 1
		.amdhsa_system_sgpr_workgroup_id_z 1
		.amdhsa_system_sgpr_workgroup_info 0
		.amdhsa_system_vgpr_workitem_id 1
		.amdhsa_next_free_vgpr 56
		.amdhsa_next_free_sgpr 38
		.amdhsa_named_barrier_count 0
		.amdhsa_reserve_vcc 1
		.amdhsa_float_round_mode_32 0
		.amdhsa_float_round_mode_16_64 0
		.amdhsa_float_denorm_mode_32 3
		.amdhsa_float_denorm_mode_16_64 3
		.amdhsa_fp16_overflow 0
		.amdhsa_memory_ordered 1
		.amdhsa_forward_progress 1
		.amdhsa_inst_pref_size 11
		.amdhsa_round_robin_scheduling 0
		.amdhsa_exception_fp_ieee_invalid_op 0
		.amdhsa_exception_fp_denorm_src 0
		.amdhsa_exception_fp_ieee_div_zero 0
		.amdhsa_exception_fp_ieee_overflow 0
		.amdhsa_exception_fp_ieee_underflow 0
		.amdhsa_exception_fp_ieee_inexact 0
		.amdhsa_exception_int_div_zero 0
	.end_amdhsa_kernel
	.section	.text._ZN12_GLOBAL__N_127rocblas_gemm_batched_kernelIfLi16ELi16ELi32ELi32ELi8ELi32ELi8ELi8ELi32ELc78ELc67EKDF16_KffEEvlllT_PT11_llS5_llS3_PT12_llPT13_lli,"axG",@progbits,_ZN12_GLOBAL__N_127rocblas_gemm_batched_kernelIfLi16ELi16ELi32ELi32ELi8ELi32ELi8ELi8ELi32ELc78ELc67EKDF16_KffEEvlllT_PT11_llS5_llS3_PT12_llPT13_lli,comdat
.Lfunc_end406:
	.size	_ZN12_GLOBAL__N_127rocblas_gemm_batched_kernelIfLi16ELi16ELi32ELi32ELi8ELi32ELi8ELi8ELi32ELc78ELc67EKDF16_KffEEvlllT_PT11_llS5_llS3_PT12_llPT13_lli, .Lfunc_end406-_ZN12_GLOBAL__N_127rocblas_gemm_batched_kernelIfLi16ELi16ELi32ELi32ELi8ELi32ELi8ELi8ELi32ELc78ELc67EKDF16_KffEEvlllT_PT11_llS5_llS3_PT12_llPT13_lli
                                        ; -- End function
	.set _ZN12_GLOBAL__N_127rocblas_gemm_batched_kernelIfLi16ELi16ELi32ELi32ELi8ELi32ELi8ELi8ELi32ELc78ELc67EKDF16_KffEEvlllT_PT11_llS5_llS3_PT12_llPT13_lli.num_vgpr, 56
	.set _ZN12_GLOBAL__N_127rocblas_gemm_batched_kernelIfLi16ELi16ELi32ELi32ELi8ELi32ELi8ELi8ELi32ELc78ELc67EKDF16_KffEEvlllT_PT11_llS5_llS3_PT12_llPT13_lli.num_agpr, 0
	.set _ZN12_GLOBAL__N_127rocblas_gemm_batched_kernelIfLi16ELi16ELi32ELi32ELi8ELi32ELi8ELi8ELi32ELc78ELc67EKDF16_KffEEvlllT_PT11_llS5_llS3_PT12_llPT13_lli.numbered_sgpr, 38
	.set _ZN12_GLOBAL__N_127rocblas_gemm_batched_kernelIfLi16ELi16ELi32ELi32ELi8ELi32ELi8ELi8ELi32ELc78ELc67EKDF16_KffEEvlllT_PT11_llS5_llS3_PT12_llPT13_lli.num_named_barrier, 0
	.set _ZN12_GLOBAL__N_127rocblas_gemm_batched_kernelIfLi16ELi16ELi32ELi32ELi8ELi32ELi8ELi8ELi32ELc78ELc67EKDF16_KffEEvlllT_PT11_llS5_llS3_PT12_llPT13_lli.private_seg_size, 0
	.set _ZN12_GLOBAL__N_127rocblas_gemm_batched_kernelIfLi16ELi16ELi32ELi32ELi8ELi32ELi8ELi8ELi32ELc78ELc67EKDF16_KffEEvlllT_PT11_llS5_llS3_PT12_llPT13_lli.uses_vcc, 1
	.set _ZN12_GLOBAL__N_127rocblas_gemm_batched_kernelIfLi16ELi16ELi32ELi32ELi8ELi32ELi8ELi8ELi32ELc78ELc67EKDF16_KffEEvlllT_PT11_llS5_llS3_PT12_llPT13_lli.uses_flat_scratch, 0
	.set _ZN12_GLOBAL__N_127rocblas_gemm_batched_kernelIfLi16ELi16ELi32ELi32ELi8ELi32ELi8ELi8ELi32ELc78ELc67EKDF16_KffEEvlllT_PT11_llS5_llS3_PT12_llPT13_lli.has_dyn_sized_stack, 0
	.set _ZN12_GLOBAL__N_127rocblas_gemm_batched_kernelIfLi16ELi16ELi32ELi32ELi8ELi32ELi8ELi8ELi32ELc78ELc67EKDF16_KffEEvlllT_PT11_llS5_llS3_PT12_llPT13_lli.has_recursion, 0
	.set _ZN12_GLOBAL__N_127rocblas_gemm_batched_kernelIfLi16ELi16ELi32ELi32ELi8ELi32ELi8ELi8ELi32ELc78ELc67EKDF16_KffEEvlllT_PT11_llS5_llS3_PT12_llPT13_lli.has_indirect_call, 0
	.section	.AMDGPU.csdata,"",@progbits
; Kernel info:
; codeLenInByte = 1376
; TotalNumSgprs: 40
; NumVgprs: 56
; ScratchSize: 0
; MemoryBound: 0
; FloatMode: 240
; IeeeMode: 1
; LDSByteSize: 2048 bytes/workgroup (compile time only)
; SGPRBlocks: 0
; VGPRBlocks: 3
; NumSGPRsForWavesPerEU: 40
; NumVGPRsForWavesPerEU: 56
; NamedBarCnt: 0
; Occupancy: 16
; WaveLimiterHint : 0
; COMPUTE_PGM_RSRC2:SCRATCH_EN: 0
; COMPUTE_PGM_RSRC2:USER_SGPR: 2
; COMPUTE_PGM_RSRC2:TRAP_HANDLER: 0
; COMPUTE_PGM_RSRC2:TGID_X_EN: 1
; COMPUTE_PGM_RSRC2:TGID_Y_EN: 1
; COMPUTE_PGM_RSRC2:TGID_Z_EN: 1
; COMPUTE_PGM_RSRC2:TIDIG_COMP_CNT: 1
	.section	.text._ZN12_GLOBAL__N_127rocblas_gemm_batched_kernelIfLi16ELi16ELi32ELi32ELi8ELi32ELi8ELi8ELi32ELc84ELc67EKDF16_KffEEvlllT_PT11_llS5_llS3_PT12_llPT13_lli,"axG",@progbits,_ZN12_GLOBAL__N_127rocblas_gemm_batched_kernelIfLi16ELi16ELi32ELi32ELi8ELi32ELi8ELi8ELi32ELc84ELc67EKDF16_KffEEvlllT_PT11_llS5_llS3_PT12_llPT13_lli,comdat
	.globl	_ZN12_GLOBAL__N_127rocblas_gemm_batched_kernelIfLi16ELi16ELi32ELi32ELi8ELi32ELi8ELi8ELi32ELc84ELc67EKDF16_KffEEvlllT_PT11_llS5_llS3_PT12_llPT13_lli ; -- Begin function _ZN12_GLOBAL__N_127rocblas_gemm_batched_kernelIfLi16ELi16ELi32ELi32ELi8ELi32ELi8ELi8ELi32ELc84ELc67EKDF16_KffEEvlllT_PT11_llS5_llS3_PT12_llPT13_lli
	.p2align	8
	.type	_ZN12_GLOBAL__N_127rocblas_gemm_batched_kernelIfLi16ELi16ELi32ELi32ELi8ELi32ELi8ELi8ELi32ELc84ELc67EKDF16_KffEEvlllT_PT11_llS5_llS3_PT12_llPT13_lli,@function
_ZN12_GLOBAL__N_127rocblas_gemm_batched_kernelIfLi16ELi16ELi32ELi32ELi8ELi32ELi8ELi8ELi32ELc84ELc67EKDF16_KffEEvlllT_PT11_llS5_llS3_PT12_llPT13_lli: ; @_ZN12_GLOBAL__N_127rocblas_gemm_batched_kernelIfLi16ELi16ELi32ELi32ELi8ELi32ELi8ELi8ELi32ELc84ELc67EKDF16_KffEEvlllT_PT11_llS5_llS3_PT12_llPT13_lli
; %bb.0:
	s_load_b32 s31, s[0:1], 0x88
	s_bfe_u32 s2, ttmp6, 0x40014
	s_lshr_b32 s3, ttmp7, 16
	s_add_co_i32 s2, s2, 1
	s_bfe_u32 s4, ttmp6, 0x40008
	s_mul_i32 s2, s3, s2
	s_getreg_b32 s28, hwreg(HW_REG_IB_STS2, 6, 4)
	s_add_co_i32 s4, s4, s2
	s_cmp_eq_u32 s28, 0
	s_cselect_b32 s2, s3, s4
	s_mov_b32 s3, 0
	s_wait_kmcnt 0x0
	s_cmp_ge_i32 s2, s31
	s_cbranch_scc1 .LBB407_10
; %bb.1:
	v_bfe_u32 v2, v0, 10, 10
	v_and_b32_e32 v4, 0x3ff, v0
	s_bfe_u32 s29, ttmp6, 0x4000c
	s_bfe_u32 s33, ttmp6, 0x40010
	s_add_co_i32 s29, s29, 1
	s_and_b32 s34, ttmp7, 0xffff
	s_add_co_i32 s33, s33, 1
	s_clause 0x3
	s_load_b256 s[12:19], s[0:1], 0x20
	s_load_b128 s[24:27], s[0:1], 0x40
	s_load_b128 s[20:23], s[0:1], 0x78
	s_load_b256 s[4:11], s[0:1], 0x58
	s_and_b32 s30, ttmp6, 15
	s_mul_i32 s29, ttmp9, s29
	s_mul_i32 s33, s34, s33
	s_bfe_u32 s35, ttmp6, 0x40004
	v_lshl_add_u32 v5, v2, 4, v4
	s_add_co_i32 s30, s30, s29
	s_add_co_i32 s35, s35, s33
	s_cmp_eq_u32 s28, 0
	s_delay_alu instid0(VALU_DEP_1)
	v_dual_mov_b32 v3, 0 :: v_dual_bitop2_b32 v16, 31, v5 bitop3:0x40
	s_cselect_b32 s28, ttmp9, s30
	s_cselect_b32 s30, s34, s35
	s_ashr_i32 s29, s28, 31
	s_lshl_b32 s36, s30, 5
	s_lshl_b64 s[34:35], s[28:29], 5
	s_mov_b32 s37, s3
	v_dual_mov_b32 v7, s35 :: v_dual_bitop2_b32 v6, s34, v16 bitop3:0x54
	v_add_nc_u64_e32 v[8:9], s[36:37], v[2:3]
	v_dual_lshrrev_b32 v10, 3, v5 :: v_dual_bitop2_b32 v17, 7, v0 bitop3:0x40
	v_mov_b32_e32 v11, v3
	s_wait_kmcnt 0x0
	v_mul_u64_e32 v[6:7], s[14:15], v[6:7]
	s_clause 0x1
	s_load_b32 s33, s[0:1], 0x50
	s_load_b96 s[28:30], s[0:1], 0x10
	v_mul_u64_e32 v[12:13], s[6:7], v[8:9]
	v_mul_u64_e32 v[0:1], s[20:21], v[8:9]
	v_lshrrev_b32_e32 v8, 5, v5
	v_mad_nc_u64_u32 v[14:15], s24, v17, v[10:11]
	v_dual_lshlrev_b32 v11, 2, v17 :: v_dual_lshlrev_b32 v9, 2, v16
	v_dual_mov_b32 v5, v3 :: v_dual_lshlrev_b32 v20, 2, v4
	v_lshl_add_u32 v21, v2, 5, 0x400
	s_delay_alu instid0(VALU_DEP_3)
	v_lshl_or_b32 v10, v10, 5, v11
	v_lshlrev_b32_e32 v2, 1, v8
	v_lshl_or_b32 v18, v8, 7, v9
	v_add_nc_u64_e32 v[8:9], s[34:35], v[4:5]
	v_mad_u32 v15, s25, v17, v15
	v_add_nc_u32_e32 v19, 0x400, v10
	s_wait_kmcnt 0x0
	s_cmp_eq_f32 s33, 0
	v_cmp_gt_i64_e64 s0, s[28:29], 0
	s_cselect_b32 s1, -1, 0
	s_lshl_b64 s[14:15], s[20:21], 4
	s_lshl_b64 s[6:7], s[6:7], 4
	v_add_nc_u64_e32 v[10:11], s[36:37], v[14:15]
	v_cndmask_b32_e64 v14, 0, 1, s0
	s_lshl_b64 s[16:17], s[16:17], 1
	v_lshl_add_u64 v[4:5], v[6:7], 1, v[2:3]
	v_lshlrev_b64_e32 v[6:7], 2, v[8:9]
	s_delay_alu instid0(VALU_DEP_3)
	v_cmp_ne_u32_e64 s0, 1, v14
	v_lshl_add_u64 v[2:3], v[12:13], 2, s[4:5]
	v_lshl_add_u64 v[8:9], v[10:11], 1, s[18:19]
	v_add_nc_u64_e32 v[4:5], s[12:13], v[4:5]
	s_lshl_b64 s[4:5], s[26:27], 1
	s_lshl_b64 s[12:13], s[24:25], 4
	s_branch .LBB407_3
.LBB407_2:                              ;   in Loop: Header=BB407_3 Depth=1
	s_add_co_i32 s2, s2, 0x10000
	s_delay_alu instid0(SALU_CYCLE_1)
	s_cmp_lt_i32 s2, s31
	s_cbranch_scc0 .LBB407_10
.LBB407_3:                              ; =>This Loop Header: Depth=1
                                        ;     Child Loop BB407_5 Depth 2
	s_wait_xcnt 0x0
	v_dual_mov_b32 v13, 0 :: v_dual_mov_b32 v12, 0
	v_dual_mov_b32 v11, 0 :: v_dual_mov_b32 v10, 0
	s_and_b32 vcc_lo, exec_lo, s0
	s_cbranch_vccnz .LBB407_6
; %bb.4:                                ;   in Loop: Header=BB407_3 Depth=1
	v_mad_nc_u64_u32 v[14:15], s4, s2, v[8:9]
	v_mad_nc_u64_u32 v[16:17], s16, s2, v[4:5]
	v_mov_b32_e32 v10, 0
	s_mov_b64 s[18:19], 0
	s_delay_alu instid0(VALU_DEP_1)
	v_dual_mov_b32 v11, v10 :: v_dual_mov_b32 v12, v10
	v_mov_b32_e32 v13, v10
	v_mad_u32 v15, s5, s2, v15
	v_mad_u32 v17, s17, s2, v17
.LBB407_5:                              ;   Parent Loop BB407_3 Depth=1
                                        ; =>  This Inner Loop Header: Depth=2
	global_load_u16 v22, v[16:17], off
	global_load_u16 v23, v[14:15], off
	s_add_nc_u64 s[18:19], s[18:19], 8
	s_wait_xcnt 0x0
	v_add_nc_u64_e32 v[14:15], s[12:13], v[14:15]
	v_cmp_lt_i64_e64 s20, s[18:19], s[28:29]
	v_add_nc_u64_e32 v[16:17], 16, v[16:17]
	s_and_b32 vcc_lo, exec_lo, s20
	s_wait_loadcnt 0x1
	v_cvt_f32_f16_e32 v22, v22
	s_wait_loadcnt 0x0
	v_cvt_f32_f16_e32 v23, v23
	ds_store_b32 v18, v22
	ds_store_b32 v19, v23
	s_wait_dscnt 0x0
	s_barrier_signal -1
	s_barrier_wait -1
	ds_load_2addr_b32 v[38:39], v20 offset1:16
	ds_load_2addr_b32 v[40:41], v20 offset0:32 offset1:48
	ds_load_b128 v[22:25], v21
	ds_load_2addr_b32 v[42:43], v20 offset0:64 offset1:80
	ds_load_b128 v[26:29], v21 offset:512
	ds_load_2addr_b32 v[44:45], v20 offset0:96 offset1:112
	ds_load_b128 v[30:33], v21 offset:16
	;; [unrolled: 2-line block ×3, first 2 shown]
	ds_load_2addr_b32 v[48:49], v20 offset0:160 offset1:176
	ds_load_2addr_b32 v[50:51], v20 offset0:192 offset1:208
	;; [unrolled: 1-line block ×3, first 2 shown]
	s_wait_dscnt 0x0
	s_barrier_signal -1
	s_barrier_wait -1
	v_dual_mov_b32 v54, v39 :: v_dual_mov_b32 v55, v38
	v_dual_mov_b32 v38, v41 :: v_dual_mov_b32 v39, v40
	;; [unrolled: 1-line block ×3, first 2 shown]
	s_delay_alu instid0(VALU_DEP_3) | instskip(SKIP_3) | instid1(VALU_DEP_4)
	v_pk_fma_f32 v[12:13], v[54:55], v[22:23], v[12:13] op_sel_hi:[1,0,1]
	v_pk_fma_f32 v[10:11], v[54:55], v[26:27], v[10:11] op_sel_hi:[1,0,1]
	v_dual_mov_b32 v42, v45 :: v_dual_mov_b32 v43, v44
	v_mov_b32_e32 v44, v25
	v_pk_fma_f32 v[12:13], v[38:39], v[22:23], v[12:13] op_sel:[0,1,0]
	s_delay_alu instid0(VALU_DEP_4) | instskip(SKIP_2) | instid1(VALU_DEP_4)
	v_pk_fma_f32 v[10:11], v[38:39], v[26:27], v[10:11] op_sel:[0,1,0]
	v_dual_mov_b32 v22, v29 :: v_dual_mov_b32 v26, v53
	v_mov_b32_e32 v27, v52
	v_pk_fma_f32 v[12:13], v[40:41], v[24:25], v[12:13] op_sel_hi:[1,0,1]
	s_delay_alu instid0(VALU_DEP_4) | instskip(SKIP_2) | instid1(VALU_DEP_4)
	v_pk_fma_f32 v[10:11], v[40:41], v[28:29], v[10:11] op_sel_hi:[1,0,1]
	v_dual_mov_b32 v24, v47 :: v_dual_mov_b32 v25, v46
	v_mov_b32_e32 v28, v37
	v_pk_fma_f32 v[12:13], v[42:43], v[44:45], v[12:13] op_sel_hi:[1,0,1]
	s_delay_alu instid0(VALU_DEP_4) | instskip(SKIP_1) | instid1(VALU_DEP_3)
	v_pk_fma_f32 v[10:11], v[42:43], v[22:23], v[10:11] op_sel_hi:[1,0,1]
	v_dual_mov_b32 v22, v49 :: v_dual_mov_b32 v23, v48
	v_pk_fma_f32 v[12:13], v[24:25], v[30:31], v[12:13] op_sel_hi:[1,0,1]
	s_delay_alu instid0(VALU_DEP_3) | instskip(SKIP_1) | instid1(VALU_DEP_3)
	v_pk_fma_f32 v[10:11], v[24:25], v[34:35], v[10:11] op_sel_hi:[1,0,1]
	v_dual_mov_b32 v24, v51 :: v_dual_mov_b32 v25, v50
	v_pk_fma_f32 v[12:13], v[22:23], v[30:31], v[12:13] op_sel:[0,1,0]
	s_delay_alu instid0(VALU_DEP_3) | instskip(SKIP_1) | instid1(VALU_DEP_3)
	v_pk_fma_f32 v[10:11], v[22:23], v[34:35], v[10:11] op_sel:[0,1,0]
	v_mov_b32_e32 v22, v33
	v_pk_fma_f32 v[12:13], v[24:25], v[32:33], v[12:13] op_sel_hi:[1,0,1]
	s_delay_alu instid0(VALU_DEP_3) | instskip(NEXT) | instid1(VALU_DEP_2)
	v_pk_fma_f32 v[10:11], v[24:25], v[36:37], v[10:11] op_sel_hi:[1,0,1]
	v_pk_fma_f32 v[12:13], v[26:27], v[22:23], v[12:13] op_sel_hi:[1,0,1]
	s_delay_alu instid0(VALU_DEP_2)
	v_pk_fma_f32 v[10:11], v[26:27], v[28:29], v[10:11] op_sel_hi:[1,0,1]
	s_cbranch_vccnz .LBB407_5
.LBB407_6:                              ;   in Loop: Header=BB407_3 Depth=1
	s_mul_u64 s[18:19], s[22:23], s[2:3]
	s_and_not1_b32 vcc_lo, exec_lo, s1
	s_lshl_b64 s[18:19], s[18:19], 2
	s_delay_alu instid0(SALU_CYCLE_1) | instskip(NEXT) | instid1(SALU_CYCLE_1)
	s_add_nc_u64 s[18:19], s[10:11], s[18:19]
	v_lshl_add_u64 v[14:15], v[0:1], 2, s[18:19]
	s_delay_alu instid0(VALU_DEP_1)
	v_add_nc_u64_e32 v[16:17], v[14:15], v[6:7]
	v_lshl_add_u64 v[14:15], s[14:15], 2, v[14:15]
	s_cbranch_vccnz .LBB407_8
; %bb.7:                                ;   in Loop: Header=BB407_3 Depth=1
	s_delay_alu instid0(VALU_DEP_1)
	v_add_nc_u64_e32 v[22:23], v[14:15], v[6:7]
	v_dual_mul_f32 v24, s30, v13 :: v_dual_mul_f32 v25, s30, v12
	v_dual_mul_f32 v26, s30, v11 :: v_dual_mul_f32 v27, s30, v10
	s_clause 0x3
	global_store_b32 v[16:17], v24, off
	global_store_b32 v[16:17], v25, off offset:64
	global_store_b32 v[22:23], v26, off
	global_store_b32 v[22:23], v27, off offset:64
	s_cbranch_execnz .LBB407_2
	s_branch .LBB407_9
.LBB407_8:                              ;   in Loop: Header=BB407_3 Depth=1
.LBB407_9:                              ;   in Loop: Header=BB407_3 Depth=1
	s_mul_u64 s[18:19], s[8:9], s[2:3]
	s_wait_xcnt 0x0
	v_lshl_add_u64 v[22:23], s[18:19], 2, v[2:3]
	s_delay_alu instid0(VALU_DEP_1) | instskip(SKIP_1) | instid1(VALU_DEP_1)
	v_add_nc_u64_e32 v[24:25], v[22:23], v[6:7]
	v_lshl_add_u64 v[22:23], s[6:7], 2, v[22:23]
	v_add_nc_u64_e32 v[22:23], v[22:23], v[6:7]
	global_load_b32 v26, v[24:25], off
	s_wait_loadcnt 0x0
	v_mul_f32_e32 v26, s33, v26
	s_delay_alu instid0(VALU_DEP_1) | instskip(SKIP_4) | instid1(VALU_DEP_1)
	v_fmac_f32_e32 v26, s30, v13
	global_store_b32 v[16:17], v26, off
	global_load_b32 v13, v[24:25], off offset:64
	s_wait_loadcnt 0x0
	v_mul_f32_e32 v13, s33, v13
	v_fmac_f32_e32 v13, s30, v12
	global_store_b32 v[16:17], v13, off offset:64
	global_load_b32 v12, v[22:23], off
	s_wait_loadcnt 0x0
	s_wait_xcnt 0x1
	v_mul_f32_e32 v16, s33, v12
	v_add_nc_u64_e32 v[12:13], v[14:15], v[6:7]
	s_delay_alu instid0(VALU_DEP_2) | instskip(SKIP_4) | instid1(VALU_DEP_1)
	v_fmac_f32_e32 v16, s30, v11
	global_store_b32 v[12:13], v16, off
	global_load_b32 v11, v[22:23], off offset:64
	s_wait_loadcnt 0x0
	v_mul_f32_e32 v11, s33, v11
	v_fmac_f32_e32 v11, s30, v10
	global_store_b32 v[12:13], v11, off offset:64
	s_branch .LBB407_2
.LBB407_10:
	s_endpgm
	.section	.rodata,"a",@progbits
	.p2align	6, 0x0
	.amdhsa_kernel _ZN12_GLOBAL__N_127rocblas_gemm_batched_kernelIfLi16ELi16ELi32ELi32ELi8ELi32ELi8ELi8ELi32ELc84ELc67EKDF16_KffEEvlllT_PT11_llS5_llS3_PT12_llPT13_lli
		.amdhsa_group_segment_fixed_size 2048
		.amdhsa_private_segment_fixed_size 0
		.amdhsa_kernarg_size 140
		.amdhsa_user_sgpr_count 2
		.amdhsa_user_sgpr_dispatch_ptr 0
		.amdhsa_user_sgpr_queue_ptr 0
		.amdhsa_user_sgpr_kernarg_segment_ptr 1
		.amdhsa_user_sgpr_dispatch_id 0
		.amdhsa_user_sgpr_kernarg_preload_length 0
		.amdhsa_user_sgpr_kernarg_preload_offset 0
		.amdhsa_user_sgpr_private_segment_size 0
		.amdhsa_wavefront_size32 1
		.amdhsa_uses_dynamic_stack 0
		.amdhsa_enable_private_segment 0
		.amdhsa_system_sgpr_workgroup_id_x 1
		.amdhsa_system_sgpr_workgroup_id_y 1
		.amdhsa_system_sgpr_workgroup_id_z 1
		.amdhsa_system_sgpr_workgroup_info 0
		.amdhsa_system_vgpr_workitem_id 1
		.amdhsa_next_free_vgpr 56
		.amdhsa_next_free_sgpr 38
		.amdhsa_named_barrier_count 0
		.amdhsa_reserve_vcc 1
		.amdhsa_float_round_mode_32 0
		.amdhsa_float_round_mode_16_64 0
		.amdhsa_float_denorm_mode_32 3
		.amdhsa_float_denorm_mode_16_64 3
		.amdhsa_fp16_overflow 0
		.amdhsa_memory_ordered 1
		.amdhsa_forward_progress 1
		.amdhsa_inst_pref_size 11
		.amdhsa_round_robin_scheduling 0
		.amdhsa_exception_fp_ieee_invalid_op 0
		.amdhsa_exception_fp_denorm_src 0
		.amdhsa_exception_fp_ieee_div_zero 0
		.amdhsa_exception_fp_ieee_overflow 0
		.amdhsa_exception_fp_ieee_underflow 0
		.amdhsa_exception_fp_ieee_inexact 0
		.amdhsa_exception_int_div_zero 0
	.end_amdhsa_kernel
	.section	.text._ZN12_GLOBAL__N_127rocblas_gemm_batched_kernelIfLi16ELi16ELi32ELi32ELi8ELi32ELi8ELi8ELi32ELc84ELc67EKDF16_KffEEvlllT_PT11_llS5_llS3_PT12_llPT13_lli,"axG",@progbits,_ZN12_GLOBAL__N_127rocblas_gemm_batched_kernelIfLi16ELi16ELi32ELi32ELi8ELi32ELi8ELi8ELi32ELc84ELc67EKDF16_KffEEvlllT_PT11_llS5_llS3_PT12_llPT13_lli,comdat
.Lfunc_end407:
	.size	_ZN12_GLOBAL__N_127rocblas_gemm_batched_kernelIfLi16ELi16ELi32ELi32ELi8ELi32ELi8ELi8ELi32ELc84ELc67EKDF16_KffEEvlllT_PT11_llS5_llS3_PT12_llPT13_lli, .Lfunc_end407-_ZN12_GLOBAL__N_127rocblas_gemm_batched_kernelIfLi16ELi16ELi32ELi32ELi8ELi32ELi8ELi8ELi32ELc84ELc67EKDF16_KffEEvlllT_PT11_llS5_llS3_PT12_llPT13_lli
                                        ; -- End function
	.set _ZN12_GLOBAL__N_127rocblas_gemm_batched_kernelIfLi16ELi16ELi32ELi32ELi8ELi32ELi8ELi8ELi32ELc84ELc67EKDF16_KffEEvlllT_PT11_llS5_llS3_PT12_llPT13_lli.num_vgpr, 56
	.set _ZN12_GLOBAL__N_127rocblas_gemm_batched_kernelIfLi16ELi16ELi32ELi32ELi8ELi32ELi8ELi8ELi32ELc84ELc67EKDF16_KffEEvlllT_PT11_llS5_llS3_PT12_llPT13_lli.num_agpr, 0
	.set _ZN12_GLOBAL__N_127rocblas_gemm_batched_kernelIfLi16ELi16ELi32ELi32ELi8ELi32ELi8ELi8ELi32ELc84ELc67EKDF16_KffEEvlllT_PT11_llS5_llS3_PT12_llPT13_lli.numbered_sgpr, 38
	.set _ZN12_GLOBAL__N_127rocblas_gemm_batched_kernelIfLi16ELi16ELi32ELi32ELi8ELi32ELi8ELi8ELi32ELc84ELc67EKDF16_KffEEvlllT_PT11_llS5_llS3_PT12_llPT13_lli.num_named_barrier, 0
	.set _ZN12_GLOBAL__N_127rocblas_gemm_batched_kernelIfLi16ELi16ELi32ELi32ELi8ELi32ELi8ELi8ELi32ELc84ELc67EKDF16_KffEEvlllT_PT11_llS5_llS3_PT12_llPT13_lli.private_seg_size, 0
	.set _ZN12_GLOBAL__N_127rocblas_gemm_batched_kernelIfLi16ELi16ELi32ELi32ELi8ELi32ELi8ELi8ELi32ELc84ELc67EKDF16_KffEEvlllT_PT11_llS5_llS3_PT12_llPT13_lli.uses_vcc, 1
	.set _ZN12_GLOBAL__N_127rocblas_gemm_batched_kernelIfLi16ELi16ELi32ELi32ELi8ELi32ELi8ELi8ELi32ELc84ELc67EKDF16_KffEEvlllT_PT11_llS5_llS3_PT12_llPT13_lli.uses_flat_scratch, 0
	.set _ZN12_GLOBAL__N_127rocblas_gemm_batched_kernelIfLi16ELi16ELi32ELi32ELi8ELi32ELi8ELi8ELi32ELc84ELc67EKDF16_KffEEvlllT_PT11_llS5_llS3_PT12_llPT13_lli.has_dyn_sized_stack, 0
	.set _ZN12_GLOBAL__N_127rocblas_gemm_batched_kernelIfLi16ELi16ELi32ELi32ELi8ELi32ELi8ELi8ELi32ELc84ELc67EKDF16_KffEEvlllT_PT11_llS5_llS3_PT12_llPT13_lli.has_recursion, 0
	.set _ZN12_GLOBAL__N_127rocblas_gemm_batched_kernelIfLi16ELi16ELi32ELi32ELi8ELi32ELi8ELi8ELi32ELc84ELc67EKDF16_KffEEvlllT_PT11_llS5_llS3_PT12_llPT13_lli.has_indirect_call, 0
	.section	.AMDGPU.csdata,"",@progbits
; Kernel info:
; codeLenInByte = 1380
; TotalNumSgprs: 40
; NumVgprs: 56
; ScratchSize: 0
; MemoryBound: 0
; FloatMode: 240
; IeeeMode: 1
; LDSByteSize: 2048 bytes/workgroup (compile time only)
; SGPRBlocks: 0
; VGPRBlocks: 3
; NumSGPRsForWavesPerEU: 40
; NumVGPRsForWavesPerEU: 56
; NamedBarCnt: 0
; Occupancy: 16
; WaveLimiterHint : 0
; COMPUTE_PGM_RSRC2:SCRATCH_EN: 0
; COMPUTE_PGM_RSRC2:USER_SGPR: 2
; COMPUTE_PGM_RSRC2:TRAP_HANDLER: 0
; COMPUTE_PGM_RSRC2:TGID_X_EN: 1
; COMPUTE_PGM_RSRC2:TGID_Y_EN: 1
; COMPUTE_PGM_RSRC2:TGID_Z_EN: 1
; COMPUTE_PGM_RSRC2:TIDIG_COMP_CNT: 1
	.section	.text._ZN12_GLOBAL__N_135rocblas_gemm_batched_general_kernelIfLi16ELi16ELi32ELi32ELi8ELi32ELi8ELi8ELi32ELc78ELc78EKDF16_KffEEvlllT_PT11_llS5_llS3_PT12_llPT13_lli,"axG",@progbits,_ZN12_GLOBAL__N_135rocblas_gemm_batched_general_kernelIfLi16ELi16ELi32ELi32ELi8ELi32ELi8ELi8ELi32ELc78ELc78EKDF16_KffEEvlllT_PT11_llS5_llS3_PT12_llPT13_lli,comdat
	.globl	_ZN12_GLOBAL__N_135rocblas_gemm_batched_general_kernelIfLi16ELi16ELi32ELi32ELi8ELi32ELi8ELi8ELi32ELc78ELc78EKDF16_KffEEvlllT_PT11_llS5_llS3_PT12_llPT13_lli ; -- Begin function _ZN12_GLOBAL__N_135rocblas_gemm_batched_general_kernelIfLi16ELi16ELi32ELi32ELi8ELi32ELi8ELi8ELi32ELc78ELc78EKDF16_KffEEvlllT_PT11_llS5_llS3_PT12_llPT13_lli
	.p2align	8
	.type	_ZN12_GLOBAL__N_135rocblas_gemm_batched_general_kernelIfLi16ELi16ELi32ELi32ELi8ELi32ELi8ELi8ELi32ELc78ELc78EKDF16_KffEEvlllT_PT11_llS5_llS3_PT12_llPT13_lli,@function
_ZN12_GLOBAL__N_135rocblas_gemm_batched_general_kernelIfLi16ELi16ELi32ELi32ELi8ELi32ELi8ELi8ELi32ELc78ELc78EKDF16_KffEEvlllT_PT11_llS5_llS3_PT12_llPT13_lli: ; @_ZN12_GLOBAL__N_135rocblas_gemm_batched_general_kernelIfLi16ELi16ELi32ELi32ELi8ELi32ELi8ELi8ELi32ELc78ELc78EKDF16_KffEEvlllT_PT11_llS5_llS3_PT12_llPT13_lli
; %bb.0:
	s_load_b32 s33, s[0:1], 0x88
	s_bfe_u32 s2, ttmp6, 0x40014
	s_lshr_b32 s3, ttmp7, 16
	s_add_co_i32 s2, s2, 1
	s_bfe_u32 s5, ttmp6, 0x40008
	s_mul_i32 s4, s3, s2
	s_getreg_b32 s2, hwreg(HW_REG_IB_STS2, 6, 4)
	s_add_co_i32 s5, s5, s4
	s_cmp_eq_u32 s2, 0
	s_mov_b32 s35, 0
	s_cselect_b32 s34, s3, s5
	s_wait_kmcnt 0x0
	s_cmp_ge_i32 s34, s33
	s_cbranch_scc1 .LBB408_34
; %bb.1:
	v_bfe_u32 v8, v0, 10, 10
	v_and_b32_e32 v10, 0x3ff, v0
	s_clause 0x1
	s_load_b256 s[16:23], s[0:1], 0x20
	s_load_b128 s[4:7], s[0:1], 0x40
	s_bfe_u32 s8, ttmp6, 0x4000c
	s_bfe_u32 s9, ttmp6, 0x40010
	s_add_co_i32 s8, s8, 1
	s_and_b32 s10, ttmp7, 0xffff
	s_add_co_i32 s9, s9, 1
	v_lshl_add_u32 v1, v8, 4, v10
	v_mov_b32_e32 v9, 0
	s_and_b32 s3, ttmp6, 15
	s_mul_i32 s8, ttmp9, s8
	s_mul_i32 s9, s10, s9
	s_bfe_u32 s11, ttmp6, 0x40004
	s_add_co_i32 s3, s3, s8
	s_add_co_i32 s11, s11, s9
	s_cmp_eq_u32 s2, 0
	v_dual_mov_b32 v5, v9 :: v_dual_lshrrev_b32 v4, 3, v1
	v_lshrrev_b32_e32 v2, 5, v1
	s_cselect_b32 s8, s10, s11
	s_cselect_b32 s2, ttmp9, s3
	s_lshl_b32 s36, s8, 5
	s_mov_b32 s37, s35
	s_load_b256 s[8:15], s[0:1], 0x58
	v_add_nc_u64_e32 v[12:13], s[36:37], v[4:5]
	v_dual_mov_b32 v3, v9 :: v_dual_bitop2_b32 v24, 31, v1 bitop3:0x40
	s_clause 0x2
	s_load_b128 s[28:31], s[0:1], 0x0
	s_load_b32 s41, s[0:1], 0x50
	s_load_b128 s[24:27], s[0:1], 0x78
	v_add_nc_u64_e32 v[18:19], s[36:37], v[8:9]
	s_ashr_i32 s3, s2, 31
	s_wait_kmcnt 0x0
	v_mul_u64_e32 v[16:17], s[18:19], v[2:3]
	v_mul_u64_e32 v[14:15], s[4:5], v[12:13]
	s_lshl_b64 s[4:5], s[2:3], 5
	s_delay_alu instid0(SALU_CYCLE_1) | instskip(SKIP_1) | instid1(VALU_DEP_2)
	v_dual_mov_b32 v7, s5 :: v_dual_bitop2_b32 v0, 7, v0 bitop3:0x40
	v_dual_lshlrev_b32 v5, 2, v24 :: v_dual_bitop2_b32 v6, s4, v24 bitop3:0x54
	v_dual_mov_b32 v11, v9 :: v_dual_lshlrev_b32 v22, 2, v0
	s_load_b96 s[36:38], s[0:1], 0x10
	v_mov_b32_e32 v1, v9
	s_delay_alu instid0(VALU_DEP_3)
	v_lshl_or_b32 v28, v2, 7, v5
	v_lshl_add_u32 v30, v8, 5, 0x400
	v_mul_u64_e32 v[20:21], s[10:11], v[18:19]
	v_lshl_or_b32 v22, v4, 5, v22
	s_wait_xcnt 0x0
	v_cmp_gt_i64_e64 s0, s[28:29], v[6:7]
	v_add_nc_u64_e32 v[6:7], s[4:5], v[10:11]
	v_mul_u64_e32 v[4:5], s[24:25], v[18:19]
	s_cmp_eq_f32 s41, 0
	v_lshlrev_b32_e32 v8, 1, v0
	v_cmp_gt_i64_e64 s1, s[30:31], v[12:13]
	v_add_nc_u32_e32 v29, 0x400, v22
	s_cselect_b32 s39, -1, 0
	v_add_nc_u64_e32 v[12:13], 16, v[6:7]
	s_lshl_b64 s[2:3], s[2:3], 6
	v_add_nc_u64_e32 v[22:23], 16, v[18:19]
	v_lshlrev_b32_e32 v31, 2, v10
	s_lshl_b64 s[24:25], s[24:25], 4
	s_lshl_b64 s[10:11], s[10:11], 4
	s_wait_kmcnt 0x0
	s_mov_b32 s40, s38
	v_cmp_gt_i64_e64 s4, s[28:29], v[12:13]
	s_lshl_b64 s[6:7], s[6:7], 1
	v_lshl_add_u64 v[16:17], v[16:17], 1, s[2:3]
	v_lshl_add_u64 v[14:15], v[14:15], 1, v[8:9]
	v_lshlrev_b32_e32 v8, 1, v24
	v_cmp_gt_i64_e64 s2, s[30:31], v[18:19]
	v_cmp_gt_i64_e64 s3, s[28:29], v[6:7]
	;; [unrolled: 1-line block ×3, first 2 shown]
	v_add_nc_u64_e32 v[10:11], s[22:23], v[14:15]
	v_add_nc_u64_e32 v[12:13], v[16:17], v[8:9]
	v_cmp_gt_i64_e64 s22, s[36:37], 0
	v_lshl_add_u64 v[8:9], v[20:21], 2, s[8:9]
	s_delay_alu instid0(VALU_DEP_3)
	v_add_nc_u64_e32 v[12:13], s[16:17], v[12:13]
	s_lshl_b64 s[8:9], s[20:21], 1
	s_lshl_b64 s[16:17], s[18:19], 4
	s_branch .LBB408_4
.LBB408_2:                              ;   in Loop: Header=BB408_4 Depth=1
	s_wait_xcnt 0x0
	s_or_b32 exec_lo, exec_lo, s20
.LBB408_3:                              ;   in Loop: Header=BB408_4 Depth=1
	s_add_co_i32 s34, s34, 0x10000
	s_delay_alu instid0(SALU_CYCLE_1)
	s_cmp_lt_i32 s34, s33
	s_cbranch_scc0 .LBB408_34
.LBB408_4:                              ; =>This Loop Header: Depth=1
                                        ;     Child Loop BB408_7 Depth 2
	v_dual_mov_b32 v17, 0 :: v_dual_mov_b32 v16, 0
	v_dual_mov_b32 v15, 0 :: v_dual_mov_b32 v14, 0
	s_and_not1_b32 vcc_lo, exec_lo, s22
	s_cbranch_vccnz .LBB408_11
; %bb.5:                                ;   in Loop: Header=BB408_4 Depth=1
	v_mad_nc_u64_u32 v[18:19], s6, s34, v[10:11]
	v_mad_nc_u64_u32 v[20:21], s8, s34, v[12:13]
	v_mov_b32_e32 v16, 0
	s_mov_b64 s[18:19], 0
	s_delay_alu instid0(VALU_DEP_1)
	v_dual_mov_b32 v17, v16 :: v_dual_mov_b32 v14, v16
	v_mov_b32_e32 v15, v16
	v_mad_u32 v19, s7, s34, v19
	v_mad_u32 v21, s9, s34, v21
	s_branch .LBB408_7
.LBB408_6:                              ;   in Loop: Header=BB408_7 Depth=2
	s_wait_xcnt 0x0
	s_or_b32 exec_lo, exec_lo, s20
	ds_store_b32 v29, v23
	s_wait_dscnt 0x0
	s_barrier_signal -1
	s_barrier_wait -1
	ds_load_b128 v[22:25], v30
	ds_load_2addr_b32 v[26:27], v31 offset1:16
	ds_load_b128 v[32:35], v30 offset:512
	ds_load_2addr_b32 v[44:45], v31 offset0:32 offset1:48
	ds_load_2addr_b32 v[46:47], v31 offset0:64 offset1:80
	ds_load_2addr_b32 v[48:49], v31 offset0:96 offset1:112
	ds_load_b128 v[36:39], v30 offset:16
	ds_load_2addr_b32 v[50:51], v31 offset0:128 offset1:144
	ds_load_b128 v[40:43], v30 offset:528
	s_add_nc_u64 s[18:19], s[18:19], 8
	v_add_nc_u64_e32 v[18:19], 16, v[18:19]
	v_cmp_lt_i64_e64 s20, s[18:19], s[36:37]
	v_add_nc_u64_e32 v[20:21], s[16:17], v[20:21]
	s_and_b32 vcc_lo, exec_lo, s20
	s_wait_dscnt 0x7
	v_pk_fma_f32 v[16:17], v[26:27], v[22:23], v[16:17] op_sel_hi:[1,0,1]
	s_wait_dscnt 0x6
	v_pk_fma_f32 v[14:15], v[26:27], v[32:33], v[14:15] op_sel_hi:[1,0,1]
	ds_load_2addr_b32 v[26:27], v31 offset0:160 offset1:176
	s_wait_dscnt 0x6
	v_pk_fma_f32 v[16:17], v[44:45], v[22:23], v[16:17] op_sel:[0,1,0]
	v_pk_fma_f32 v[14:15], v[44:45], v[32:33], v[14:15] op_sel:[0,1,0]
	ds_load_2addr_b32 v[22:23], v31 offset0:192 offset1:208
	v_dual_mov_b32 v32, v25 :: v_dual_mov_b32 v44, v35
	s_wait_dscnt 0x6
	v_pk_fma_f32 v[16:17], v[46:47], v[24:25], v[16:17] op_sel_hi:[1,0,1]
	v_pk_fma_f32 v[14:15], v[46:47], v[34:35], v[14:15] op_sel_hi:[1,0,1]
	ds_load_2addr_b32 v[24:25], v31 offset0:224 offset1:240
	s_wait_dscnt 0x0
	s_barrier_signal -1
	v_pk_fma_f32 v[16:17], v[48:49], v[32:33], v[16:17] op_sel_hi:[1,0,1]
	v_pk_fma_f32 v[14:15], v[48:49], v[44:45], v[14:15] op_sel_hi:[1,0,1]
	s_barrier_wait -1
	v_mov_b32_e32 v32, v43
	s_delay_alu instid0(VALU_DEP_3) | instskip(NEXT) | instid1(VALU_DEP_3)
	v_pk_fma_f32 v[16:17], v[50:51], v[36:37], v[16:17] op_sel_hi:[1,0,1]
	v_pk_fma_f32 v[14:15], v[50:51], v[40:41], v[14:15] op_sel_hi:[1,0,1]
	s_delay_alu instid0(VALU_DEP_2) | instskip(NEXT) | instid1(VALU_DEP_2)
	v_pk_fma_f32 v[16:17], v[26:27], v[36:37], v[16:17] op_sel:[0,1,0]
	v_pk_fma_f32 v[14:15], v[26:27], v[40:41], v[14:15] op_sel:[0,1,0]
	v_mov_b32_e32 v26, v39
	s_delay_alu instid0(VALU_DEP_3) | instskip(NEXT) | instid1(VALU_DEP_3)
	v_pk_fma_f32 v[16:17], v[22:23], v[38:39], v[16:17] op_sel_hi:[1,0,1]
	v_pk_fma_f32 v[14:15], v[22:23], v[42:43], v[14:15] op_sel_hi:[1,0,1]
	s_delay_alu instid0(VALU_DEP_2) | instskip(NEXT) | instid1(VALU_DEP_2)
	v_pk_fma_f32 v[16:17], v[24:25], v[26:27], v[16:17] op_sel_hi:[1,0,1]
	v_pk_fma_f32 v[14:15], v[24:25], v[32:33], v[14:15] op_sel_hi:[1,0,1]
	s_cbranch_vccz .LBB408_11
.LBB408_7:                              ;   Parent Loop BB408_4 Depth=1
                                        ; =>  This Inner Loop Header: Depth=2
	v_add_nc_u64_e32 v[22:23], s[18:19], v[2:3]
	s_delay_alu instid0(VALU_DEP_1) | instskip(SKIP_2) | instid1(SALU_CYCLE_1)
	v_cmp_gt_i64_e32 vcc_lo, s[36:37], v[22:23]
	v_mov_b32_e32 v22, 0
	s_and_b32 s21, s0, vcc_lo
	s_and_saveexec_b32 s20, s21
	s_cbranch_execz .LBB408_9
; %bb.8:                                ;   in Loop: Header=BB408_7 Depth=2
	global_load_u16 v22, v[20:21], off
	s_wait_loadcnt 0x0
	v_cvt_f32_f16_e32 v22, v22
.LBB408_9:                              ;   in Loop: Header=BB408_7 Depth=2
	s_wait_xcnt 0x0
	s_or_b32 exec_lo, exec_lo, s20
	v_add_nc_u64_e32 v[24:25], s[18:19], v[0:1]
	v_mov_b32_e32 v23, 0
	ds_store_b32 v28, v22
	v_cmp_gt_i64_e32 vcc_lo, s[36:37], v[24:25]
	s_and_b32 s21, vcc_lo, s1
	s_delay_alu instid0(SALU_CYCLE_1)
	s_and_saveexec_b32 s20, s21
	s_cbranch_execz .LBB408_6
; %bb.10:                               ;   in Loop: Header=BB408_7 Depth=2
	global_load_u16 v22, v[18:19], off
	s_wait_loadcnt 0x0
	v_cvt_f32_f16_e32 v23, v22
	s_branch .LBB408_6
.LBB408_11:                             ;   in Loop: Header=BB408_4 Depth=1
	s_mul_u64 s[18:19], s[26:27], s[34:35]
	s_and_not1_b32 vcc_lo, exec_lo, s39
	s_lshl_b64 s[18:19], s[18:19], 2
	s_delay_alu instid0(SALU_CYCLE_1)
	s_add_nc_u64 s[18:19], s[14:15], s[18:19]
	s_cbranch_vccnz .LBB408_16
; %bb.12:                               ;   in Loop: Header=BB408_4 Depth=1
	s_and_saveexec_b32 s20, s2
	s_cbranch_execz .LBB408_23
; %bb.13:                               ;   in Loop: Header=BB408_4 Depth=1
	v_lshl_add_u64 v[18:19], v[4:5], 2, s[18:19]
	s_delay_alu instid0(VALU_DEP_1)
	v_lshl_add_u64 v[20:21], v[6:7], 2, v[18:19]
	s_and_saveexec_b32 s21, s3
	s_cbranch_execnz .LBB408_17
; %bb.14:                               ;   in Loop: Header=BB408_4 Depth=1
	s_or_b32 exec_lo, exec_lo, s21
	s_and_saveexec_b32 s21, s4
	s_cbranch_execnz .LBB408_18
.LBB408_15:                             ;   in Loop: Header=BB408_4 Depth=1
	s_or_b32 exec_lo, exec_lo, s21
	s_delay_alu instid0(SALU_CYCLE_1)
	s_and_b32 exec_lo, exec_lo, s5
	s_cbranch_execnz .LBB408_19
	s_branch .LBB408_23
.LBB408_16:                             ;   in Loop: Header=BB408_4 Depth=1
	s_branch .LBB408_24
.LBB408_17:                             ;   in Loop: Header=BB408_4 Depth=1
	v_mul_f32_e32 v22, s38, v16
	global_store_b32 v[20:21], v22, off
	s_wait_xcnt 0x0
	s_or_b32 exec_lo, exec_lo, s21
	s_and_saveexec_b32 s21, s4
	s_cbranch_execz .LBB408_15
.LBB408_18:                             ;   in Loop: Header=BB408_4 Depth=1
	v_mul_f32_e32 v22, s38, v17
	global_store_b32 v[20:21], v22, off offset:64
	s_wait_xcnt 0x0
	s_or_b32 exec_lo, exec_lo, s21
	s_delay_alu instid0(SALU_CYCLE_1)
	s_and_b32 exec_lo, exec_lo, s5
	s_cbranch_execz .LBB408_23
.LBB408_19:                             ;   in Loop: Header=BB408_4 Depth=1
	v_lshl_add_u64 v[18:19], s[24:25], 2, v[18:19]
	s_delay_alu instid0(VALU_DEP_1)
	v_lshl_add_u64 v[18:19], v[6:7], 2, v[18:19]
	s_and_saveexec_b32 s21, s3
	s_cbranch_execz .LBB408_21
; %bb.20:                               ;   in Loop: Header=BB408_4 Depth=1
	v_mul_f32_e32 v20, s38, v14
	global_store_b32 v[18:19], v20, off
.LBB408_21:                             ;   in Loop: Header=BB408_4 Depth=1
	s_wait_xcnt 0x0
	s_or_b32 exec_lo, exec_lo, s21
	s_delay_alu instid0(SALU_CYCLE_1)
	s_and_b32 exec_lo, exec_lo, s4
	s_cbranch_execz .LBB408_23
; %bb.22:                               ;   in Loop: Header=BB408_4 Depth=1
	v_mul_f32_e32 v20, s38, v15
	global_store_b32 v[18:19], v20, off offset:64
.LBB408_23:                             ;   in Loop: Header=BB408_4 Depth=1
	s_wait_xcnt 0x0
	s_or_b32 exec_lo, exec_lo, s20
	s_cbranch_execnz .LBB408_3
.LBB408_24:                             ;   in Loop: Header=BB408_4 Depth=1
	s_and_saveexec_b32 s20, s2
	s_cbranch_execz .LBB408_2
; %bb.25:                               ;   in Loop: Header=BB408_4 Depth=1
	s_mul_u64 s[28:29], s[12:13], s[34:35]
	v_lshlrev_b64_e32 v[18:19], 2, v[6:7]
	v_lshl_add_u64 v[20:21], s[28:29], 2, v[8:9]
	v_lshl_add_u64 v[22:23], v[4:5], 2, s[18:19]
	s_delay_alu instid0(VALU_DEP_2) | instskip(NEXT) | instid1(VALU_DEP_2)
	v_add_nc_u64_e32 v[26:27], v[20:21], v[18:19]
	v_add_nc_u64_e32 v[24:25], v[22:23], v[18:19]
	s_and_saveexec_b32 s18, s3
	s_cbranch_execnz .LBB408_28
; %bb.26:                               ;   in Loop: Header=BB408_4 Depth=1
	s_or_b32 exec_lo, exec_lo, s18
	s_and_saveexec_b32 s18, s4
	s_cbranch_execnz .LBB408_29
.LBB408_27:                             ;   in Loop: Header=BB408_4 Depth=1
	s_or_b32 exec_lo, exec_lo, s18
	s_delay_alu instid0(SALU_CYCLE_1)
	s_and_b32 exec_lo, exec_lo, s5
	s_cbranch_execz .LBB408_2
	s_branch .LBB408_30
.LBB408_28:                             ;   in Loop: Header=BB408_4 Depth=1
	global_load_b32 v33, v[26:27], off
	v_mov_b64_e32 v[34:35], s[40:41]
	v_mov_b32_e32 v32, v16
	s_wait_loadcnt 0x0
	s_delay_alu instid0(VALU_DEP_1) | instskip(NEXT) | instid1(VALU_DEP_1)
	v_pk_mul_f32 v[32:33], v[34:35], v[32:33]
	v_add_f32_e32 v16, v32, v33
	global_store_b32 v[24:25], v16, off
	s_wait_xcnt 0x0
	s_or_b32 exec_lo, exec_lo, s18
	s_and_saveexec_b32 s18, s4
	s_cbranch_execz .LBB408_27
.LBB408_29:                             ;   in Loop: Header=BB408_4 Depth=1
	global_load_b32 v27, v[26:27], off offset:64
	s_wait_xcnt 0x0
	v_mov_b32_e32 v26, v17
	v_mov_b64_e32 v[16:17], s[40:41]
	s_wait_loadcnt 0x0
	s_delay_alu instid0(VALU_DEP_1) | instskip(NEXT) | instid1(VALU_DEP_1)
	v_pk_mul_f32 v[16:17], v[16:17], v[26:27]
	v_add_f32_e32 v16, v16, v17
	global_store_b32 v[24:25], v16, off offset:64
	s_wait_xcnt 0x0
	s_or_b32 exec_lo, exec_lo, s18
	s_delay_alu instid0(SALU_CYCLE_1)
	s_and_b32 exec_lo, exec_lo, s5
	s_cbranch_execz .LBB408_2
.LBB408_30:                             ;   in Loop: Header=BB408_4 Depth=1
	v_lshl_add_u64 v[16:17], s[10:11], 2, v[20:21]
	v_lshl_add_u64 v[22:23], s[24:25], 2, v[22:23]
	s_delay_alu instid0(VALU_DEP_2) | instskip(NEXT) | instid1(VALU_DEP_2)
	v_add_nc_u64_e32 v[20:21], v[16:17], v[18:19]
	v_add_nc_u64_e32 v[16:17], v[22:23], v[18:19]
	s_and_saveexec_b32 s18, s3
	s_cbranch_execz .LBB408_32
; %bb.31:                               ;   in Loop: Header=BB408_4 Depth=1
	global_load_b32 v19, v[20:21], off
	v_mov_b64_e32 v[22:23], s[40:41]
	v_mov_b32_e32 v18, v14
	s_wait_loadcnt 0x0
	s_delay_alu instid0(VALU_DEP_1) | instskip(NEXT) | instid1(VALU_DEP_1)
	v_pk_mul_f32 v[18:19], v[22:23], v[18:19]
	v_add_f32_e32 v14, v18, v19
	global_store_b32 v[16:17], v14, off
.LBB408_32:                             ;   in Loop: Header=BB408_4 Depth=1
	s_wait_xcnt 0x0
	s_or_b32 exec_lo, exec_lo, s18
	s_delay_alu instid0(SALU_CYCLE_1)
	s_and_b32 exec_lo, exec_lo, s4
	s_cbranch_execz .LBB408_2
; %bb.33:                               ;   in Loop: Header=BB408_4 Depth=1
	global_load_b32 v19, v[20:21], off offset:64
	v_mov_b32_e32 v18, v15
	v_mov_b64_e32 v[14:15], s[40:41]
	s_wait_loadcnt 0x0
	s_delay_alu instid0(VALU_DEP_1) | instskip(NEXT) | instid1(VALU_DEP_1)
	v_pk_mul_f32 v[14:15], v[14:15], v[18:19]
	v_add_f32_e32 v14, v14, v15
	global_store_b32 v[16:17], v14, off offset:64
	s_branch .LBB408_2
.LBB408_34:
	s_endpgm
	.section	.rodata,"a",@progbits
	.p2align	6, 0x0
	.amdhsa_kernel _ZN12_GLOBAL__N_135rocblas_gemm_batched_general_kernelIfLi16ELi16ELi32ELi32ELi8ELi32ELi8ELi8ELi32ELc78ELc78EKDF16_KffEEvlllT_PT11_llS5_llS3_PT12_llPT13_lli
		.amdhsa_group_segment_fixed_size 2048
		.amdhsa_private_segment_fixed_size 0
		.amdhsa_kernarg_size 140
		.amdhsa_user_sgpr_count 2
		.amdhsa_user_sgpr_dispatch_ptr 0
		.amdhsa_user_sgpr_queue_ptr 0
		.amdhsa_user_sgpr_kernarg_segment_ptr 1
		.amdhsa_user_sgpr_dispatch_id 0
		.amdhsa_user_sgpr_kernarg_preload_length 0
		.amdhsa_user_sgpr_kernarg_preload_offset 0
		.amdhsa_user_sgpr_private_segment_size 0
		.amdhsa_wavefront_size32 1
		.amdhsa_uses_dynamic_stack 0
		.amdhsa_enable_private_segment 0
		.amdhsa_system_sgpr_workgroup_id_x 1
		.amdhsa_system_sgpr_workgroup_id_y 1
		.amdhsa_system_sgpr_workgroup_id_z 1
		.amdhsa_system_sgpr_workgroup_info 0
		.amdhsa_system_vgpr_workitem_id 1
		.amdhsa_next_free_vgpr 52
		.amdhsa_next_free_sgpr 42
		.amdhsa_named_barrier_count 0
		.amdhsa_reserve_vcc 1
		.amdhsa_float_round_mode_32 0
		.amdhsa_float_round_mode_16_64 0
		.amdhsa_float_denorm_mode_32 3
		.amdhsa_float_denorm_mode_16_64 3
		.amdhsa_fp16_overflow 0
		.amdhsa_memory_ordered 1
		.amdhsa_forward_progress 1
		.amdhsa_inst_pref_size 14
		.amdhsa_round_robin_scheduling 0
		.amdhsa_exception_fp_ieee_invalid_op 0
		.amdhsa_exception_fp_denorm_src 0
		.amdhsa_exception_fp_ieee_div_zero 0
		.amdhsa_exception_fp_ieee_overflow 0
		.amdhsa_exception_fp_ieee_underflow 0
		.amdhsa_exception_fp_ieee_inexact 0
		.amdhsa_exception_int_div_zero 0
	.end_amdhsa_kernel
	.section	.text._ZN12_GLOBAL__N_135rocblas_gemm_batched_general_kernelIfLi16ELi16ELi32ELi32ELi8ELi32ELi8ELi8ELi32ELc78ELc78EKDF16_KffEEvlllT_PT11_llS5_llS3_PT12_llPT13_lli,"axG",@progbits,_ZN12_GLOBAL__N_135rocblas_gemm_batched_general_kernelIfLi16ELi16ELi32ELi32ELi8ELi32ELi8ELi8ELi32ELc78ELc78EKDF16_KffEEvlllT_PT11_llS5_llS3_PT12_llPT13_lli,comdat
.Lfunc_end408:
	.size	_ZN12_GLOBAL__N_135rocblas_gemm_batched_general_kernelIfLi16ELi16ELi32ELi32ELi8ELi32ELi8ELi8ELi32ELc78ELc78EKDF16_KffEEvlllT_PT11_llS5_llS3_PT12_llPT13_lli, .Lfunc_end408-_ZN12_GLOBAL__N_135rocblas_gemm_batched_general_kernelIfLi16ELi16ELi32ELi32ELi8ELi32ELi8ELi8ELi32ELc78ELc78EKDF16_KffEEvlllT_PT11_llS5_llS3_PT12_llPT13_lli
                                        ; -- End function
	.set _ZN12_GLOBAL__N_135rocblas_gemm_batched_general_kernelIfLi16ELi16ELi32ELi32ELi8ELi32ELi8ELi8ELi32ELc78ELc78EKDF16_KffEEvlllT_PT11_llS5_llS3_PT12_llPT13_lli.num_vgpr, 52
	.set _ZN12_GLOBAL__N_135rocblas_gemm_batched_general_kernelIfLi16ELi16ELi32ELi32ELi8ELi32ELi8ELi8ELi32ELc78ELc78EKDF16_KffEEvlllT_PT11_llS5_llS3_PT12_llPT13_lli.num_agpr, 0
	.set _ZN12_GLOBAL__N_135rocblas_gemm_batched_general_kernelIfLi16ELi16ELi32ELi32ELi8ELi32ELi8ELi8ELi32ELc78ELc78EKDF16_KffEEvlllT_PT11_llS5_llS3_PT12_llPT13_lli.numbered_sgpr, 42
	.set _ZN12_GLOBAL__N_135rocblas_gemm_batched_general_kernelIfLi16ELi16ELi32ELi32ELi8ELi32ELi8ELi8ELi32ELc78ELc78EKDF16_KffEEvlllT_PT11_llS5_llS3_PT12_llPT13_lli.num_named_barrier, 0
	.set _ZN12_GLOBAL__N_135rocblas_gemm_batched_general_kernelIfLi16ELi16ELi32ELi32ELi8ELi32ELi8ELi8ELi32ELc78ELc78EKDF16_KffEEvlllT_PT11_llS5_llS3_PT12_llPT13_lli.private_seg_size, 0
	.set _ZN12_GLOBAL__N_135rocblas_gemm_batched_general_kernelIfLi16ELi16ELi32ELi32ELi8ELi32ELi8ELi8ELi32ELc78ELc78EKDF16_KffEEvlllT_PT11_llS5_llS3_PT12_llPT13_lli.uses_vcc, 1
	.set _ZN12_GLOBAL__N_135rocblas_gemm_batched_general_kernelIfLi16ELi16ELi32ELi32ELi8ELi32ELi8ELi8ELi32ELc78ELc78EKDF16_KffEEvlllT_PT11_llS5_llS3_PT12_llPT13_lli.uses_flat_scratch, 0
	.set _ZN12_GLOBAL__N_135rocblas_gemm_batched_general_kernelIfLi16ELi16ELi32ELi32ELi8ELi32ELi8ELi8ELi32ELc78ELc78EKDF16_KffEEvlllT_PT11_llS5_llS3_PT12_llPT13_lli.has_dyn_sized_stack, 0
	.set _ZN12_GLOBAL__N_135rocblas_gemm_batched_general_kernelIfLi16ELi16ELi32ELi32ELi8ELi32ELi8ELi8ELi32ELc78ELc78EKDF16_KffEEvlllT_PT11_llS5_llS3_PT12_llPT13_lli.has_recursion, 0
	.set _ZN12_GLOBAL__N_135rocblas_gemm_batched_general_kernelIfLi16ELi16ELi32ELi32ELi8ELi32ELi8ELi8ELi32ELc78ELc78EKDF16_KffEEvlllT_PT11_llS5_llS3_PT12_llPT13_lli.has_indirect_call, 0
	.section	.AMDGPU.csdata,"",@progbits
; Kernel info:
; codeLenInByte = 1772
; TotalNumSgprs: 44
; NumVgprs: 52
; ScratchSize: 0
; MemoryBound: 0
; FloatMode: 240
; IeeeMode: 1
; LDSByteSize: 2048 bytes/workgroup (compile time only)
; SGPRBlocks: 0
; VGPRBlocks: 3
; NumSGPRsForWavesPerEU: 44
; NumVGPRsForWavesPerEU: 52
; NamedBarCnt: 0
; Occupancy: 16
; WaveLimiterHint : 0
; COMPUTE_PGM_RSRC2:SCRATCH_EN: 0
; COMPUTE_PGM_RSRC2:USER_SGPR: 2
; COMPUTE_PGM_RSRC2:TRAP_HANDLER: 0
; COMPUTE_PGM_RSRC2:TGID_X_EN: 1
; COMPUTE_PGM_RSRC2:TGID_Y_EN: 1
; COMPUTE_PGM_RSRC2:TGID_Z_EN: 1
; COMPUTE_PGM_RSRC2:TIDIG_COMP_CNT: 1
	.section	.text._ZN12_GLOBAL__N_135rocblas_gemm_batched_general_kernelIfLi16ELi16ELi32ELi32ELi8ELi32ELi8ELi8ELi32ELc84ELc78EKDF16_KffEEvlllT_PT11_llS5_llS3_PT12_llPT13_lli,"axG",@progbits,_ZN12_GLOBAL__N_135rocblas_gemm_batched_general_kernelIfLi16ELi16ELi32ELi32ELi8ELi32ELi8ELi8ELi32ELc84ELc78EKDF16_KffEEvlllT_PT11_llS5_llS3_PT12_llPT13_lli,comdat
	.globl	_ZN12_GLOBAL__N_135rocblas_gemm_batched_general_kernelIfLi16ELi16ELi32ELi32ELi8ELi32ELi8ELi8ELi32ELc84ELc78EKDF16_KffEEvlllT_PT11_llS5_llS3_PT12_llPT13_lli ; -- Begin function _ZN12_GLOBAL__N_135rocblas_gemm_batched_general_kernelIfLi16ELi16ELi32ELi32ELi8ELi32ELi8ELi8ELi32ELc84ELc78EKDF16_KffEEvlllT_PT11_llS5_llS3_PT12_llPT13_lli
	.p2align	8
	.type	_ZN12_GLOBAL__N_135rocblas_gemm_batched_general_kernelIfLi16ELi16ELi32ELi32ELi8ELi32ELi8ELi8ELi32ELc84ELc78EKDF16_KffEEvlllT_PT11_llS5_llS3_PT12_llPT13_lli,@function
_ZN12_GLOBAL__N_135rocblas_gemm_batched_general_kernelIfLi16ELi16ELi32ELi32ELi8ELi32ELi8ELi8ELi32ELc84ELc78EKDF16_KffEEvlllT_PT11_llS5_llS3_PT12_llPT13_lli: ; @_ZN12_GLOBAL__N_135rocblas_gemm_batched_general_kernelIfLi16ELi16ELi32ELi32ELi8ELi32ELi8ELi8ELi32ELc84ELc78EKDF16_KffEEvlllT_PT11_llS5_llS3_PT12_llPT13_lli
; %bb.0:
	s_load_b32 s33, s[0:1], 0x88
	s_bfe_u32 s2, ttmp6, 0x40014
	s_lshr_b32 s3, ttmp7, 16
	s_add_co_i32 s2, s2, 1
	s_bfe_u32 s5, ttmp6, 0x40008
	s_mul_i32 s4, s3, s2
	s_getreg_b32 s2, hwreg(HW_REG_IB_STS2, 6, 4)
	s_add_co_i32 s5, s5, s4
	s_cmp_eq_u32 s2, 0
	s_mov_b32 s35, 0
	s_cselect_b32 s34, s3, s5
	s_wait_kmcnt 0x0
	s_cmp_ge_i32 s34, s33
	s_cbranch_scc1 .LBB409_34
; %bb.1:
	v_bfe_u32 v8, v0, 10, 10
	v_and_b32_e32 v10, 0x3ff, v0
	s_bfe_u32 s3, ttmp6, 0x4000c
	s_bfe_u32 s25, ttmp6, 0x40010
	s_clause 0x2
	s_load_b256 s[16:23], s[0:1], 0x20
	s_load_b128 s[4:7], s[0:1], 0x40
	s_load_b256 s[8:15], s[0:1], 0x58
	s_add_co_i32 s3, s3, 1
	s_and_b32 s26, ttmp7, 0xffff
	s_add_co_i32 s25, s25, 1
	v_lshl_add_u32 v1, v8, 4, v10
	v_mov_b32_e32 v9, 0
	s_and_b32 s24, ttmp6, 15
	s_mul_i32 s3, ttmp9, s3
	s_mul_i32 s25, s26, s25
	s_bfe_u32 s27, ttmp6, 0x40004
	s_add_co_i32 s24, s24, s3
	s_add_co_i32 s27, s27, s25
	s_cmp_eq_u32 s2, 0
	v_dual_mov_b32 v7, v9 :: v_dual_lshrrev_b32 v6, 3, v1
	v_and_b32_e32 v4, 31, v1
	s_cselect_b32 s3, s26, s27
	s_cselect_b32 s2, ttmp9, s24
	s_lshl_b32 s36, s3, 5
	s_mov_b32 s37, s35
	s_ashr_i32 s3, s2, 31
	v_add_nc_u64_e32 v[12:13], s[36:37], v[6:7]
	s_clause 0x1
	s_load_b32 s41, s[0:1], 0x50
	s_load_b128 s[24:27], s[0:1], 0x78
	s_lshl_b64 s[2:3], s[2:3], 5
	v_add_nc_u64_e32 v[18:19], s[36:37], v[8:9]
	v_dual_mov_b32 v15, s3 :: v_dual_bitop2_b32 v14, s2, v4 bitop3:0x54
	s_wait_kmcnt 0x0
	v_mul_u64_e32 v[16:17], s[4:5], v[12:13]
	s_clause 0x1
	s_load_b128 s[28:31], s[0:1], 0x0
	s_load_b96 s[36:38], s[0:1], 0x10
	v_dual_mov_b32 v3, v9 :: v_dual_lshlrev_b32 v24, 2, v4
	v_mul_u64_e32 v[20:21], s[18:19], v[14:15]
	v_mul_u64_e32 v[22:23], s[10:11], v[18:19]
	v_dual_mov_b32 v11, v9 :: v_dual_bitop2_b32 v0, 7, v0 bitop3:0x40
	v_dual_mov_b32 v1, v9 :: v_dual_lshrrev_b32 v2, 5, v1
	v_lshl_add_u32 v30, v8, 5, 0x400
	s_delay_alu instid0(VALU_DEP_3) | instskip(SKIP_3) | instid1(VALU_DEP_3)
	v_dual_lshlrev_b32 v7, 2, v0 :: v_dual_lshlrev_b32 v8, 1, v0
	v_lshlrev_b32_e32 v31, 2, v10
	v_mul_u64_e32 v[4:5], s[24:25], v[18:19]
	s_cmp_eq_f32 s41, 0
	v_lshl_or_b32 v25, v6, 5, v7
	v_add_nc_u64_e32 v[6:7], s[2:3], v[10:11]
	v_lshl_or_b32 v28, v2, 7, v24
	s_cselect_b32 s39, -1, 0
	s_wait_kmcnt 0x0
	v_cmp_gt_i64_e64 s1, s[30:31], v[12:13]
	v_add_nc_u64_e32 v[12:13], 16, v[18:19]
	v_cmp_gt_i64_e64 s0, s[28:29], v[14:15]
	v_cmp_gt_i64_e64 s2, s[30:31], v[18:19]
	v_add_nc_u64_e32 v[10:11], 16, v[6:7]
	v_cmp_gt_i64_e64 s3, s[28:29], v[6:7]
	v_add_nc_u32_e32 v29, 0x400, v25
	s_lshl_b64 s[18:19], s[24:25], 4
	v_cmp_gt_i64_e64 s5, s[30:31], v[12:13]
	s_mov_b32 s40, s38
	s_lshl_b64 s[6:7], s[6:7], 1
	v_lshl_add_u64 v[14:15], v[16:17], 1, v[8:9]
	v_lshlrev_b32_e32 v8, 1, v2
	v_cmp_gt_i64_e64 s4, s[28:29], v[10:11]
	s_delay_alu instid0(VALU_DEP_3) | instskip(NEXT) | instid1(VALU_DEP_3)
	v_add_nc_u64_e32 v[10:11], s[22:23], v[14:15]
	v_lshl_add_u64 v[12:13], v[20:21], 1, v[8:9]
	v_cmp_gt_i64_e64 s22, s[36:37], 0
	v_lshl_add_u64 v[8:9], v[22:23], 2, s[8:9]
	s_lshl_b64 s[8:9], s[10:11], 4
	s_lshl_b64 s[10:11], s[20:21], 1
	v_add_nc_u64_e32 v[12:13], s[16:17], v[12:13]
	s_branch .LBB409_4
.LBB409_2:                              ;   in Loop: Header=BB409_4 Depth=1
	s_wait_xcnt 0x0
	s_or_b32 exec_lo, exec_lo, s20
.LBB409_3:                              ;   in Loop: Header=BB409_4 Depth=1
	s_add_co_i32 s34, s34, 0x10000
	s_delay_alu instid0(SALU_CYCLE_1)
	s_cmp_lt_i32 s34, s33
	s_cbranch_scc0 .LBB409_34
.LBB409_4:                              ; =>This Loop Header: Depth=1
                                        ;     Child Loop BB409_7 Depth 2
	v_dual_mov_b32 v17, 0 :: v_dual_mov_b32 v16, 0
	v_dual_mov_b32 v15, 0 :: v_dual_mov_b32 v14, 0
	s_and_not1_b32 vcc_lo, exec_lo, s22
	s_cbranch_vccnz .LBB409_11
; %bb.5:                                ;   in Loop: Header=BB409_4 Depth=1
	v_mad_nc_u64_u32 v[18:19], s6, s34, v[10:11]
	v_mad_nc_u64_u32 v[20:21], s10, s34, v[12:13]
	v_mov_b32_e32 v16, 0
	s_mov_b64 s[16:17], 0
	s_delay_alu instid0(VALU_DEP_1)
	v_dual_mov_b32 v17, v16 :: v_dual_mov_b32 v14, v16
	v_mov_b32_e32 v15, v16
	v_mad_u32 v19, s7, s34, v19
	v_mad_u32 v21, s11, s34, v21
	s_branch .LBB409_7
.LBB409_6:                              ;   in Loop: Header=BB409_7 Depth=2
	s_wait_xcnt 0x0
	s_or_b32 exec_lo, exec_lo, s20
	ds_store_b32 v29, v23
	s_wait_dscnt 0x0
	s_barrier_signal -1
	s_barrier_wait -1
	ds_load_b128 v[22:25], v30
	ds_load_2addr_b32 v[26:27], v31 offset1:16
	ds_load_b128 v[32:35], v30 offset:512
	ds_load_2addr_b32 v[44:45], v31 offset0:32 offset1:48
	ds_load_2addr_b32 v[46:47], v31 offset0:64 offset1:80
	ds_load_2addr_b32 v[48:49], v31 offset0:96 offset1:112
	ds_load_b128 v[36:39], v30 offset:16
	ds_load_2addr_b32 v[50:51], v31 offset0:128 offset1:144
	ds_load_b128 v[40:43], v30 offset:528
	s_add_nc_u64 s[16:17], s[16:17], 8
	v_add_nc_u64_e32 v[18:19], 16, v[18:19]
	v_cmp_lt_i64_e64 s20, s[16:17], s[36:37]
	v_add_nc_u64_e32 v[20:21], 16, v[20:21]
	s_and_b32 vcc_lo, exec_lo, s20
	s_wait_dscnt 0x7
	v_pk_fma_f32 v[16:17], v[26:27], v[22:23], v[16:17] op_sel_hi:[1,0,1]
	s_wait_dscnt 0x6
	v_pk_fma_f32 v[14:15], v[26:27], v[32:33], v[14:15] op_sel_hi:[1,0,1]
	ds_load_2addr_b32 v[26:27], v31 offset0:160 offset1:176
	s_wait_dscnt 0x6
	v_pk_fma_f32 v[16:17], v[44:45], v[22:23], v[16:17] op_sel:[0,1,0]
	v_pk_fma_f32 v[14:15], v[44:45], v[32:33], v[14:15] op_sel:[0,1,0]
	ds_load_2addr_b32 v[22:23], v31 offset0:192 offset1:208
	v_dual_mov_b32 v32, v25 :: v_dual_mov_b32 v44, v35
	s_wait_dscnt 0x6
	v_pk_fma_f32 v[16:17], v[46:47], v[24:25], v[16:17] op_sel_hi:[1,0,1]
	v_pk_fma_f32 v[14:15], v[46:47], v[34:35], v[14:15] op_sel_hi:[1,0,1]
	ds_load_2addr_b32 v[24:25], v31 offset0:224 offset1:240
	s_wait_dscnt 0x0
	s_barrier_signal -1
	v_pk_fma_f32 v[16:17], v[48:49], v[32:33], v[16:17] op_sel_hi:[1,0,1]
	v_pk_fma_f32 v[14:15], v[48:49], v[44:45], v[14:15] op_sel_hi:[1,0,1]
	s_barrier_wait -1
	v_mov_b32_e32 v32, v43
	s_delay_alu instid0(VALU_DEP_3) | instskip(NEXT) | instid1(VALU_DEP_3)
	v_pk_fma_f32 v[16:17], v[50:51], v[36:37], v[16:17] op_sel_hi:[1,0,1]
	v_pk_fma_f32 v[14:15], v[50:51], v[40:41], v[14:15] op_sel_hi:[1,0,1]
	s_delay_alu instid0(VALU_DEP_2) | instskip(NEXT) | instid1(VALU_DEP_2)
	v_pk_fma_f32 v[16:17], v[26:27], v[36:37], v[16:17] op_sel:[0,1,0]
	v_pk_fma_f32 v[14:15], v[26:27], v[40:41], v[14:15] op_sel:[0,1,0]
	v_mov_b32_e32 v26, v39
	s_delay_alu instid0(VALU_DEP_3) | instskip(NEXT) | instid1(VALU_DEP_3)
	v_pk_fma_f32 v[16:17], v[22:23], v[38:39], v[16:17] op_sel_hi:[1,0,1]
	v_pk_fma_f32 v[14:15], v[22:23], v[42:43], v[14:15] op_sel_hi:[1,0,1]
	s_delay_alu instid0(VALU_DEP_2) | instskip(NEXT) | instid1(VALU_DEP_2)
	v_pk_fma_f32 v[16:17], v[24:25], v[26:27], v[16:17] op_sel_hi:[1,0,1]
	v_pk_fma_f32 v[14:15], v[24:25], v[32:33], v[14:15] op_sel_hi:[1,0,1]
	s_cbranch_vccz .LBB409_11
.LBB409_7:                              ;   Parent Loop BB409_4 Depth=1
                                        ; =>  This Inner Loop Header: Depth=2
	v_add_nc_u64_e32 v[22:23], s[16:17], v[2:3]
	s_delay_alu instid0(VALU_DEP_1) | instskip(SKIP_2) | instid1(SALU_CYCLE_1)
	v_cmp_gt_i64_e32 vcc_lo, s[36:37], v[22:23]
	v_mov_b32_e32 v22, 0
	s_and_b32 s21, s0, vcc_lo
	s_and_saveexec_b32 s20, s21
	s_cbranch_execz .LBB409_9
; %bb.8:                                ;   in Loop: Header=BB409_7 Depth=2
	global_load_u16 v22, v[20:21], off
	s_wait_loadcnt 0x0
	v_cvt_f32_f16_e32 v22, v22
.LBB409_9:                              ;   in Loop: Header=BB409_7 Depth=2
	s_wait_xcnt 0x0
	s_or_b32 exec_lo, exec_lo, s20
	v_add_nc_u64_e32 v[24:25], s[16:17], v[0:1]
	v_mov_b32_e32 v23, 0
	ds_store_b32 v28, v22
	v_cmp_gt_i64_e32 vcc_lo, s[36:37], v[24:25]
	s_and_b32 s21, vcc_lo, s1
	s_delay_alu instid0(SALU_CYCLE_1)
	s_and_saveexec_b32 s20, s21
	s_cbranch_execz .LBB409_6
; %bb.10:                               ;   in Loop: Header=BB409_7 Depth=2
	global_load_u16 v22, v[18:19], off
	s_wait_loadcnt 0x0
	v_cvt_f32_f16_e32 v23, v22
	s_branch .LBB409_6
.LBB409_11:                             ;   in Loop: Header=BB409_4 Depth=1
	s_mul_u64 s[16:17], s[26:27], s[34:35]
	s_and_not1_b32 vcc_lo, exec_lo, s39
	s_lshl_b64 s[16:17], s[16:17], 2
	s_delay_alu instid0(SALU_CYCLE_1)
	s_add_nc_u64 s[16:17], s[14:15], s[16:17]
	s_cbranch_vccnz .LBB409_16
; %bb.12:                               ;   in Loop: Header=BB409_4 Depth=1
	s_and_saveexec_b32 s20, s2
	s_cbranch_execz .LBB409_23
; %bb.13:                               ;   in Loop: Header=BB409_4 Depth=1
	v_lshl_add_u64 v[18:19], v[4:5], 2, s[16:17]
	s_delay_alu instid0(VALU_DEP_1)
	v_lshl_add_u64 v[20:21], v[6:7], 2, v[18:19]
	s_and_saveexec_b32 s21, s3
	s_cbranch_execnz .LBB409_17
; %bb.14:                               ;   in Loop: Header=BB409_4 Depth=1
	s_or_b32 exec_lo, exec_lo, s21
	s_and_saveexec_b32 s21, s4
	s_cbranch_execnz .LBB409_18
.LBB409_15:                             ;   in Loop: Header=BB409_4 Depth=1
	s_or_b32 exec_lo, exec_lo, s21
	s_delay_alu instid0(SALU_CYCLE_1)
	s_and_b32 exec_lo, exec_lo, s5
	s_cbranch_execnz .LBB409_19
	s_branch .LBB409_23
.LBB409_16:                             ;   in Loop: Header=BB409_4 Depth=1
	s_branch .LBB409_24
.LBB409_17:                             ;   in Loop: Header=BB409_4 Depth=1
	v_mul_f32_e32 v22, s38, v16
	global_store_b32 v[20:21], v22, off
	s_wait_xcnt 0x0
	s_or_b32 exec_lo, exec_lo, s21
	s_and_saveexec_b32 s21, s4
	s_cbranch_execz .LBB409_15
.LBB409_18:                             ;   in Loop: Header=BB409_4 Depth=1
	v_mul_f32_e32 v22, s38, v17
	global_store_b32 v[20:21], v22, off offset:64
	s_wait_xcnt 0x0
	s_or_b32 exec_lo, exec_lo, s21
	s_delay_alu instid0(SALU_CYCLE_1)
	s_and_b32 exec_lo, exec_lo, s5
	s_cbranch_execz .LBB409_23
.LBB409_19:                             ;   in Loop: Header=BB409_4 Depth=1
	v_lshl_add_u64 v[18:19], s[18:19], 2, v[18:19]
	s_delay_alu instid0(VALU_DEP_1)
	v_lshl_add_u64 v[18:19], v[6:7], 2, v[18:19]
	s_and_saveexec_b32 s21, s3
	s_cbranch_execz .LBB409_21
; %bb.20:                               ;   in Loop: Header=BB409_4 Depth=1
	v_mul_f32_e32 v20, s38, v14
	global_store_b32 v[18:19], v20, off
.LBB409_21:                             ;   in Loop: Header=BB409_4 Depth=1
	s_wait_xcnt 0x0
	s_or_b32 exec_lo, exec_lo, s21
	s_delay_alu instid0(SALU_CYCLE_1)
	s_and_b32 exec_lo, exec_lo, s4
	s_cbranch_execz .LBB409_23
; %bb.22:                               ;   in Loop: Header=BB409_4 Depth=1
	v_mul_f32_e32 v20, s38, v15
	global_store_b32 v[18:19], v20, off offset:64
.LBB409_23:                             ;   in Loop: Header=BB409_4 Depth=1
	s_wait_xcnt 0x0
	s_or_b32 exec_lo, exec_lo, s20
	s_cbranch_execnz .LBB409_3
.LBB409_24:                             ;   in Loop: Header=BB409_4 Depth=1
	s_and_saveexec_b32 s20, s2
	s_cbranch_execz .LBB409_2
; %bb.25:                               ;   in Loop: Header=BB409_4 Depth=1
	s_mul_u64 s[24:25], s[12:13], s[34:35]
	v_lshlrev_b64_e32 v[18:19], 2, v[6:7]
	v_lshl_add_u64 v[20:21], s[24:25], 2, v[8:9]
	v_lshl_add_u64 v[22:23], v[4:5], 2, s[16:17]
	s_delay_alu instid0(VALU_DEP_2) | instskip(NEXT) | instid1(VALU_DEP_2)
	v_add_nc_u64_e32 v[26:27], v[20:21], v[18:19]
	v_add_nc_u64_e32 v[24:25], v[22:23], v[18:19]
	s_and_saveexec_b32 s16, s3
	s_cbranch_execnz .LBB409_28
; %bb.26:                               ;   in Loop: Header=BB409_4 Depth=1
	s_or_b32 exec_lo, exec_lo, s16
	s_and_saveexec_b32 s16, s4
	s_cbranch_execnz .LBB409_29
.LBB409_27:                             ;   in Loop: Header=BB409_4 Depth=1
	s_or_b32 exec_lo, exec_lo, s16
	s_delay_alu instid0(SALU_CYCLE_1)
	s_and_b32 exec_lo, exec_lo, s5
	s_cbranch_execz .LBB409_2
	s_branch .LBB409_30
.LBB409_28:                             ;   in Loop: Header=BB409_4 Depth=1
	global_load_b32 v33, v[26:27], off
	v_mov_b64_e32 v[34:35], s[40:41]
	v_mov_b32_e32 v32, v16
	s_wait_loadcnt 0x0
	s_delay_alu instid0(VALU_DEP_1) | instskip(NEXT) | instid1(VALU_DEP_1)
	v_pk_mul_f32 v[32:33], v[34:35], v[32:33]
	v_add_f32_e32 v16, v32, v33
	global_store_b32 v[24:25], v16, off
	s_wait_xcnt 0x0
	s_or_b32 exec_lo, exec_lo, s16
	s_and_saveexec_b32 s16, s4
	s_cbranch_execz .LBB409_27
.LBB409_29:                             ;   in Loop: Header=BB409_4 Depth=1
	global_load_b32 v27, v[26:27], off offset:64
	s_wait_xcnt 0x0
	v_mov_b32_e32 v26, v17
	v_mov_b64_e32 v[16:17], s[40:41]
	s_wait_loadcnt 0x0
	s_delay_alu instid0(VALU_DEP_1) | instskip(NEXT) | instid1(VALU_DEP_1)
	v_pk_mul_f32 v[16:17], v[16:17], v[26:27]
	v_add_f32_e32 v16, v16, v17
	global_store_b32 v[24:25], v16, off offset:64
	s_wait_xcnt 0x0
	s_or_b32 exec_lo, exec_lo, s16
	s_delay_alu instid0(SALU_CYCLE_1)
	s_and_b32 exec_lo, exec_lo, s5
	s_cbranch_execz .LBB409_2
.LBB409_30:                             ;   in Loop: Header=BB409_4 Depth=1
	v_lshl_add_u64 v[16:17], s[8:9], 2, v[20:21]
	v_lshl_add_u64 v[22:23], s[18:19], 2, v[22:23]
	s_delay_alu instid0(VALU_DEP_2) | instskip(NEXT) | instid1(VALU_DEP_2)
	v_add_nc_u64_e32 v[20:21], v[16:17], v[18:19]
	v_add_nc_u64_e32 v[16:17], v[22:23], v[18:19]
	s_and_saveexec_b32 s16, s3
	s_cbranch_execz .LBB409_32
; %bb.31:                               ;   in Loop: Header=BB409_4 Depth=1
	global_load_b32 v19, v[20:21], off
	v_mov_b64_e32 v[22:23], s[40:41]
	v_mov_b32_e32 v18, v14
	s_wait_loadcnt 0x0
	s_delay_alu instid0(VALU_DEP_1) | instskip(NEXT) | instid1(VALU_DEP_1)
	v_pk_mul_f32 v[18:19], v[22:23], v[18:19]
	v_add_f32_e32 v14, v18, v19
	global_store_b32 v[16:17], v14, off
.LBB409_32:                             ;   in Loop: Header=BB409_4 Depth=1
	s_wait_xcnt 0x0
	s_or_b32 exec_lo, exec_lo, s16
	s_delay_alu instid0(SALU_CYCLE_1)
	s_and_b32 exec_lo, exec_lo, s4
	s_cbranch_execz .LBB409_2
; %bb.33:                               ;   in Loop: Header=BB409_4 Depth=1
	global_load_b32 v19, v[20:21], off offset:64
	v_mov_b32_e32 v18, v15
	v_mov_b64_e32 v[14:15], s[40:41]
	s_wait_loadcnt 0x0
	s_delay_alu instid0(VALU_DEP_1) | instskip(NEXT) | instid1(VALU_DEP_1)
	v_pk_mul_f32 v[14:15], v[14:15], v[18:19]
	v_add_f32_e32 v14, v14, v15
	global_store_b32 v[16:17], v14, off offset:64
	s_branch .LBB409_2
.LBB409_34:
	s_endpgm
	.section	.rodata,"a",@progbits
	.p2align	6, 0x0
	.amdhsa_kernel _ZN12_GLOBAL__N_135rocblas_gemm_batched_general_kernelIfLi16ELi16ELi32ELi32ELi8ELi32ELi8ELi8ELi32ELc84ELc78EKDF16_KffEEvlllT_PT11_llS5_llS3_PT12_llPT13_lli
		.amdhsa_group_segment_fixed_size 2048
		.amdhsa_private_segment_fixed_size 0
		.amdhsa_kernarg_size 140
		.amdhsa_user_sgpr_count 2
		.amdhsa_user_sgpr_dispatch_ptr 0
		.amdhsa_user_sgpr_queue_ptr 0
		.amdhsa_user_sgpr_kernarg_segment_ptr 1
		.amdhsa_user_sgpr_dispatch_id 0
		.amdhsa_user_sgpr_kernarg_preload_length 0
		.amdhsa_user_sgpr_kernarg_preload_offset 0
		.amdhsa_user_sgpr_private_segment_size 0
		.amdhsa_wavefront_size32 1
		.amdhsa_uses_dynamic_stack 0
		.amdhsa_enable_private_segment 0
		.amdhsa_system_sgpr_workgroup_id_x 1
		.amdhsa_system_sgpr_workgroup_id_y 1
		.amdhsa_system_sgpr_workgroup_id_z 1
		.amdhsa_system_sgpr_workgroup_info 0
		.amdhsa_system_vgpr_workitem_id 1
		.amdhsa_next_free_vgpr 52
		.amdhsa_next_free_sgpr 42
		.amdhsa_named_barrier_count 0
		.amdhsa_reserve_vcc 1
		.amdhsa_float_round_mode_32 0
		.amdhsa_float_round_mode_16_64 0
		.amdhsa_float_denorm_mode_32 3
		.amdhsa_float_denorm_mode_16_64 3
		.amdhsa_fp16_overflow 0
		.amdhsa_memory_ordered 1
		.amdhsa_forward_progress 1
		.amdhsa_inst_pref_size 14
		.amdhsa_round_robin_scheduling 0
		.amdhsa_exception_fp_ieee_invalid_op 0
		.amdhsa_exception_fp_denorm_src 0
		.amdhsa_exception_fp_ieee_div_zero 0
		.amdhsa_exception_fp_ieee_overflow 0
		.amdhsa_exception_fp_ieee_underflow 0
		.amdhsa_exception_fp_ieee_inexact 0
		.amdhsa_exception_int_div_zero 0
	.end_amdhsa_kernel
	.section	.text._ZN12_GLOBAL__N_135rocblas_gemm_batched_general_kernelIfLi16ELi16ELi32ELi32ELi8ELi32ELi8ELi8ELi32ELc84ELc78EKDF16_KffEEvlllT_PT11_llS5_llS3_PT12_llPT13_lli,"axG",@progbits,_ZN12_GLOBAL__N_135rocblas_gemm_batched_general_kernelIfLi16ELi16ELi32ELi32ELi8ELi32ELi8ELi8ELi32ELc84ELc78EKDF16_KffEEvlllT_PT11_llS5_llS3_PT12_llPT13_lli,comdat
.Lfunc_end409:
	.size	_ZN12_GLOBAL__N_135rocblas_gemm_batched_general_kernelIfLi16ELi16ELi32ELi32ELi8ELi32ELi8ELi8ELi32ELc84ELc78EKDF16_KffEEvlllT_PT11_llS5_llS3_PT12_llPT13_lli, .Lfunc_end409-_ZN12_GLOBAL__N_135rocblas_gemm_batched_general_kernelIfLi16ELi16ELi32ELi32ELi8ELi32ELi8ELi8ELi32ELc84ELc78EKDF16_KffEEvlllT_PT11_llS5_llS3_PT12_llPT13_lli
                                        ; -- End function
	.set _ZN12_GLOBAL__N_135rocblas_gemm_batched_general_kernelIfLi16ELi16ELi32ELi32ELi8ELi32ELi8ELi8ELi32ELc84ELc78EKDF16_KffEEvlllT_PT11_llS5_llS3_PT12_llPT13_lli.num_vgpr, 52
	.set _ZN12_GLOBAL__N_135rocblas_gemm_batched_general_kernelIfLi16ELi16ELi32ELi32ELi8ELi32ELi8ELi8ELi32ELc84ELc78EKDF16_KffEEvlllT_PT11_llS5_llS3_PT12_llPT13_lli.num_agpr, 0
	.set _ZN12_GLOBAL__N_135rocblas_gemm_batched_general_kernelIfLi16ELi16ELi32ELi32ELi8ELi32ELi8ELi8ELi32ELc84ELc78EKDF16_KffEEvlllT_PT11_llS5_llS3_PT12_llPT13_lli.numbered_sgpr, 42
	.set _ZN12_GLOBAL__N_135rocblas_gemm_batched_general_kernelIfLi16ELi16ELi32ELi32ELi8ELi32ELi8ELi8ELi32ELc84ELc78EKDF16_KffEEvlllT_PT11_llS5_llS3_PT12_llPT13_lli.num_named_barrier, 0
	.set _ZN12_GLOBAL__N_135rocblas_gemm_batched_general_kernelIfLi16ELi16ELi32ELi32ELi8ELi32ELi8ELi8ELi32ELc84ELc78EKDF16_KffEEvlllT_PT11_llS5_llS3_PT12_llPT13_lli.private_seg_size, 0
	.set _ZN12_GLOBAL__N_135rocblas_gemm_batched_general_kernelIfLi16ELi16ELi32ELi32ELi8ELi32ELi8ELi8ELi32ELc84ELc78EKDF16_KffEEvlllT_PT11_llS5_llS3_PT12_llPT13_lli.uses_vcc, 1
	.set _ZN12_GLOBAL__N_135rocblas_gemm_batched_general_kernelIfLi16ELi16ELi32ELi32ELi8ELi32ELi8ELi8ELi32ELc84ELc78EKDF16_KffEEvlllT_PT11_llS5_llS3_PT12_llPT13_lli.uses_flat_scratch, 0
	.set _ZN12_GLOBAL__N_135rocblas_gemm_batched_general_kernelIfLi16ELi16ELi32ELi32ELi8ELi32ELi8ELi8ELi32ELc84ELc78EKDF16_KffEEvlllT_PT11_llS5_llS3_PT12_llPT13_lli.has_dyn_sized_stack, 0
	.set _ZN12_GLOBAL__N_135rocblas_gemm_batched_general_kernelIfLi16ELi16ELi32ELi32ELi8ELi32ELi8ELi8ELi32ELc84ELc78EKDF16_KffEEvlllT_PT11_llS5_llS3_PT12_llPT13_lli.has_recursion, 0
	.set _ZN12_GLOBAL__N_135rocblas_gemm_batched_general_kernelIfLi16ELi16ELi32ELi32ELi8ELi32ELi8ELi8ELi32ELc84ELc78EKDF16_KffEEvlllT_PT11_llS5_llS3_PT12_llPT13_lli.has_indirect_call, 0
	.section	.AMDGPU.csdata,"",@progbits
; Kernel info:
; codeLenInByte = 1756
; TotalNumSgprs: 44
; NumVgprs: 52
; ScratchSize: 0
; MemoryBound: 0
; FloatMode: 240
; IeeeMode: 1
; LDSByteSize: 2048 bytes/workgroup (compile time only)
; SGPRBlocks: 0
; VGPRBlocks: 3
; NumSGPRsForWavesPerEU: 44
; NumVGPRsForWavesPerEU: 52
; NamedBarCnt: 0
; Occupancy: 16
; WaveLimiterHint : 0
; COMPUTE_PGM_RSRC2:SCRATCH_EN: 0
; COMPUTE_PGM_RSRC2:USER_SGPR: 2
; COMPUTE_PGM_RSRC2:TRAP_HANDLER: 0
; COMPUTE_PGM_RSRC2:TGID_X_EN: 1
; COMPUTE_PGM_RSRC2:TGID_Y_EN: 1
; COMPUTE_PGM_RSRC2:TGID_Z_EN: 1
; COMPUTE_PGM_RSRC2:TIDIG_COMP_CNT: 1
	.section	.text._ZN12_GLOBAL__N_135rocblas_gemm_batched_general_kernelIfLi16ELi16ELi32ELi32ELi8ELi32ELi8ELi8ELi32ELc78ELc84EKDF16_KffEEvlllT_PT11_llS5_llS3_PT12_llPT13_lli,"axG",@progbits,_ZN12_GLOBAL__N_135rocblas_gemm_batched_general_kernelIfLi16ELi16ELi32ELi32ELi8ELi32ELi8ELi8ELi32ELc78ELc84EKDF16_KffEEvlllT_PT11_llS5_llS3_PT12_llPT13_lli,comdat
	.globl	_ZN12_GLOBAL__N_135rocblas_gemm_batched_general_kernelIfLi16ELi16ELi32ELi32ELi8ELi32ELi8ELi8ELi32ELc78ELc84EKDF16_KffEEvlllT_PT11_llS5_llS3_PT12_llPT13_lli ; -- Begin function _ZN12_GLOBAL__N_135rocblas_gemm_batched_general_kernelIfLi16ELi16ELi32ELi32ELi8ELi32ELi8ELi8ELi32ELc78ELc84EKDF16_KffEEvlllT_PT11_llS5_llS3_PT12_llPT13_lli
	.p2align	8
	.type	_ZN12_GLOBAL__N_135rocblas_gemm_batched_general_kernelIfLi16ELi16ELi32ELi32ELi8ELi32ELi8ELi8ELi32ELc78ELc84EKDF16_KffEEvlllT_PT11_llS5_llS3_PT12_llPT13_lli,@function
_ZN12_GLOBAL__N_135rocblas_gemm_batched_general_kernelIfLi16ELi16ELi32ELi32ELi8ELi32ELi8ELi8ELi32ELc78ELc84EKDF16_KffEEvlllT_PT11_llS5_llS3_PT12_llPT13_lli: ; @_ZN12_GLOBAL__N_135rocblas_gemm_batched_general_kernelIfLi16ELi16ELi32ELi32ELi8ELi32ELi8ELi8ELi32ELc78ELc84EKDF16_KffEEvlllT_PT11_llS5_llS3_PT12_llPT13_lli
; %bb.0:
	s_load_b32 s33, s[0:1], 0x88
	s_bfe_u32 s2, ttmp6, 0x40014
	s_lshr_b32 s3, ttmp7, 16
	s_add_co_i32 s2, s2, 1
	s_bfe_u32 s5, ttmp6, 0x40008
	s_mul_i32 s4, s3, s2
	s_getreg_b32 s2, hwreg(HW_REG_IB_STS2, 6, 4)
	s_add_co_i32 s5, s5, s4
	s_cmp_eq_u32 s2, 0
	s_mov_b32 s35, 0
	s_cselect_b32 s34, s3, s5
	s_wait_kmcnt 0x0
	s_cmp_ge_i32 s34, s33
	s_cbranch_scc1 .LBB410_34
; %bb.1:
	s_clause 0x3
	s_load_b128 s[4:7], s[0:1], 0x0
	s_load_b256 s[16:23], s[0:1], 0x20
	s_load_b128 s[28:31], s[0:1], 0x40
	s_load_b32 s41, s[0:1], 0x50
	v_bfe_u32 v8, v0, 10, 10
	v_and_b32_e32 v10, 0x3ff, v0
	s_bfe_u32 s3, ttmp6, 0x4000c
	s_clause 0x1
	s_load_b128 s[24:27], s[0:1], 0x78
	s_load_b256 s[8:15], s[0:1], 0x58
	s_add_co_i32 s3, s3, 1
	s_bfe_u32 s38, ttmp6, 0x40010
	v_lshl_add_u32 v1, v8, 4, v10
	v_dual_mov_b32 v9, 0 :: v_dual_bitop2_b32 v0, 7, v0 bitop3:0x40
	s_and_b32 s36, ttmp6, 15
	s_mul_i32 s3, ttmp9, s3
	s_delay_alu instid0(VALU_DEP_2) | instskip(NEXT) | instid1(VALU_DEP_2)
	v_dual_lshrrev_b32 v2, 5, v1 :: v_dual_bitop2_b32 v22, 31, v1 bitop3:0x40
	v_dual_mov_b32 v3, v9 :: v_dual_lshrrev_b32 v12, 3, v1
	v_dual_mov_b32 v1, v9 :: v_dual_mov_b32 v13, v9
	s_and_b32 s37, ttmp7, 0xffff
	s_add_co_i32 s38, s38, 1
	s_add_co_i32 s36, s36, s3
	s_wait_kmcnt 0x0
	v_mul_u64_e32 v[14:15], s[28:29], v[0:1]
	s_mul_i32 s3, s37, s38
	s_bfe_u32 s38, ttmp6, 0x40004
	v_mul_u64_e32 v[16:17], s[18:19], v[2:3]
	s_add_co_i32 s38, s38, s3
	s_cmp_eq_u32 s2, 0
	s_mov_b32 s43, s35
	s_cselect_b32 s40, s37, s38
	s_cselect_b32 s2, ttmp9, s36
	s_lshl_b32 s42, s40, 5
	s_ashr_i32 s3, s2, 31
	v_add_nc_u64_e32 v[18:19], s[42:43], v[8:9]
	s_lshl_b64 s[44:45], s[2:3], 5
	v_add_nc_u64_e32 v[6:7], s[42:43], v[12:13]
	v_dual_mov_b32 v5, s45 :: v_dual_bitop2_b32 v4, s44, v22 bitop3:0x54
	v_mov_b32_e32 v11, v9
	s_load_b96 s[36:38], s[0:1], 0x10
	s_delay_alu instid0(VALU_DEP_4)
	v_mul_u64_e32 v[20:21], s[10:11], v[18:19]
	s_cmp_eq_f32 s41, 0
	s_wait_xcnt 0x0
	v_cmp_gt_i64_e64 s0, s[4:5], v[4:5]
	v_mul_u64_e32 v[4:5], s[24:25], v[18:19]
	v_cmp_gt_i64_e64 s1, s[6:7], v[6:7]
	v_lshl_add_u32 v30, v8, 5, 0x400
	v_lshlrev_b32_e32 v8, 1, v12
	v_add_nc_u64_e32 v[6:7], s[44:45], v[10:11]
	v_dual_lshlrev_b32 v23, 2, v0 :: v_dual_lshlrev_b32 v13, 2, v22
	s_cselect_b32 s39, -1, 0
	s_lshl_b32 s42, s40, 6
	v_lshlrev_b32_e32 v31, 2, v10
	s_delay_alu instid0(VALU_DEP_2)
	v_lshl_or_b32 v23, v12, 5, v23
	v_lshl_add_u64 v[14:15], v[14:15], 1, s[42:43]
	v_lshl_or_b32 v28, v2, 7, v13
	v_add_nc_u64_e32 v[10:11], 16, v[6:7]
	v_add_nc_u64_e32 v[12:13], 16, v[18:19]
	s_lshl_b64 s[2:3], s[2:3], 6
	v_add_nc_u64_e32 v[14:15], v[14:15], v[8:9]
	v_lshl_add_u64 v[16:17], v[16:17], 1, s[2:3]
	v_lshlrev_b32_e32 v8, 1, v22
	v_cmp_gt_i64_e64 s3, s[4:5], v[6:7]
	v_cmp_gt_i64_e64 s4, s[4:5], v[10:11]
	;; [unrolled: 1-line block ×4, first 2 shown]
	v_add_nc_u64_e32 v[12:13], v[16:17], v[8:9]
	s_lshl_b64 s[6:7], s[24:25], 4
	v_add_nc_u64_e32 v[10:11], s[22:23], v[14:15]
	s_wait_kmcnt 0x0
	v_cmp_gt_i64_e64 s24, s[36:37], 0
	v_add_nc_u32_e32 v29, 0x400, v23
	s_mov_b32 s40, s38
	v_lshl_add_u64 v[8:9], v[20:21], 2, s[8:9]
	v_add_nc_u64_e32 v[12:13], s[16:17], v[12:13]
	s_lshl_b64 s[10:11], s[10:11], 4
	s_lshl_b64 s[8:9], s[30:31], 1
	;; [unrolled: 1-line block ×5, first 2 shown]
	s_branch .LBB410_4
.LBB410_2:                              ;   in Loop: Header=BB410_4 Depth=1
	s_wait_xcnt 0x0
	s_or_b32 exec_lo, exec_lo, s25
.LBB410_3:                              ;   in Loop: Header=BB410_4 Depth=1
	s_add_co_i32 s34, s34, 0x10000
	s_delay_alu instid0(SALU_CYCLE_1)
	s_cmp_lt_i32 s34, s33
	s_cbranch_scc0 .LBB410_34
.LBB410_4:                              ; =>This Loop Header: Depth=1
                                        ;     Child Loop BB410_7 Depth 2
	v_dual_mov_b32 v17, 0 :: v_dual_mov_b32 v16, 0
	v_dual_mov_b32 v15, 0 :: v_dual_mov_b32 v14, 0
	s_and_not1_b32 vcc_lo, exec_lo, s24
	s_cbranch_vccnz .LBB410_11
; %bb.5:                                ;   in Loop: Header=BB410_4 Depth=1
	v_mad_nc_u64_u32 v[18:19], s8, s34, v[10:11]
	v_mad_nc_u64_u32 v[20:21], s20, s34, v[12:13]
	v_mov_b32_e32 v16, 0
	s_mov_b64 s[22:23], 0
	s_delay_alu instid0(VALU_DEP_1)
	v_dual_mov_b32 v17, v16 :: v_dual_mov_b32 v14, v16
	v_mov_b32_e32 v15, v16
	v_mad_u32 v19, s9, s34, v19
	v_mad_u32 v21, s21, s34, v21
	s_branch .LBB410_7
.LBB410_6:                              ;   in Loop: Header=BB410_7 Depth=2
	s_wait_xcnt 0x0
	s_or_b32 exec_lo, exec_lo, s25
	ds_store_b32 v29, v23
	s_wait_dscnt 0x0
	s_barrier_signal -1
	s_barrier_wait -1
	ds_load_b128 v[22:25], v30
	ds_load_2addr_b32 v[26:27], v31 offset1:16
	ds_load_b128 v[32:35], v30 offset:512
	ds_load_2addr_b32 v[44:45], v31 offset0:32 offset1:48
	ds_load_2addr_b32 v[46:47], v31 offset0:64 offset1:80
	;; [unrolled: 1-line block ×3, first 2 shown]
	ds_load_b128 v[36:39], v30 offset:16
	ds_load_2addr_b32 v[50:51], v31 offset0:128 offset1:144
	ds_load_b128 v[40:43], v30 offset:528
	s_add_nc_u64 s[22:23], s[22:23], 8
	v_add_nc_u64_e32 v[18:19], s[16:17], v[18:19]
	v_cmp_lt_i64_e64 s25, s[22:23], s[36:37]
	v_add_nc_u64_e32 v[20:21], s[18:19], v[20:21]
	s_and_b32 vcc_lo, exec_lo, s25
	s_wait_dscnt 0x7
	v_pk_fma_f32 v[16:17], v[26:27], v[22:23], v[16:17] op_sel_hi:[1,0,1]
	s_wait_dscnt 0x6
	v_pk_fma_f32 v[14:15], v[26:27], v[32:33], v[14:15] op_sel_hi:[1,0,1]
	ds_load_2addr_b32 v[26:27], v31 offset0:160 offset1:176
	s_wait_dscnt 0x6
	v_pk_fma_f32 v[16:17], v[44:45], v[22:23], v[16:17] op_sel:[0,1,0]
	v_pk_fma_f32 v[14:15], v[44:45], v[32:33], v[14:15] op_sel:[0,1,0]
	ds_load_2addr_b32 v[22:23], v31 offset0:192 offset1:208
	v_dual_mov_b32 v32, v25 :: v_dual_mov_b32 v44, v35
	s_wait_dscnt 0x6
	v_pk_fma_f32 v[16:17], v[46:47], v[24:25], v[16:17] op_sel_hi:[1,0,1]
	v_pk_fma_f32 v[14:15], v[46:47], v[34:35], v[14:15] op_sel_hi:[1,0,1]
	ds_load_2addr_b32 v[24:25], v31 offset0:224 offset1:240
	s_wait_dscnt 0x0
	s_barrier_signal -1
	v_pk_fma_f32 v[16:17], v[48:49], v[32:33], v[16:17] op_sel_hi:[1,0,1]
	v_pk_fma_f32 v[14:15], v[48:49], v[44:45], v[14:15] op_sel_hi:[1,0,1]
	s_barrier_wait -1
	v_mov_b32_e32 v32, v43
	s_delay_alu instid0(VALU_DEP_3) | instskip(NEXT) | instid1(VALU_DEP_3)
	v_pk_fma_f32 v[16:17], v[50:51], v[36:37], v[16:17] op_sel_hi:[1,0,1]
	v_pk_fma_f32 v[14:15], v[50:51], v[40:41], v[14:15] op_sel_hi:[1,0,1]
	s_delay_alu instid0(VALU_DEP_2) | instskip(NEXT) | instid1(VALU_DEP_2)
	v_pk_fma_f32 v[16:17], v[26:27], v[36:37], v[16:17] op_sel:[0,1,0]
	v_pk_fma_f32 v[14:15], v[26:27], v[40:41], v[14:15] op_sel:[0,1,0]
	v_mov_b32_e32 v26, v39
	s_delay_alu instid0(VALU_DEP_3) | instskip(NEXT) | instid1(VALU_DEP_3)
	v_pk_fma_f32 v[16:17], v[22:23], v[38:39], v[16:17] op_sel_hi:[1,0,1]
	v_pk_fma_f32 v[14:15], v[22:23], v[42:43], v[14:15] op_sel_hi:[1,0,1]
	s_delay_alu instid0(VALU_DEP_2) | instskip(NEXT) | instid1(VALU_DEP_2)
	v_pk_fma_f32 v[16:17], v[24:25], v[26:27], v[16:17] op_sel_hi:[1,0,1]
	v_pk_fma_f32 v[14:15], v[24:25], v[32:33], v[14:15] op_sel_hi:[1,0,1]
	s_cbranch_vccz .LBB410_11
.LBB410_7:                              ;   Parent Loop BB410_4 Depth=1
                                        ; =>  This Inner Loop Header: Depth=2
	v_add_nc_u64_e32 v[22:23], s[22:23], v[2:3]
	s_delay_alu instid0(VALU_DEP_1) | instskip(SKIP_2) | instid1(SALU_CYCLE_1)
	v_cmp_gt_i64_e32 vcc_lo, s[36:37], v[22:23]
	v_mov_b32_e32 v22, 0
	s_and_b32 s28, s0, vcc_lo
	s_and_saveexec_b32 s25, s28
	s_cbranch_execz .LBB410_9
; %bb.8:                                ;   in Loop: Header=BB410_7 Depth=2
	global_load_u16 v22, v[20:21], off
	s_wait_loadcnt 0x0
	v_cvt_f32_f16_e32 v22, v22
.LBB410_9:                              ;   in Loop: Header=BB410_7 Depth=2
	s_wait_xcnt 0x0
	s_or_b32 exec_lo, exec_lo, s25
	v_add_nc_u64_e32 v[24:25], s[22:23], v[0:1]
	v_mov_b32_e32 v23, 0
	ds_store_b32 v28, v22
	v_cmp_gt_i64_e32 vcc_lo, s[36:37], v[24:25]
	s_and_b32 s28, vcc_lo, s1
	s_delay_alu instid0(SALU_CYCLE_1)
	s_and_saveexec_b32 s25, s28
	s_cbranch_execz .LBB410_6
; %bb.10:                               ;   in Loop: Header=BB410_7 Depth=2
	global_load_u16 v22, v[18:19], off
	s_wait_loadcnt 0x0
	v_cvt_f32_f16_e32 v23, v22
	s_branch .LBB410_6
.LBB410_11:                             ;   in Loop: Header=BB410_4 Depth=1
	s_mul_u64 s[22:23], s[26:27], s[34:35]
	s_and_not1_b32 vcc_lo, exec_lo, s39
	s_lshl_b64 s[22:23], s[22:23], 2
	s_delay_alu instid0(SALU_CYCLE_1)
	s_add_nc_u64 s[22:23], s[14:15], s[22:23]
	s_cbranch_vccnz .LBB410_16
; %bb.12:                               ;   in Loop: Header=BB410_4 Depth=1
	s_and_saveexec_b32 s25, s2
	s_cbranch_execz .LBB410_23
; %bb.13:                               ;   in Loop: Header=BB410_4 Depth=1
	v_lshl_add_u64 v[18:19], v[4:5], 2, s[22:23]
	s_delay_alu instid0(VALU_DEP_1)
	v_lshl_add_u64 v[20:21], v[6:7], 2, v[18:19]
	s_and_saveexec_b32 s28, s3
	s_cbranch_execnz .LBB410_17
; %bb.14:                               ;   in Loop: Header=BB410_4 Depth=1
	s_or_b32 exec_lo, exec_lo, s28
	s_and_saveexec_b32 s28, s4
	s_cbranch_execnz .LBB410_18
.LBB410_15:                             ;   in Loop: Header=BB410_4 Depth=1
	s_or_b32 exec_lo, exec_lo, s28
	s_delay_alu instid0(SALU_CYCLE_1)
	s_and_b32 exec_lo, exec_lo, s5
	s_cbranch_execnz .LBB410_19
	s_branch .LBB410_23
.LBB410_16:                             ;   in Loop: Header=BB410_4 Depth=1
	s_branch .LBB410_24
.LBB410_17:                             ;   in Loop: Header=BB410_4 Depth=1
	v_mul_f32_e32 v22, s38, v16
	global_store_b32 v[20:21], v22, off
	s_wait_xcnt 0x0
	s_or_b32 exec_lo, exec_lo, s28
	s_and_saveexec_b32 s28, s4
	s_cbranch_execz .LBB410_15
.LBB410_18:                             ;   in Loop: Header=BB410_4 Depth=1
	v_mul_f32_e32 v22, s38, v17
	global_store_b32 v[20:21], v22, off offset:64
	s_wait_xcnt 0x0
	s_or_b32 exec_lo, exec_lo, s28
	s_delay_alu instid0(SALU_CYCLE_1)
	s_and_b32 exec_lo, exec_lo, s5
	s_cbranch_execz .LBB410_23
.LBB410_19:                             ;   in Loop: Header=BB410_4 Depth=1
	v_lshl_add_u64 v[18:19], s[6:7], 2, v[18:19]
	s_delay_alu instid0(VALU_DEP_1)
	v_lshl_add_u64 v[18:19], v[6:7], 2, v[18:19]
	s_and_saveexec_b32 s28, s3
	s_cbranch_execz .LBB410_21
; %bb.20:                               ;   in Loop: Header=BB410_4 Depth=1
	v_mul_f32_e32 v20, s38, v14
	global_store_b32 v[18:19], v20, off
.LBB410_21:                             ;   in Loop: Header=BB410_4 Depth=1
	s_wait_xcnt 0x0
	s_or_b32 exec_lo, exec_lo, s28
	s_delay_alu instid0(SALU_CYCLE_1)
	s_and_b32 exec_lo, exec_lo, s4
	s_cbranch_execz .LBB410_23
; %bb.22:                               ;   in Loop: Header=BB410_4 Depth=1
	v_mul_f32_e32 v20, s38, v15
	global_store_b32 v[18:19], v20, off offset:64
.LBB410_23:                             ;   in Loop: Header=BB410_4 Depth=1
	s_wait_xcnt 0x0
	s_or_b32 exec_lo, exec_lo, s25
	s_cbranch_execnz .LBB410_3
.LBB410_24:                             ;   in Loop: Header=BB410_4 Depth=1
	s_and_saveexec_b32 s25, s2
	s_cbranch_execz .LBB410_2
; %bb.25:                               ;   in Loop: Header=BB410_4 Depth=1
	s_mul_u64 s[28:29], s[12:13], s[34:35]
	v_lshlrev_b64_e32 v[18:19], 2, v[6:7]
	v_lshl_add_u64 v[20:21], s[28:29], 2, v[8:9]
	v_lshl_add_u64 v[22:23], v[4:5], 2, s[22:23]
	s_delay_alu instid0(VALU_DEP_2) | instskip(NEXT) | instid1(VALU_DEP_2)
	v_add_nc_u64_e32 v[26:27], v[20:21], v[18:19]
	v_add_nc_u64_e32 v[24:25], v[22:23], v[18:19]
	s_and_saveexec_b32 s22, s3
	s_cbranch_execnz .LBB410_28
; %bb.26:                               ;   in Loop: Header=BB410_4 Depth=1
	s_or_b32 exec_lo, exec_lo, s22
	s_and_saveexec_b32 s22, s4
	s_cbranch_execnz .LBB410_29
.LBB410_27:                             ;   in Loop: Header=BB410_4 Depth=1
	s_or_b32 exec_lo, exec_lo, s22
	s_delay_alu instid0(SALU_CYCLE_1)
	s_and_b32 exec_lo, exec_lo, s5
	s_cbranch_execz .LBB410_2
	s_branch .LBB410_30
.LBB410_28:                             ;   in Loop: Header=BB410_4 Depth=1
	global_load_b32 v33, v[26:27], off
	v_mov_b64_e32 v[34:35], s[40:41]
	v_mov_b32_e32 v32, v16
	s_wait_loadcnt 0x0
	s_delay_alu instid0(VALU_DEP_1) | instskip(NEXT) | instid1(VALU_DEP_1)
	v_pk_mul_f32 v[32:33], v[34:35], v[32:33]
	v_add_f32_e32 v16, v32, v33
	global_store_b32 v[24:25], v16, off
	s_wait_xcnt 0x0
	s_or_b32 exec_lo, exec_lo, s22
	s_and_saveexec_b32 s22, s4
	s_cbranch_execz .LBB410_27
.LBB410_29:                             ;   in Loop: Header=BB410_4 Depth=1
	global_load_b32 v27, v[26:27], off offset:64
	s_wait_xcnt 0x0
	v_mov_b32_e32 v26, v17
	v_mov_b64_e32 v[16:17], s[40:41]
	s_wait_loadcnt 0x0
	s_delay_alu instid0(VALU_DEP_1) | instskip(NEXT) | instid1(VALU_DEP_1)
	v_pk_mul_f32 v[16:17], v[16:17], v[26:27]
	v_add_f32_e32 v16, v16, v17
	global_store_b32 v[24:25], v16, off offset:64
	s_wait_xcnt 0x0
	s_or_b32 exec_lo, exec_lo, s22
	s_delay_alu instid0(SALU_CYCLE_1)
	s_and_b32 exec_lo, exec_lo, s5
	s_cbranch_execz .LBB410_2
.LBB410_30:                             ;   in Loop: Header=BB410_4 Depth=1
	v_lshl_add_u64 v[16:17], s[10:11], 2, v[20:21]
	v_lshl_add_u64 v[22:23], s[6:7], 2, v[22:23]
	s_delay_alu instid0(VALU_DEP_2) | instskip(NEXT) | instid1(VALU_DEP_2)
	v_add_nc_u64_e32 v[20:21], v[16:17], v[18:19]
	v_add_nc_u64_e32 v[16:17], v[22:23], v[18:19]
	s_and_saveexec_b32 s22, s3
	s_cbranch_execz .LBB410_32
; %bb.31:                               ;   in Loop: Header=BB410_4 Depth=1
	global_load_b32 v19, v[20:21], off
	v_mov_b64_e32 v[22:23], s[40:41]
	v_mov_b32_e32 v18, v14
	s_wait_loadcnt 0x0
	s_delay_alu instid0(VALU_DEP_1) | instskip(NEXT) | instid1(VALU_DEP_1)
	v_pk_mul_f32 v[18:19], v[22:23], v[18:19]
	v_add_f32_e32 v14, v18, v19
	global_store_b32 v[16:17], v14, off
.LBB410_32:                             ;   in Loop: Header=BB410_4 Depth=1
	s_wait_xcnt 0x0
	s_or_b32 exec_lo, exec_lo, s22
	s_delay_alu instid0(SALU_CYCLE_1)
	s_and_b32 exec_lo, exec_lo, s4
	s_cbranch_execz .LBB410_2
; %bb.33:                               ;   in Loop: Header=BB410_4 Depth=1
	global_load_b32 v19, v[20:21], off offset:64
	v_mov_b32_e32 v18, v15
	v_mov_b64_e32 v[14:15], s[40:41]
	s_wait_loadcnt 0x0
	s_delay_alu instid0(VALU_DEP_1) | instskip(NEXT) | instid1(VALU_DEP_1)
	v_pk_mul_f32 v[14:15], v[14:15], v[18:19]
	v_add_f32_e32 v14, v14, v15
	global_store_b32 v[16:17], v14, off offset:64
	s_branch .LBB410_2
.LBB410_34:
	s_endpgm
	.section	.rodata,"a",@progbits
	.p2align	6, 0x0
	.amdhsa_kernel _ZN12_GLOBAL__N_135rocblas_gemm_batched_general_kernelIfLi16ELi16ELi32ELi32ELi8ELi32ELi8ELi8ELi32ELc78ELc84EKDF16_KffEEvlllT_PT11_llS5_llS3_PT12_llPT13_lli
		.amdhsa_group_segment_fixed_size 2048
		.amdhsa_private_segment_fixed_size 0
		.amdhsa_kernarg_size 140
		.amdhsa_user_sgpr_count 2
		.amdhsa_user_sgpr_dispatch_ptr 0
		.amdhsa_user_sgpr_queue_ptr 0
		.amdhsa_user_sgpr_kernarg_segment_ptr 1
		.amdhsa_user_sgpr_dispatch_id 0
		.amdhsa_user_sgpr_kernarg_preload_length 0
		.amdhsa_user_sgpr_kernarg_preload_offset 0
		.amdhsa_user_sgpr_private_segment_size 0
		.amdhsa_wavefront_size32 1
		.amdhsa_uses_dynamic_stack 0
		.amdhsa_enable_private_segment 0
		.amdhsa_system_sgpr_workgroup_id_x 1
		.amdhsa_system_sgpr_workgroup_id_y 1
		.amdhsa_system_sgpr_workgroup_id_z 1
		.amdhsa_system_sgpr_workgroup_info 0
		.amdhsa_system_vgpr_workitem_id 1
		.amdhsa_next_free_vgpr 52
		.amdhsa_next_free_sgpr 46
		.amdhsa_named_barrier_count 0
		.amdhsa_reserve_vcc 1
		.amdhsa_float_round_mode_32 0
		.amdhsa_float_round_mode_16_64 0
		.amdhsa_float_denorm_mode_32 3
		.amdhsa_float_denorm_mode_16_64 3
		.amdhsa_fp16_overflow 0
		.amdhsa_memory_ordered 1
		.amdhsa_forward_progress 1
		.amdhsa_inst_pref_size 14
		.amdhsa_round_robin_scheduling 0
		.amdhsa_exception_fp_ieee_invalid_op 0
		.amdhsa_exception_fp_denorm_src 0
		.amdhsa_exception_fp_ieee_div_zero 0
		.amdhsa_exception_fp_ieee_overflow 0
		.amdhsa_exception_fp_ieee_underflow 0
		.amdhsa_exception_fp_ieee_inexact 0
		.amdhsa_exception_int_div_zero 0
	.end_amdhsa_kernel
	.section	.text._ZN12_GLOBAL__N_135rocblas_gemm_batched_general_kernelIfLi16ELi16ELi32ELi32ELi8ELi32ELi8ELi8ELi32ELc78ELc84EKDF16_KffEEvlllT_PT11_llS5_llS3_PT12_llPT13_lli,"axG",@progbits,_ZN12_GLOBAL__N_135rocblas_gemm_batched_general_kernelIfLi16ELi16ELi32ELi32ELi8ELi32ELi8ELi8ELi32ELc78ELc84EKDF16_KffEEvlllT_PT11_llS5_llS3_PT12_llPT13_lli,comdat
.Lfunc_end410:
	.size	_ZN12_GLOBAL__N_135rocblas_gemm_batched_general_kernelIfLi16ELi16ELi32ELi32ELi8ELi32ELi8ELi8ELi32ELc78ELc84EKDF16_KffEEvlllT_PT11_llS5_llS3_PT12_llPT13_lli, .Lfunc_end410-_ZN12_GLOBAL__N_135rocblas_gemm_batched_general_kernelIfLi16ELi16ELi32ELi32ELi8ELi32ELi8ELi8ELi32ELc78ELc84EKDF16_KffEEvlllT_PT11_llS5_llS3_PT12_llPT13_lli
                                        ; -- End function
	.set _ZN12_GLOBAL__N_135rocblas_gemm_batched_general_kernelIfLi16ELi16ELi32ELi32ELi8ELi32ELi8ELi8ELi32ELc78ELc84EKDF16_KffEEvlllT_PT11_llS5_llS3_PT12_llPT13_lli.num_vgpr, 52
	.set _ZN12_GLOBAL__N_135rocblas_gemm_batched_general_kernelIfLi16ELi16ELi32ELi32ELi8ELi32ELi8ELi8ELi32ELc78ELc84EKDF16_KffEEvlllT_PT11_llS5_llS3_PT12_llPT13_lli.num_agpr, 0
	.set _ZN12_GLOBAL__N_135rocblas_gemm_batched_general_kernelIfLi16ELi16ELi32ELi32ELi8ELi32ELi8ELi8ELi32ELc78ELc84EKDF16_KffEEvlllT_PT11_llS5_llS3_PT12_llPT13_lli.numbered_sgpr, 46
	.set _ZN12_GLOBAL__N_135rocblas_gemm_batched_general_kernelIfLi16ELi16ELi32ELi32ELi8ELi32ELi8ELi8ELi32ELc78ELc84EKDF16_KffEEvlllT_PT11_llS5_llS3_PT12_llPT13_lli.num_named_barrier, 0
	.set _ZN12_GLOBAL__N_135rocblas_gemm_batched_general_kernelIfLi16ELi16ELi32ELi32ELi8ELi32ELi8ELi8ELi32ELc78ELc84EKDF16_KffEEvlllT_PT11_llS5_llS3_PT12_llPT13_lli.private_seg_size, 0
	.set _ZN12_GLOBAL__N_135rocblas_gemm_batched_general_kernelIfLi16ELi16ELi32ELi32ELi8ELi32ELi8ELi8ELi32ELc78ELc84EKDF16_KffEEvlllT_PT11_llS5_llS3_PT12_llPT13_lli.uses_vcc, 1
	.set _ZN12_GLOBAL__N_135rocblas_gemm_batched_general_kernelIfLi16ELi16ELi32ELi32ELi8ELi32ELi8ELi8ELi32ELc78ELc84EKDF16_KffEEvlllT_PT11_llS5_llS3_PT12_llPT13_lli.uses_flat_scratch, 0
	.set _ZN12_GLOBAL__N_135rocblas_gemm_batched_general_kernelIfLi16ELi16ELi32ELi32ELi8ELi32ELi8ELi8ELi32ELc78ELc84EKDF16_KffEEvlllT_PT11_llS5_llS3_PT12_llPT13_lli.has_dyn_sized_stack, 0
	.set _ZN12_GLOBAL__N_135rocblas_gemm_batched_general_kernelIfLi16ELi16ELi32ELi32ELi8ELi32ELi8ELi8ELi32ELc78ELc84EKDF16_KffEEvlllT_PT11_llS5_llS3_PT12_llPT13_lli.has_recursion, 0
	.set _ZN12_GLOBAL__N_135rocblas_gemm_batched_general_kernelIfLi16ELi16ELi32ELi32ELi8ELi32ELi8ELi8ELi32ELc78ELc84EKDF16_KffEEvlllT_PT11_llS5_llS3_PT12_llPT13_lli.has_indirect_call, 0
	.section	.AMDGPU.csdata,"",@progbits
; Kernel info:
; codeLenInByte = 1792
; TotalNumSgprs: 48
; NumVgprs: 52
; ScratchSize: 0
; MemoryBound: 0
; FloatMode: 240
; IeeeMode: 1
; LDSByteSize: 2048 bytes/workgroup (compile time only)
; SGPRBlocks: 0
; VGPRBlocks: 3
; NumSGPRsForWavesPerEU: 48
; NumVGPRsForWavesPerEU: 52
; NamedBarCnt: 0
; Occupancy: 16
; WaveLimiterHint : 0
; COMPUTE_PGM_RSRC2:SCRATCH_EN: 0
; COMPUTE_PGM_RSRC2:USER_SGPR: 2
; COMPUTE_PGM_RSRC2:TRAP_HANDLER: 0
; COMPUTE_PGM_RSRC2:TGID_X_EN: 1
; COMPUTE_PGM_RSRC2:TGID_Y_EN: 1
; COMPUTE_PGM_RSRC2:TGID_Z_EN: 1
; COMPUTE_PGM_RSRC2:TIDIG_COMP_CNT: 1
	.section	.text._ZN12_GLOBAL__N_135rocblas_gemm_batched_general_kernelIfLi16ELi16ELi32ELi32ELi8ELi32ELi8ELi8ELi32ELc84ELc84EKDF16_KffEEvlllT_PT11_llS5_llS3_PT12_llPT13_lli,"axG",@progbits,_ZN12_GLOBAL__N_135rocblas_gemm_batched_general_kernelIfLi16ELi16ELi32ELi32ELi8ELi32ELi8ELi8ELi32ELc84ELc84EKDF16_KffEEvlllT_PT11_llS5_llS3_PT12_llPT13_lli,comdat
	.globl	_ZN12_GLOBAL__N_135rocblas_gemm_batched_general_kernelIfLi16ELi16ELi32ELi32ELi8ELi32ELi8ELi8ELi32ELc84ELc84EKDF16_KffEEvlllT_PT11_llS5_llS3_PT12_llPT13_lli ; -- Begin function _ZN12_GLOBAL__N_135rocblas_gemm_batched_general_kernelIfLi16ELi16ELi32ELi32ELi8ELi32ELi8ELi8ELi32ELc84ELc84EKDF16_KffEEvlllT_PT11_llS5_llS3_PT12_llPT13_lli
	.p2align	8
	.type	_ZN12_GLOBAL__N_135rocblas_gemm_batched_general_kernelIfLi16ELi16ELi32ELi32ELi8ELi32ELi8ELi8ELi32ELc84ELc84EKDF16_KffEEvlllT_PT11_llS5_llS3_PT12_llPT13_lli,@function
_ZN12_GLOBAL__N_135rocblas_gemm_batched_general_kernelIfLi16ELi16ELi32ELi32ELi8ELi32ELi8ELi8ELi32ELc84ELc84EKDF16_KffEEvlllT_PT11_llS5_llS3_PT12_llPT13_lli: ; @_ZN12_GLOBAL__N_135rocblas_gemm_batched_general_kernelIfLi16ELi16ELi32ELi32ELi8ELi32ELi8ELi8ELi32ELc84ELc84EKDF16_KffEEvlllT_PT11_llS5_llS3_PT12_llPT13_lli
; %bb.0:
	s_load_b32 s33, s[0:1], 0x88
	s_bfe_u32 s2, ttmp6, 0x40014
	s_lshr_b32 s3, ttmp7, 16
	s_add_co_i32 s2, s2, 1
	s_bfe_u32 s5, ttmp6, 0x40008
	s_mul_i32 s4, s3, s2
	s_getreg_b32 s2, hwreg(HW_REG_IB_STS2, 6, 4)
	s_add_co_i32 s5, s5, s4
	s_cmp_eq_u32 s2, 0
	s_mov_b32 s35, 0
	s_cselect_b32 s34, s3, s5
	s_wait_kmcnt 0x0
	s_cmp_ge_i32 s34, s33
	s_cbranch_scc1 .LBB411_34
; %bb.1:
	s_clause 0x4
	s_load_b128 s[4:7], s[0:1], 0x0
	s_load_b256 s[16:23], s[0:1], 0x20
	s_load_b128 s[28:31], s[0:1], 0x40
	s_load_b32 s41, s[0:1], 0x50
	s_load_b256 s[8:15], s[0:1], 0x58
	v_bfe_u32 v8, v0, 10, 10
	v_and_b32_e32 v10, 0x3ff, v0
	v_dual_mov_b32 v9, 0 :: v_dual_bitop2_b32 v0, 7, v0 bitop3:0x40
	s_bfe_u32 s3, ttmp6, 0x4000c
	s_bfe_u32 s25, ttmp6, 0x40010
	s_add_co_i32 s3, s3, 1
	s_and_b32 s26, ttmp7, 0xffff
	s_add_co_i32 s25, s25, 1
	s_and_b32 s24, ttmp6, 15
	s_mul_i32 s3, ttmp9, s3
	s_mul_i32 s25, s26, s25
	s_bfe_u32 s27, ttmp6, 0x40004
	v_lshl_add_u32 v2, v8, 4, v10
	v_mov_b32_e32 v1, v9
	s_add_co_i32 s24, s24, s3
	s_add_co_i32 s27, s27, s25
	s_cmp_eq_u32 s2, 0
	v_and_b32_e32 v3, 31, v2
	s_cselect_b32 s2, ttmp9, s24
	s_wait_kmcnt 0x0
	v_mul_u64_e32 v[12:13], s[28:29], v[0:1]
	s_cselect_b32 s40, s26, s27
	s_ashr_i32 s3, s2, 31
	s_clause 0x1
	s_load_b128 s[24:27], s[0:1], 0x78
	s_load_b96 s[36:38], s[0:1], 0x10
	s_lshl_b64 s[2:3], s[2:3], 5
	s_lshl_b32 s42, s40, 5
	v_dual_mov_b32 v5, s3 :: v_dual_bitop2_b32 v4, s2, v3 bitop3:0x54
	s_mov_b32 s43, s35
	v_dual_mov_b32 v11, v9 :: v_dual_lshrrev_b32 v16, 3, v2
	v_add_nc_u64_e32 v[14:15], s[42:43], v[8:9]
	s_delay_alu instid0(VALU_DEP_3)
	v_mul_u64_e32 v[18:19], s[18:19], v[4:5]
	v_dual_mov_b32 v17, v9 :: v_dual_lshrrev_b32 v2, 5, v2
	s_wait_xcnt 0x0
	v_cmp_gt_i64_e64 s0, s[4:5], v[4:5]
	s_cmp_eq_f32 s41, 0
	v_dual_lshlrev_b32 v22, 2, v0 :: v_dual_lshlrev_b32 v23, 2, v3
	v_mul_u64_e32 v[20:21], s[10:11], v[14:15]
	v_add_nc_u64_e32 v[6:7], s[42:43], v[16:17]
	s_cselect_b32 s39, -1, 0
	s_wait_kmcnt 0x0
	v_mul_u64_e32 v[4:5], s[24:25], v[14:15]
	v_mov_b32_e32 v3, v9
	v_lshl_add_u32 v30, v8, 5, 0x400
	v_lshlrev_b32_e32 v8, 1, v16
	v_lshl_or_b32 v17, v16, 5, v22
	v_cmp_gt_i64_e64 s1, s[6:7], v[6:7]
	v_add_nc_u64_e32 v[6:7], s[2:3], v[10:11]
	s_lshl_b32 s2, s40, 6
	s_mov_b32 s3, s35
	v_lshlrev_b32_e32 v31, 2, v10
	v_lshl_add_u64 v[12:13], v[12:13], 1, s[2:3]
	v_lshl_or_b32 v28, v2, 7, v23
	v_add_nc_u32_e32 v29, 0x400, v17
	v_add_nc_u64_e32 v[16:17], 16, v[6:7]
	v_add_nc_u64_e32 v[22:23], 16, v[14:15]
	;; [unrolled: 1-line block ×3, first 2 shown]
	v_lshlrev_b32_e32 v8, 1, v2
	v_cmp_gt_i64_e64 s2, s[6:7], v[14:15]
	v_cmp_gt_i64_e64 s3, s[4:5], v[6:7]
	s_mov_b32 s40, s38
	v_cmp_gt_i64_e64 s4, s[4:5], v[16:17]
	v_cmp_gt_i64_e64 s5, s[6:7], v[22:23]
	v_lshl_add_u64 v[12:13], v[18:19], 1, v[8:9]
	v_add_nc_u64_e32 v[10:11], s[22:23], v[10:11]
	v_cmp_gt_i64_e64 s22, s[36:37], 0
	s_lshl_b64 s[6:7], s[24:25], 4
	s_lshl_b64 s[10:11], s[10:11], 4
	v_add_nc_u64_e32 v[12:13], s[16:17], v[12:13]
	s_lshl_b64 s[16:17], s[28:29], 4
	v_lshl_add_u64 v[8:9], v[20:21], 2, s[8:9]
	s_lshl_b64 s[8:9], s[30:31], 1
	s_lshl_b64 s[18:19], s[20:21], 1
	s_branch .LBB411_4
.LBB411_2:                              ;   in Loop: Header=BB411_4 Depth=1
	s_wait_xcnt 0x0
	s_or_b32 exec_lo, exec_lo, s23
.LBB411_3:                              ;   in Loop: Header=BB411_4 Depth=1
	s_add_co_i32 s34, s34, 0x10000
	s_delay_alu instid0(SALU_CYCLE_1)
	s_cmp_lt_i32 s34, s33
	s_cbranch_scc0 .LBB411_34
.LBB411_4:                              ; =>This Loop Header: Depth=1
                                        ;     Child Loop BB411_7 Depth 2
	v_dual_mov_b32 v17, 0 :: v_dual_mov_b32 v16, 0
	v_dual_mov_b32 v15, 0 :: v_dual_mov_b32 v14, 0
	s_and_not1_b32 vcc_lo, exec_lo, s22
	s_cbranch_vccnz .LBB411_11
; %bb.5:                                ;   in Loop: Header=BB411_4 Depth=1
	v_mad_nc_u64_u32 v[18:19], s8, s34, v[10:11]
	v_mad_nc_u64_u32 v[20:21], s18, s34, v[12:13]
	v_mov_b32_e32 v16, 0
	s_mov_b64 s[20:21], 0
	s_delay_alu instid0(VALU_DEP_1)
	v_dual_mov_b32 v17, v16 :: v_dual_mov_b32 v14, v16
	v_mov_b32_e32 v15, v16
	v_mad_u32 v19, s9, s34, v19
	v_mad_u32 v21, s19, s34, v21
	s_branch .LBB411_7
.LBB411_6:                              ;   in Loop: Header=BB411_7 Depth=2
	s_wait_xcnt 0x0
	s_or_b32 exec_lo, exec_lo, s23
	ds_store_b32 v29, v23
	s_wait_dscnt 0x0
	s_barrier_signal -1
	s_barrier_wait -1
	ds_load_b128 v[22:25], v30
	ds_load_2addr_b32 v[26:27], v31 offset1:16
	ds_load_b128 v[32:35], v30 offset:512
	ds_load_2addr_b32 v[44:45], v31 offset0:32 offset1:48
	ds_load_2addr_b32 v[46:47], v31 offset0:64 offset1:80
	;; [unrolled: 1-line block ×3, first 2 shown]
	ds_load_b128 v[36:39], v30 offset:16
	ds_load_2addr_b32 v[50:51], v31 offset0:128 offset1:144
	ds_load_b128 v[40:43], v30 offset:528
	s_add_nc_u64 s[20:21], s[20:21], 8
	v_add_nc_u64_e32 v[18:19], s[16:17], v[18:19]
	v_cmp_lt_i64_e64 s23, s[20:21], s[36:37]
	v_add_nc_u64_e32 v[20:21], 16, v[20:21]
	s_and_b32 vcc_lo, exec_lo, s23
	s_wait_dscnt 0x7
	v_pk_fma_f32 v[16:17], v[26:27], v[22:23], v[16:17] op_sel_hi:[1,0,1]
	s_wait_dscnt 0x6
	v_pk_fma_f32 v[14:15], v[26:27], v[32:33], v[14:15] op_sel_hi:[1,0,1]
	ds_load_2addr_b32 v[26:27], v31 offset0:160 offset1:176
	s_wait_dscnt 0x6
	v_pk_fma_f32 v[16:17], v[44:45], v[22:23], v[16:17] op_sel:[0,1,0]
	v_pk_fma_f32 v[14:15], v[44:45], v[32:33], v[14:15] op_sel:[0,1,0]
	ds_load_2addr_b32 v[22:23], v31 offset0:192 offset1:208
	v_dual_mov_b32 v32, v25 :: v_dual_mov_b32 v44, v35
	s_wait_dscnt 0x6
	v_pk_fma_f32 v[16:17], v[46:47], v[24:25], v[16:17] op_sel_hi:[1,0,1]
	v_pk_fma_f32 v[14:15], v[46:47], v[34:35], v[14:15] op_sel_hi:[1,0,1]
	ds_load_2addr_b32 v[24:25], v31 offset0:224 offset1:240
	s_wait_dscnt 0x0
	s_barrier_signal -1
	v_pk_fma_f32 v[16:17], v[48:49], v[32:33], v[16:17] op_sel_hi:[1,0,1]
	v_pk_fma_f32 v[14:15], v[48:49], v[44:45], v[14:15] op_sel_hi:[1,0,1]
	s_barrier_wait -1
	v_mov_b32_e32 v32, v43
	s_delay_alu instid0(VALU_DEP_3) | instskip(NEXT) | instid1(VALU_DEP_3)
	v_pk_fma_f32 v[16:17], v[50:51], v[36:37], v[16:17] op_sel_hi:[1,0,1]
	v_pk_fma_f32 v[14:15], v[50:51], v[40:41], v[14:15] op_sel_hi:[1,0,1]
	s_delay_alu instid0(VALU_DEP_2) | instskip(NEXT) | instid1(VALU_DEP_2)
	v_pk_fma_f32 v[16:17], v[26:27], v[36:37], v[16:17] op_sel:[0,1,0]
	v_pk_fma_f32 v[14:15], v[26:27], v[40:41], v[14:15] op_sel:[0,1,0]
	v_mov_b32_e32 v26, v39
	s_delay_alu instid0(VALU_DEP_3) | instskip(NEXT) | instid1(VALU_DEP_3)
	v_pk_fma_f32 v[16:17], v[22:23], v[38:39], v[16:17] op_sel_hi:[1,0,1]
	v_pk_fma_f32 v[14:15], v[22:23], v[42:43], v[14:15] op_sel_hi:[1,0,1]
	s_delay_alu instid0(VALU_DEP_2) | instskip(NEXT) | instid1(VALU_DEP_2)
	v_pk_fma_f32 v[16:17], v[24:25], v[26:27], v[16:17] op_sel_hi:[1,0,1]
	v_pk_fma_f32 v[14:15], v[24:25], v[32:33], v[14:15] op_sel_hi:[1,0,1]
	s_cbranch_vccz .LBB411_11
.LBB411_7:                              ;   Parent Loop BB411_4 Depth=1
                                        ; =>  This Inner Loop Header: Depth=2
	v_add_nc_u64_e32 v[22:23], s[20:21], v[2:3]
	s_delay_alu instid0(VALU_DEP_1) | instskip(SKIP_2) | instid1(SALU_CYCLE_1)
	v_cmp_gt_i64_e32 vcc_lo, s[36:37], v[22:23]
	v_mov_b32_e32 v22, 0
	s_and_b32 s24, s0, vcc_lo
	s_and_saveexec_b32 s23, s24
	s_cbranch_execz .LBB411_9
; %bb.8:                                ;   in Loop: Header=BB411_7 Depth=2
	global_load_u16 v22, v[20:21], off
	s_wait_loadcnt 0x0
	v_cvt_f32_f16_e32 v22, v22
.LBB411_9:                              ;   in Loop: Header=BB411_7 Depth=2
	s_wait_xcnt 0x0
	s_or_b32 exec_lo, exec_lo, s23
	v_add_nc_u64_e32 v[24:25], s[20:21], v[0:1]
	v_mov_b32_e32 v23, 0
	ds_store_b32 v28, v22
	v_cmp_gt_i64_e32 vcc_lo, s[36:37], v[24:25]
	s_and_b32 s24, vcc_lo, s1
	s_delay_alu instid0(SALU_CYCLE_1)
	s_and_saveexec_b32 s23, s24
	s_cbranch_execz .LBB411_6
; %bb.10:                               ;   in Loop: Header=BB411_7 Depth=2
	global_load_u16 v22, v[18:19], off
	s_wait_loadcnt 0x0
	v_cvt_f32_f16_e32 v23, v22
	s_branch .LBB411_6
.LBB411_11:                             ;   in Loop: Header=BB411_4 Depth=1
	s_mul_u64 s[20:21], s[26:27], s[34:35]
	s_and_not1_b32 vcc_lo, exec_lo, s39
	s_lshl_b64 s[20:21], s[20:21], 2
	s_delay_alu instid0(SALU_CYCLE_1)
	s_add_nc_u64 s[20:21], s[14:15], s[20:21]
	s_cbranch_vccnz .LBB411_16
; %bb.12:                               ;   in Loop: Header=BB411_4 Depth=1
	s_and_saveexec_b32 s23, s2
	s_cbranch_execz .LBB411_23
; %bb.13:                               ;   in Loop: Header=BB411_4 Depth=1
	v_lshl_add_u64 v[18:19], v[4:5], 2, s[20:21]
	s_delay_alu instid0(VALU_DEP_1)
	v_lshl_add_u64 v[20:21], v[6:7], 2, v[18:19]
	s_and_saveexec_b32 s24, s3
	s_cbranch_execnz .LBB411_17
; %bb.14:                               ;   in Loop: Header=BB411_4 Depth=1
	s_or_b32 exec_lo, exec_lo, s24
	s_and_saveexec_b32 s24, s4
	s_cbranch_execnz .LBB411_18
.LBB411_15:                             ;   in Loop: Header=BB411_4 Depth=1
	s_or_b32 exec_lo, exec_lo, s24
	s_delay_alu instid0(SALU_CYCLE_1)
	s_and_b32 exec_lo, exec_lo, s5
	s_cbranch_execnz .LBB411_19
	s_branch .LBB411_23
.LBB411_16:                             ;   in Loop: Header=BB411_4 Depth=1
	s_branch .LBB411_24
.LBB411_17:                             ;   in Loop: Header=BB411_4 Depth=1
	v_mul_f32_e32 v22, s38, v16
	global_store_b32 v[20:21], v22, off
	s_wait_xcnt 0x0
	s_or_b32 exec_lo, exec_lo, s24
	s_and_saveexec_b32 s24, s4
	s_cbranch_execz .LBB411_15
.LBB411_18:                             ;   in Loop: Header=BB411_4 Depth=1
	v_mul_f32_e32 v22, s38, v17
	global_store_b32 v[20:21], v22, off offset:64
	s_wait_xcnt 0x0
	s_or_b32 exec_lo, exec_lo, s24
	s_delay_alu instid0(SALU_CYCLE_1)
	s_and_b32 exec_lo, exec_lo, s5
	s_cbranch_execz .LBB411_23
.LBB411_19:                             ;   in Loop: Header=BB411_4 Depth=1
	v_lshl_add_u64 v[18:19], s[6:7], 2, v[18:19]
	s_delay_alu instid0(VALU_DEP_1)
	v_lshl_add_u64 v[18:19], v[6:7], 2, v[18:19]
	s_and_saveexec_b32 s24, s3
	s_cbranch_execz .LBB411_21
; %bb.20:                               ;   in Loop: Header=BB411_4 Depth=1
	v_mul_f32_e32 v20, s38, v14
	global_store_b32 v[18:19], v20, off
.LBB411_21:                             ;   in Loop: Header=BB411_4 Depth=1
	s_wait_xcnt 0x0
	s_or_b32 exec_lo, exec_lo, s24
	s_delay_alu instid0(SALU_CYCLE_1)
	s_and_b32 exec_lo, exec_lo, s4
	s_cbranch_execz .LBB411_23
; %bb.22:                               ;   in Loop: Header=BB411_4 Depth=1
	v_mul_f32_e32 v20, s38, v15
	global_store_b32 v[18:19], v20, off offset:64
.LBB411_23:                             ;   in Loop: Header=BB411_4 Depth=1
	s_wait_xcnt 0x0
	s_or_b32 exec_lo, exec_lo, s23
	s_cbranch_execnz .LBB411_3
.LBB411_24:                             ;   in Loop: Header=BB411_4 Depth=1
	s_and_saveexec_b32 s23, s2
	s_cbranch_execz .LBB411_2
; %bb.25:                               ;   in Loop: Header=BB411_4 Depth=1
	s_mul_u64 s[24:25], s[12:13], s[34:35]
	v_lshlrev_b64_e32 v[18:19], 2, v[6:7]
	v_lshl_add_u64 v[20:21], s[24:25], 2, v[8:9]
	v_lshl_add_u64 v[22:23], v[4:5], 2, s[20:21]
	s_delay_alu instid0(VALU_DEP_2) | instskip(NEXT) | instid1(VALU_DEP_2)
	v_add_nc_u64_e32 v[26:27], v[20:21], v[18:19]
	v_add_nc_u64_e32 v[24:25], v[22:23], v[18:19]
	s_and_saveexec_b32 s20, s3
	s_cbranch_execnz .LBB411_28
; %bb.26:                               ;   in Loop: Header=BB411_4 Depth=1
	s_or_b32 exec_lo, exec_lo, s20
	s_and_saveexec_b32 s20, s4
	s_cbranch_execnz .LBB411_29
.LBB411_27:                             ;   in Loop: Header=BB411_4 Depth=1
	s_or_b32 exec_lo, exec_lo, s20
	s_delay_alu instid0(SALU_CYCLE_1)
	s_and_b32 exec_lo, exec_lo, s5
	s_cbranch_execz .LBB411_2
	s_branch .LBB411_30
.LBB411_28:                             ;   in Loop: Header=BB411_4 Depth=1
	global_load_b32 v33, v[26:27], off
	v_mov_b64_e32 v[34:35], s[40:41]
	v_mov_b32_e32 v32, v16
	s_wait_loadcnt 0x0
	s_delay_alu instid0(VALU_DEP_1) | instskip(NEXT) | instid1(VALU_DEP_1)
	v_pk_mul_f32 v[32:33], v[34:35], v[32:33]
	v_add_f32_e32 v16, v32, v33
	global_store_b32 v[24:25], v16, off
	s_wait_xcnt 0x0
	s_or_b32 exec_lo, exec_lo, s20
	s_and_saveexec_b32 s20, s4
	s_cbranch_execz .LBB411_27
.LBB411_29:                             ;   in Loop: Header=BB411_4 Depth=1
	global_load_b32 v27, v[26:27], off offset:64
	s_wait_xcnt 0x0
	v_mov_b32_e32 v26, v17
	v_mov_b64_e32 v[16:17], s[40:41]
	s_wait_loadcnt 0x0
	s_delay_alu instid0(VALU_DEP_1) | instskip(NEXT) | instid1(VALU_DEP_1)
	v_pk_mul_f32 v[16:17], v[16:17], v[26:27]
	v_add_f32_e32 v16, v16, v17
	global_store_b32 v[24:25], v16, off offset:64
	s_wait_xcnt 0x0
	s_or_b32 exec_lo, exec_lo, s20
	s_delay_alu instid0(SALU_CYCLE_1)
	s_and_b32 exec_lo, exec_lo, s5
	s_cbranch_execz .LBB411_2
.LBB411_30:                             ;   in Loop: Header=BB411_4 Depth=1
	v_lshl_add_u64 v[16:17], s[10:11], 2, v[20:21]
	v_lshl_add_u64 v[22:23], s[6:7], 2, v[22:23]
	s_delay_alu instid0(VALU_DEP_2) | instskip(NEXT) | instid1(VALU_DEP_2)
	v_add_nc_u64_e32 v[20:21], v[16:17], v[18:19]
	v_add_nc_u64_e32 v[16:17], v[22:23], v[18:19]
	s_and_saveexec_b32 s20, s3
	s_cbranch_execz .LBB411_32
; %bb.31:                               ;   in Loop: Header=BB411_4 Depth=1
	global_load_b32 v19, v[20:21], off
	v_mov_b64_e32 v[22:23], s[40:41]
	v_mov_b32_e32 v18, v14
	s_wait_loadcnt 0x0
	s_delay_alu instid0(VALU_DEP_1) | instskip(NEXT) | instid1(VALU_DEP_1)
	v_pk_mul_f32 v[18:19], v[22:23], v[18:19]
	v_add_f32_e32 v14, v18, v19
	global_store_b32 v[16:17], v14, off
.LBB411_32:                             ;   in Loop: Header=BB411_4 Depth=1
	s_wait_xcnt 0x0
	s_or_b32 exec_lo, exec_lo, s20
	s_delay_alu instid0(SALU_CYCLE_1)
	s_and_b32 exec_lo, exec_lo, s4
	s_cbranch_execz .LBB411_2
; %bb.33:                               ;   in Loop: Header=BB411_4 Depth=1
	global_load_b32 v19, v[20:21], off offset:64
	v_mov_b32_e32 v18, v15
	v_mov_b64_e32 v[14:15], s[40:41]
	s_wait_loadcnt 0x0
	s_delay_alu instid0(VALU_DEP_1) | instskip(NEXT) | instid1(VALU_DEP_1)
	v_pk_mul_f32 v[14:15], v[14:15], v[18:19]
	v_add_f32_e32 v14, v14, v15
	global_store_b32 v[16:17], v14, off offset:64
	s_branch .LBB411_2
.LBB411_34:
	s_endpgm
	.section	.rodata,"a",@progbits
	.p2align	6, 0x0
	.amdhsa_kernel _ZN12_GLOBAL__N_135rocblas_gemm_batched_general_kernelIfLi16ELi16ELi32ELi32ELi8ELi32ELi8ELi8ELi32ELc84ELc84EKDF16_KffEEvlllT_PT11_llS5_llS3_PT12_llPT13_lli
		.amdhsa_group_segment_fixed_size 2048
		.amdhsa_private_segment_fixed_size 0
		.amdhsa_kernarg_size 140
		.amdhsa_user_sgpr_count 2
		.amdhsa_user_sgpr_dispatch_ptr 0
		.amdhsa_user_sgpr_queue_ptr 0
		.amdhsa_user_sgpr_kernarg_segment_ptr 1
		.amdhsa_user_sgpr_dispatch_id 0
		.amdhsa_user_sgpr_kernarg_preload_length 0
		.amdhsa_user_sgpr_kernarg_preload_offset 0
		.amdhsa_user_sgpr_private_segment_size 0
		.amdhsa_wavefront_size32 1
		.amdhsa_uses_dynamic_stack 0
		.amdhsa_enable_private_segment 0
		.amdhsa_system_sgpr_workgroup_id_x 1
		.amdhsa_system_sgpr_workgroup_id_y 1
		.amdhsa_system_sgpr_workgroup_id_z 1
		.amdhsa_system_sgpr_workgroup_info 0
		.amdhsa_system_vgpr_workitem_id 1
		.amdhsa_next_free_vgpr 52
		.amdhsa_next_free_sgpr 44
		.amdhsa_named_barrier_count 0
		.amdhsa_reserve_vcc 1
		.amdhsa_float_round_mode_32 0
		.amdhsa_float_round_mode_16_64 0
		.amdhsa_float_denorm_mode_32 3
		.amdhsa_float_denorm_mode_16_64 3
		.amdhsa_fp16_overflow 0
		.amdhsa_memory_ordered 1
		.amdhsa_forward_progress 1
		.amdhsa_inst_pref_size 14
		.amdhsa_round_robin_scheduling 0
		.amdhsa_exception_fp_ieee_invalid_op 0
		.amdhsa_exception_fp_denorm_src 0
		.amdhsa_exception_fp_ieee_div_zero 0
		.amdhsa_exception_fp_ieee_overflow 0
		.amdhsa_exception_fp_ieee_underflow 0
		.amdhsa_exception_fp_ieee_inexact 0
		.amdhsa_exception_int_div_zero 0
	.end_amdhsa_kernel
	.section	.text._ZN12_GLOBAL__N_135rocblas_gemm_batched_general_kernelIfLi16ELi16ELi32ELi32ELi8ELi32ELi8ELi8ELi32ELc84ELc84EKDF16_KffEEvlllT_PT11_llS5_llS3_PT12_llPT13_lli,"axG",@progbits,_ZN12_GLOBAL__N_135rocblas_gemm_batched_general_kernelIfLi16ELi16ELi32ELi32ELi8ELi32ELi8ELi8ELi32ELc84ELc84EKDF16_KffEEvlllT_PT11_llS5_llS3_PT12_llPT13_lli,comdat
.Lfunc_end411:
	.size	_ZN12_GLOBAL__N_135rocblas_gemm_batched_general_kernelIfLi16ELi16ELi32ELi32ELi8ELi32ELi8ELi8ELi32ELc84ELc84EKDF16_KffEEvlllT_PT11_llS5_llS3_PT12_llPT13_lli, .Lfunc_end411-_ZN12_GLOBAL__N_135rocblas_gemm_batched_general_kernelIfLi16ELi16ELi32ELi32ELi8ELi32ELi8ELi8ELi32ELc84ELc84EKDF16_KffEEvlllT_PT11_llS5_llS3_PT12_llPT13_lli
                                        ; -- End function
	.set _ZN12_GLOBAL__N_135rocblas_gemm_batched_general_kernelIfLi16ELi16ELi32ELi32ELi8ELi32ELi8ELi8ELi32ELc84ELc84EKDF16_KffEEvlllT_PT11_llS5_llS3_PT12_llPT13_lli.num_vgpr, 52
	.set _ZN12_GLOBAL__N_135rocblas_gemm_batched_general_kernelIfLi16ELi16ELi32ELi32ELi8ELi32ELi8ELi8ELi32ELc84ELc84EKDF16_KffEEvlllT_PT11_llS5_llS3_PT12_llPT13_lli.num_agpr, 0
	.set _ZN12_GLOBAL__N_135rocblas_gemm_batched_general_kernelIfLi16ELi16ELi32ELi32ELi8ELi32ELi8ELi8ELi32ELc84ELc84EKDF16_KffEEvlllT_PT11_llS5_llS3_PT12_llPT13_lli.numbered_sgpr, 44
	.set _ZN12_GLOBAL__N_135rocblas_gemm_batched_general_kernelIfLi16ELi16ELi32ELi32ELi8ELi32ELi8ELi8ELi32ELc84ELc84EKDF16_KffEEvlllT_PT11_llS5_llS3_PT12_llPT13_lli.num_named_barrier, 0
	.set _ZN12_GLOBAL__N_135rocblas_gemm_batched_general_kernelIfLi16ELi16ELi32ELi32ELi8ELi32ELi8ELi8ELi32ELc84ELc84EKDF16_KffEEvlllT_PT11_llS5_llS3_PT12_llPT13_lli.private_seg_size, 0
	.set _ZN12_GLOBAL__N_135rocblas_gemm_batched_general_kernelIfLi16ELi16ELi32ELi32ELi8ELi32ELi8ELi8ELi32ELc84ELc84EKDF16_KffEEvlllT_PT11_llS5_llS3_PT12_llPT13_lli.uses_vcc, 1
	.set _ZN12_GLOBAL__N_135rocblas_gemm_batched_general_kernelIfLi16ELi16ELi32ELi32ELi8ELi32ELi8ELi8ELi32ELc84ELc84EKDF16_KffEEvlllT_PT11_llS5_llS3_PT12_llPT13_lli.uses_flat_scratch, 0
	.set _ZN12_GLOBAL__N_135rocblas_gemm_batched_general_kernelIfLi16ELi16ELi32ELi32ELi8ELi32ELi8ELi8ELi32ELc84ELc84EKDF16_KffEEvlllT_PT11_llS5_llS3_PT12_llPT13_lli.has_dyn_sized_stack, 0
	.set _ZN12_GLOBAL__N_135rocblas_gemm_batched_general_kernelIfLi16ELi16ELi32ELi32ELi8ELi32ELi8ELi8ELi32ELc84ELc84EKDF16_KffEEvlllT_PT11_llS5_llS3_PT12_llPT13_lli.has_recursion, 0
	.set _ZN12_GLOBAL__N_135rocblas_gemm_batched_general_kernelIfLi16ELi16ELi32ELi32ELi8ELi32ELi8ELi8ELi32ELc84ELc84EKDF16_KffEEvlllT_PT11_llS5_llS3_PT12_llPT13_lli.has_indirect_call, 0
	.section	.AMDGPU.csdata,"",@progbits
; Kernel info:
; codeLenInByte = 1768
; TotalNumSgprs: 46
; NumVgprs: 52
; ScratchSize: 0
; MemoryBound: 0
; FloatMode: 240
; IeeeMode: 1
; LDSByteSize: 2048 bytes/workgroup (compile time only)
; SGPRBlocks: 0
; VGPRBlocks: 3
; NumSGPRsForWavesPerEU: 46
; NumVGPRsForWavesPerEU: 52
; NamedBarCnt: 0
; Occupancy: 16
; WaveLimiterHint : 0
; COMPUTE_PGM_RSRC2:SCRATCH_EN: 0
; COMPUTE_PGM_RSRC2:USER_SGPR: 2
; COMPUTE_PGM_RSRC2:TRAP_HANDLER: 0
; COMPUTE_PGM_RSRC2:TGID_X_EN: 1
; COMPUTE_PGM_RSRC2:TGID_Y_EN: 1
; COMPUTE_PGM_RSRC2:TGID_Z_EN: 1
; COMPUTE_PGM_RSRC2:TIDIG_COMP_CNT: 1
	.section	.text._ZN12_GLOBAL__N_135rocblas_gemm_batched_general_kernelIfLi16ELi16ELi32ELi32ELi8ELi32ELi8ELi8ELi32ELc67ELc67EKDF16_KffEEvlllT_PT11_llS5_llS3_PT12_llPT13_lli,"axG",@progbits,_ZN12_GLOBAL__N_135rocblas_gemm_batched_general_kernelIfLi16ELi16ELi32ELi32ELi8ELi32ELi8ELi8ELi32ELc67ELc67EKDF16_KffEEvlllT_PT11_llS5_llS3_PT12_llPT13_lli,comdat
	.globl	_ZN12_GLOBAL__N_135rocblas_gemm_batched_general_kernelIfLi16ELi16ELi32ELi32ELi8ELi32ELi8ELi8ELi32ELc67ELc67EKDF16_KffEEvlllT_PT11_llS5_llS3_PT12_llPT13_lli ; -- Begin function _ZN12_GLOBAL__N_135rocblas_gemm_batched_general_kernelIfLi16ELi16ELi32ELi32ELi8ELi32ELi8ELi8ELi32ELc67ELc67EKDF16_KffEEvlllT_PT11_llS5_llS3_PT12_llPT13_lli
	.p2align	8
	.type	_ZN12_GLOBAL__N_135rocblas_gemm_batched_general_kernelIfLi16ELi16ELi32ELi32ELi8ELi32ELi8ELi8ELi32ELc67ELc67EKDF16_KffEEvlllT_PT11_llS5_llS3_PT12_llPT13_lli,@function
_ZN12_GLOBAL__N_135rocblas_gemm_batched_general_kernelIfLi16ELi16ELi32ELi32ELi8ELi32ELi8ELi8ELi32ELc67ELc67EKDF16_KffEEvlllT_PT11_llS5_llS3_PT12_llPT13_lli: ; @_ZN12_GLOBAL__N_135rocblas_gemm_batched_general_kernelIfLi16ELi16ELi32ELi32ELi8ELi32ELi8ELi8ELi32ELc67ELc67EKDF16_KffEEvlllT_PT11_llS5_llS3_PT12_llPT13_lli
; %bb.0:
	s_load_b32 s33, s[0:1], 0x88
	s_bfe_u32 s2, ttmp6, 0x40014
	s_lshr_b32 s3, ttmp7, 16
	s_add_co_i32 s2, s2, 1
	s_bfe_u32 s5, ttmp6, 0x40008
	s_mul_i32 s4, s3, s2
	s_getreg_b32 s2, hwreg(HW_REG_IB_STS2, 6, 4)
	s_add_co_i32 s5, s5, s4
	s_cmp_eq_u32 s2, 0
	s_mov_b32 s35, 0
	s_cselect_b32 s34, s3, s5
	s_wait_kmcnt 0x0
	s_cmp_ge_i32 s34, s33
	s_cbranch_scc1 .LBB412_34
; %bb.1:
	s_clause 0x4
	s_load_b128 s[4:7], s[0:1], 0x0
	s_load_b256 s[16:23], s[0:1], 0x20
	s_load_b128 s[28:31], s[0:1], 0x40
	s_load_b32 s41, s[0:1], 0x50
	s_load_b256 s[8:15], s[0:1], 0x58
	v_bfe_u32 v8, v0, 10, 10
	v_and_b32_e32 v10, 0x3ff, v0
	v_dual_mov_b32 v9, 0 :: v_dual_bitop2_b32 v0, 7, v0 bitop3:0x40
	s_bfe_u32 s3, ttmp6, 0x4000c
	s_bfe_u32 s25, ttmp6, 0x40010
	s_add_co_i32 s3, s3, 1
	s_and_b32 s26, ttmp7, 0xffff
	s_add_co_i32 s25, s25, 1
	s_and_b32 s24, ttmp6, 15
	s_mul_i32 s3, ttmp9, s3
	s_mul_i32 s25, s26, s25
	s_bfe_u32 s27, ttmp6, 0x40004
	v_lshl_add_u32 v2, v8, 4, v10
	v_mov_b32_e32 v1, v9
	s_add_co_i32 s24, s24, s3
	s_add_co_i32 s27, s27, s25
	s_cmp_eq_u32 s2, 0
	v_and_b32_e32 v3, 31, v2
	s_cselect_b32 s2, ttmp9, s24
	s_wait_kmcnt 0x0
	v_mul_u64_e32 v[12:13], s[28:29], v[0:1]
	s_cselect_b32 s40, s26, s27
	s_ashr_i32 s3, s2, 31
	s_clause 0x1
	s_load_b128 s[24:27], s[0:1], 0x78
	s_load_b96 s[36:38], s[0:1], 0x10
	s_lshl_b64 s[2:3], s[2:3], 5
	s_lshl_b32 s42, s40, 5
	v_dual_mov_b32 v5, s3 :: v_dual_bitop2_b32 v4, s2, v3 bitop3:0x54
	s_mov_b32 s43, s35
	v_dual_mov_b32 v11, v9 :: v_dual_lshrrev_b32 v16, 3, v2
	v_add_nc_u64_e32 v[14:15], s[42:43], v[8:9]
	s_delay_alu instid0(VALU_DEP_3)
	v_mul_u64_e32 v[18:19], s[18:19], v[4:5]
	v_dual_mov_b32 v17, v9 :: v_dual_lshrrev_b32 v2, 5, v2
	s_wait_xcnt 0x0
	v_cmp_gt_i64_e64 s0, s[4:5], v[4:5]
	s_cmp_eq_f32 s41, 0
	v_dual_lshlrev_b32 v22, 2, v0 :: v_dual_lshlrev_b32 v23, 2, v3
	v_mul_u64_e32 v[20:21], s[10:11], v[14:15]
	v_add_nc_u64_e32 v[6:7], s[42:43], v[16:17]
	s_cselect_b32 s39, -1, 0
	s_wait_kmcnt 0x0
	v_mul_u64_e32 v[4:5], s[24:25], v[14:15]
	v_mov_b32_e32 v3, v9
	v_lshl_add_u32 v30, v8, 5, 0x400
	v_lshlrev_b32_e32 v8, 1, v16
	v_lshl_or_b32 v17, v16, 5, v22
	v_cmp_gt_i64_e64 s1, s[6:7], v[6:7]
	v_add_nc_u64_e32 v[6:7], s[2:3], v[10:11]
	s_lshl_b32 s2, s40, 6
	s_mov_b32 s3, s35
	v_lshlrev_b32_e32 v31, 2, v10
	v_lshl_add_u64 v[12:13], v[12:13], 1, s[2:3]
	v_lshl_or_b32 v28, v2, 7, v23
	v_add_nc_u32_e32 v29, 0x400, v17
	v_add_nc_u64_e32 v[16:17], 16, v[6:7]
	v_add_nc_u64_e32 v[22:23], 16, v[14:15]
	;; [unrolled: 1-line block ×3, first 2 shown]
	v_lshlrev_b32_e32 v8, 1, v2
	v_cmp_gt_i64_e64 s2, s[6:7], v[14:15]
	v_cmp_gt_i64_e64 s3, s[4:5], v[6:7]
	s_mov_b32 s40, s38
	v_cmp_gt_i64_e64 s4, s[4:5], v[16:17]
	v_cmp_gt_i64_e64 s5, s[6:7], v[22:23]
	v_lshl_add_u64 v[12:13], v[18:19], 1, v[8:9]
	v_add_nc_u64_e32 v[10:11], s[22:23], v[10:11]
	v_cmp_gt_i64_e64 s22, s[36:37], 0
	s_lshl_b64 s[6:7], s[24:25], 4
	s_lshl_b64 s[10:11], s[10:11], 4
	v_add_nc_u64_e32 v[12:13], s[16:17], v[12:13]
	s_lshl_b64 s[16:17], s[28:29], 4
	v_lshl_add_u64 v[8:9], v[20:21], 2, s[8:9]
	s_lshl_b64 s[8:9], s[30:31], 1
	s_lshl_b64 s[18:19], s[20:21], 1
	s_branch .LBB412_4
.LBB412_2:                              ;   in Loop: Header=BB412_4 Depth=1
	s_wait_xcnt 0x0
	s_or_b32 exec_lo, exec_lo, s23
.LBB412_3:                              ;   in Loop: Header=BB412_4 Depth=1
	s_add_co_i32 s34, s34, 0x10000
	s_delay_alu instid0(SALU_CYCLE_1)
	s_cmp_lt_i32 s34, s33
	s_cbranch_scc0 .LBB412_34
.LBB412_4:                              ; =>This Loop Header: Depth=1
                                        ;     Child Loop BB412_7 Depth 2
	v_dual_mov_b32 v17, 0 :: v_dual_mov_b32 v16, 0
	v_dual_mov_b32 v15, 0 :: v_dual_mov_b32 v14, 0
	s_and_not1_b32 vcc_lo, exec_lo, s22
	s_cbranch_vccnz .LBB412_11
; %bb.5:                                ;   in Loop: Header=BB412_4 Depth=1
	v_mad_nc_u64_u32 v[18:19], s8, s34, v[10:11]
	v_mad_nc_u64_u32 v[20:21], s18, s34, v[12:13]
	v_mov_b32_e32 v16, 0
	s_mov_b64 s[20:21], 0
	s_delay_alu instid0(VALU_DEP_1)
	v_dual_mov_b32 v17, v16 :: v_dual_mov_b32 v14, v16
	v_mov_b32_e32 v15, v16
	v_mad_u32 v19, s9, s34, v19
	v_mad_u32 v21, s19, s34, v21
	s_branch .LBB412_7
.LBB412_6:                              ;   in Loop: Header=BB412_7 Depth=2
	s_wait_xcnt 0x0
	s_or_b32 exec_lo, exec_lo, s23
	ds_store_b32 v29, v23
	s_wait_dscnt 0x0
	s_barrier_signal -1
	s_barrier_wait -1
	ds_load_b128 v[22:25], v30
	ds_load_2addr_b32 v[26:27], v31 offset1:16
	ds_load_b128 v[32:35], v30 offset:512
	ds_load_2addr_b32 v[44:45], v31 offset0:32 offset1:48
	ds_load_2addr_b32 v[46:47], v31 offset0:64 offset1:80
	;; [unrolled: 1-line block ×3, first 2 shown]
	ds_load_b128 v[36:39], v30 offset:16
	ds_load_2addr_b32 v[50:51], v31 offset0:128 offset1:144
	ds_load_b128 v[40:43], v30 offset:528
	s_add_nc_u64 s[20:21], s[20:21], 8
	v_add_nc_u64_e32 v[18:19], s[16:17], v[18:19]
	v_cmp_lt_i64_e64 s23, s[20:21], s[36:37]
	v_add_nc_u64_e32 v[20:21], 16, v[20:21]
	s_and_b32 vcc_lo, exec_lo, s23
	s_wait_dscnt 0x7
	v_pk_fma_f32 v[16:17], v[26:27], v[22:23], v[16:17] op_sel_hi:[1,0,1]
	s_wait_dscnt 0x6
	v_pk_fma_f32 v[14:15], v[26:27], v[32:33], v[14:15] op_sel_hi:[1,0,1]
	ds_load_2addr_b32 v[26:27], v31 offset0:160 offset1:176
	s_wait_dscnt 0x6
	v_pk_fma_f32 v[16:17], v[44:45], v[22:23], v[16:17] op_sel:[0,1,0]
	v_pk_fma_f32 v[14:15], v[44:45], v[32:33], v[14:15] op_sel:[0,1,0]
	ds_load_2addr_b32 v[22:23], v31 offset0:192 offset1:208
	v_dual_mov_b32 v32, v25 :: v_dual_mov_b32 v44, v35
	s_wait_dscnt 0x6
	v_pk_fma_f32 v[16:17], v[46:47], v[24:25], v[16:17] op_sel_hi:[1,0,1]
	v_pk_fma_f32 v[14:15], v[46:47], v[34:35], v[14:15] op_sel_hi:[1,0,1]
	ds_load_2addr_b32 v[24:25], v31 offset0:224 offset1:240
	s_wait_dscnt 0x0
	s_barrier_signal -1
	v_pk_fma_f32 v[16:17], v[48:49], v[32:33], v[16:17] op_sel_hi:[1,0,1]
	v_pk_fma_f32 v[14:15], v[48:49], v[44:45], v[14:15] op_sel_hi:[1,0,1]
	s_barrier_wait -1
	v_mov_b32_e32 v32, v43
	s_delay_alu instid0(VALU_DEP_3) | instskip(NEXT) | instid1(VALU_DEP_3)
	v_pk_fma_f32 v[16:17], v[50:51], v[36:37], v[16:17] op_sel_hi:[1,0,1]
	v_pk_fma_f32 v[14:15], v[50:51], v[40:41], v[14:15] op_sel_hi:[1,0,1]
	s_delay_alu instid0(VALU_DEP_2) | instskip(NEXT) | instid1(VALU_DEP_2)
	v_pk_fma_f32 v[16:17], v[26:27], v[36:37], v[16:17] op_sel:[0,1,0]
	v_pk_fma_f32 v[14:15], v[26:27], v[40:41], v[14:15] op_sel:[0,1,0]
	v_mov_b32_e32 v26, v39
	s_delay_alu instid0(VALU_DEP_3) | instskip(NEXT) | instid1(VALU_DEP_3)
	v_pk_fma_f32 v[16:17], v[22:23], v[38:39], v[16:17] op_sel_hi:[1,0,1]
	v_pk_fma_f32 v[14:15], v[22:23], v[42:43], v[14:15] op_sel_hi:[1,0,1]
	s_delay_alu instid0(VALU_DEP_2) | instskip(NEXT) | instid1(VALU_DEP_2)
	v_pk_fma_f32 v[16:17], v[24:25], v[26:27], v[16:17] op_sel_hi:[1,0,1]
	v_pk_fma_f32 v[14:15], v[24:25], v[32:33], v[14:15] op_sel_hi:[1,0,1]
	s_cbranch_vccz .LBB412_11
.LBB412_7:                              ;   Parent Loop BB412_4 Depth=1
                                        ; =>  This Inner Loop Header: Depth=2
	v_add_nc_u64_e32 v[22:23], s[20:21], v[2:3]
	s_delay_alu instid0(VALU_DEP_1) | instskip(SKIP_2) | instid1(SALU_CYCLE_1)
	v_cmp_gt_i64_e32 vcc_lo, s[36:37], v[22:23]
	v_mov_b32_e32 v22, 0
	s_and_b32 s24, s0, vcc_lo
	s_and_saveexec_b32 s23, s24
	s_cbranch_execz .LBB412_9
; %bb.8:                                ;   in Loop: Header=BB412_7 Depth=2
	global_load_u16 v22, v[20:21], off
	s_wait_loadcnt 0x0
	v_cvt_f32_f16_e32 v22, v22
.LBB412_9:                              ;   in Loop: Header=BB412_7 Depth=2
	s_wait_xcnt 0x0
	s_or_b32 exec_lo, exec_lo, s23
	v_add_nc_u64_e32 v[24:25], s[20:21], v[0:1]
	v_mov_b32_e32 v23, 0
	ds_store_b32 v28, v22
	v_cmp_gt_i64_e32 vcc_lo, s[36:37], v[24:25]
	s_and_b32 s24, vcc_lo, s1
	s_delay_alu instid0(SALU_CYCLE_1)
	s_and_saveexec_b32 s23, s24
	s_cbranch_execz .LBB412_6
; %bb.10:                               ;   in Loop: Header=BB412_7 Depth=2
	global_load_u16 v22, v[18:19], off
	s_wait_loadcnt 0x0
	v_cvt_f32_f16_e32 v23, v22
	s_branch .LBB412_6
.LBB412_11:                             ;   in Loop: Header=BB412_4 Depth=1
	s_mul_u64 s[20:21], s[26:27], s[34:35]
	s_and_not1_b32 vcc_lo, exec_lo, s39
	s_lshl_b64 s[20:21], s[20:21], 2
	s_delay_alu instid0(SALU_CYCLE_1)
	s_add_nc_u64 s[20:21], s[14:15], s[20:21]
	s_cbranch_vccnz .LBB412_16
; %bb.12:                               ;   in Loop: Header=BB412_4 Depth=1
	s_and_saveexec_b32 s23, s2
	s_cbranch_execz .LBB412_23
; %bb.13:                               ;   in Loop: Header=BB412_4 Depth=1
	v_lshl_add_u64 v[18:19], v[4:5], 2, s[20:21]
	s_delay_alu instid0(VALU_DEP_1)
	v_lshl_add_u64 v[20:21], v[6:7], 2, v[18:19]
	s_and_saveexec_b32 s24, s3
	s_cbranch_execnz .LBB412_17
; %bb.14:                               ;   in Loop: Header=BB412_4 Depth=1
	s_or_b32 exec_lo, exec_lo, s24
	s_and_saveexec_b32 s24, s4
	s_cbranch_execnz .LBB412_18
.LBB412_15:                             ;   in Loop: Header=BB412_4 Depth=1
	s_or_b32 exec_lo, exec_lo, s24
	s_delay_alu instid0(SALU_CYCLE_1)
	s_and_b32 exec_lo, exec_lo, s5
	s_cbranch_execnz .LBB412_19
	s_branch .LBB412_23
.LBB412_16:                             ;   in Loop: Header=BB412_4 Depth=1
	s_branch .LBB412_24
.LBB412_17:                             ;   in Loop: Header=BB412_4 Depth=1
	v_mul_f32_e32 v22, s38, v16
	global_store_b32 v[20:21], v22, off
	s_wait_xcnt 0x0
	s_or_b32 exec_lo, exec_lo, s24
	s_and_saveexec_b32 s24, s4
	s_cbranch_execz .LBB412_15
.LBB412_18:                             ;   in Loop: Header=BB412_4 Depth=1
	v_mul_f32_e32 v22, s38, v17
	global_store_b32 v[20:21], v22, off offset:64
	s_wait_xcnt 0x0
	s_or_b32 exec_lo, exec_lo, s24
	s_delay_alu instid0(SALU_CYCLE_1)
	s_and_b32 exec_lo, exec_lo, s5
	s_cbranch_execz .LBB412_23
.LBB412_19:                             ;   in Loop: Header=BB412_4 Depth=1
	v_lshl_add_u64 v[18:19], s[6:7], 2, v[18:19]
	s_delay_alu instid0(VALU_DEP_1)
	v_lshl_add_u64 v[18:19], v[6:7], 2, v[18:19]
	s_and_saveexec_b32 s24, s3
	s_cbranch_execz .LBB412_21
; %bb.20:                               ;   in Loop: Header=BB412_4 Depth=1
	v_mul_f32_e32 v20, s38, v14
	global_store_b32 v[18:19], v20, off
.LBB412_21:                             ;   in Loop: Header=BB412_4 Depth=1
	s_wait_xcnt 0x0
	s_or_b32 exec_lo, exec_lo, s24
	s_delay_alu instid0(SALU_CYCLE_1)
	s_and_b32 exec_lo, exec_lo, s4
	s_cbranch_execz .LBB412_23
; %bb.22:                               ;   in Loop: Header=BB412_4 Depth=1
	v_mul_f32_e32 v20, s38, v15
	global_store_b32 v[18:19], v20, off offset:64
.LBB412_23:                             ;   in Loop: Header=BB412_4 Depth=1
	s_wait_xcnt 0x0
	s_or_b32 exec_lo, exec_lo, s23
	s_cbranch_execnz .LBB412_3
.LBB412_24:                             ;   in Loop: Header=BB412_4 Depth=1
	s_and_saveexec_b32 s23, s2
	s_cbranch_execz .LBB412_2
; %bb.25:                               ;   in Loop: Header=BB412_4 Depth=1
	s_mul_u64 s[24:25], s[12:13], s[34:35]
	v_lshlrev_b64_e32 v[18:19], 2, v[6:7]
	v_lshl_add_u64 v[20:21], s[24:25], 2, v[8:9]
	v_lshl_add_u64 v[22:23], v[4:5], 2, s[20:21]
	s_delay_alu instid0(VALU_DEP_2) | instskip(NEXT) | instid1(VALU_DEP_2)
	v_add_nc_u64_e32 v[26:27], v[20:21], v[18:19]
	v_add_nc_u64_e32 v[24:25], v[22:23], v[18:19]
	s_and_saveexec_b32 s20, s3
	s_cbranch_execnz .LBB412_28
; %bb.26:                               ;   in Loop: Header=BB412_4 Depth=1
	s_or_b32 exec_lo, exec_lo, s20
	s_and_saveexec_b32 s20, s4
	s_cbranch_execnz .LBB412_29
.LBB412_27:                             ;   in Loop: Header=BB412_4 Depth=1
	s_or_b32 exec_lo, exec_lo, s20
	s_delay_alu instid0(SALU_CYCLE_1)
	s_and_b32 exec_lo, exec_lo, s5
	s_cbranch_execz .LBB412_2
	s_branch .LBB412_30
.LBB412_28:                             ;   in Loop: Header=BB412_4 Depth=1
	global_load_b32 v33, v[26:27], off
	v_mov_b64_e32 v[34:35], s[40:41]
	v_mov_b32_e32 v32, v16
	s_wait_loadcnt 0x0
	s_delay_alu instid0(VALU_DEP_1) | instskip(NEXT) | instid1(VALU_DEP_1)
	v_pk_mul_f32 v[32:33], v[34:35], v[32:33]
	v_add_f32_e32 v16, v32, v33
	global_store_b32 v[24:25], v16, off
	s_wait_xcnt 0x0
	s_or_b32 exec_lo, exec_lo, s20
	s_and_saveexec_b32 s20, s4
	s_cbranch_execz .LBB412_27
.LBB412_29:                             ;   in Loop: Header=BB412_4 Depth=1
	global_load_b32 v27, v[26:27], off offset:64
	s_wait_xcnt 0x0
	v_mov_b32_e32 v26, v17
	v_mov_b64_e32 v[16:17], s[40:41]
	s_wait_loadcnt 0x0
	s_delay_alu instid0(VALU_DEP_1) | instskip(NEXT) | instid1(VALU_DEP_1)
	v_pk_mul_f32 v[16:17], v[16:17], v[26:27]
	v_add_f32_e32 v16, v16, v17
	global_store_b32 v[24:25], v16, off offset:64
	s_wait_xcnt 0x0
	s_or_b32 exec_lo, exec_lo, s20
	s_delay_alu instid0(SALU_CYCLE_1)
	s_and_b32 exec_lo, exec_lo, s5
	s_cbranch_execz .LBB412_2
.LBB412_30:                             ;   in Loop: Header=BB412_4 Depth=1
	v_lshl_add_u64 v[16:17], s[10:11], 2, v[20:21]
	v_lshl_add_u64 v[22:23], s[6:7], 2, v[22:23]
	s_delay_alu instid0(VALU_DEP_2) | instskip(NEXT) | instid1(VALU_DEP_2)
	v_add_nc_u64_e32 v[20:21], v[16:17], v[18:19]
	v_add_nc_u64_e32 v[16:17], v[22:23], v[18:19]
	s_and_saveexec_b32 s20, s3
	s_cbranch_execz .LBB412_32
; %bb.31:                               ;   in Loop: Header=BB412_4 Depth=1
	global_load_b32 v19, v[20:21], off
	v_mov_b64_e32 v[22:23], s[40:41]
	v_mov_b32_e32 v18, v14
	s_wait_loadcnt 0x0
	s_delay_alu instid0(VALU_DEP_1) | instskip(NEXT) | instid1(VALU_DEP_1)
	v_pk_mul_f32 v[18:19], v[22:23], v[18:19]
	v_add_f32_e32 v14, v18, v19
	global_store_b32 v[16:17], v14, off
.LBB412_32:                             ;   in Loop: Header=BB412_4 Depth=1
	s_wait_xcnt 0x0
	s_or_b32 exec_lo, exec_lo, s20
	s_delay_alu instid0(SALU_CYCLE_1)
	s_and_b32 exec_lo, exec_lo, s4
	s_cbranch_execz .LBB412_2
; %bb.33:                               ;   in Loop: Header=BB412_4 Depth=1
	global_load_b32 v19, v[20:21], off offset:64
	v_mov_b32_e32 v18, v15
	v_mov_b64_e32 v[14:15], s[40:41]
	s_wait_loadcnt 0x0
	s_delay_alu instid0(VALU_DEP_1) | instskip(NEXT) | instid1(VALU_DEP_1)
	v_pk_mul_f32 v[14:15], v[14:15], v[18:19]
	v_add_f32_e32 v14, v14, v15
	global_store_b32 v[16:17], v14, off offset:64
	s_branch .LBB412_2
.LBB412_34:
	s_endpgm
	.section	.rodata,"a",@progbits
	.p2align	6, 0x0
	.amdhsa_kernel _ZN12_GLOBAL__N_135rocblas_gemm_batched_general_kernelIfLi16ELi16ELi32ELi32ELi8ELi32ELi8ELi8ELi32ELc67ELc67EKDF16_KffEEvlllT_PT11_llS5_llS3_PT12_llPT13_lli
		.amdhsa_group_segment_fixed_size 2048
		.amdhsa_private_segment_fixed_size 0
		.amdhsa_kernarg_size 140
		.amdhsa_user_sgpr_count 2
		.amdhsa_user_sgpr_dispatch_ptr 0
		.amdhsa_user_sgpr_queue_ptr 0
		.amdhsa_user_sgpr_kernarg_segment_ptr 1
		.amdhsa_user_sgpr_dispatch_id 0
		.amdhsa_user_sgpr_kernarg_preload_length 0
		.amdhsa_user_sgpr_kernarg_preload_offset 0
		.amdhsa_user_sgpr_private_segment_size 0
		.amdhsa_wavefront_size32 1
		.amdhsa_uses_dynamic_stack 0
		.amdhsa_enable_private_segment 0
		.amdhsa_system_sgpr_workgroup_id_x 1
		.amdhsa_system_sgpr_workgroup_id_y 1
		.amdhsa_system_sgpr_workgroup_id_z 1
		.amdhsa_system_sgpr_workgroup_info 0
		.amdhsa_system_vgpr_workitem_id 1
		.amdhsa_next_free_vgpr 52
		.amdhsa_next_free_sgpr 44
		.amdhsa_named_barrier_count 0
		.amdhsa_reserve_vcc 1
		.amdhsa_float_round_mode_32 0
		.amdhsa_float_round_mode_16_64 0
		.amdhsa_float_denorm_mode_32 3
		.amdhsa_float_denorm_mode_16_64 3
		.amdhsa_fp16_overflow 0
		.amdhsa_memory_ordered 1
		.amdhsa_forward_progress 1
		.amdhsa_inst_pref_size 14
		.amdhsa_round_robin_scheduling 0
		.amdhsa_exception_fp_ieee_invalid_op 0
		.amdhsa_exception_fp_denorm_src 0
		.amdhsa_exception_fp_ieee_div_zero 0
		.amdhsa_exception_fp_ieee_overflow 0
		.amdhsa_exception_fp_ieee_underflow 0
		.amdhsa_exception_fp_ieee_inexact 0
		.amdhsa_exception_int_div_zero 0
	.end_amdhsa_kernel
	.section	.text._ZN12_GLOBAL__N_135rocblas_gemm_batched_general_kernelIfLi16ELi16ELi32ELi32ELi8ELi32ELi8ELi8ELi32ELc67ELc67EKDF16_KffEEvlllT_PT11_llS5_llS3_PT12_llPT13_lli,"axG",@progbits,_ZN12_GLOBAL__N_135rocblas_gemm_batched_general_kernelIfLi16ELi16ELi32ELi32ELi8ELi32ELi8ELi8ELi32ELc67ELc67EKDF16_KffEEvlllT_PT11_llS5_llS3_PT12_llPT13_lli,comdat
.Lfunc_end412:
	.size	_ZN12_GLOBAL__N_135rocblas_gemm_batched_general_kernelIfLi16ELi16ELi32ELi32ELi8ELi32ELi8ELi8ELi32ELc67ELc67EKDF16_KffEEvlllT_PT11_llS5_llS3_PT12_llPT13_lli, .Lfunc_end412-_ZN12_GLOBAL__N_135rocblas_gemm_batched_general_kernelIfLi16ELi16ELi32ELi32ELi8ELi32ELi8ELi8ELi32ELc67ELc67EKDF16_KffEEvlllT_PT11_llS5_llS3_PT12_llPT13_lli
                                        ; -- End function
	.set _ZN12_GLOBAL__N_135rocblas_gemm_batched_general_kernelIfLi16ELi16ELi32ELi32ELi8ELi32ELi8ELi8ELi32ELc67ELc67EKDF16_KffEEvlllT_PT11_llS5_llS3_PT12_llPT13_lli.num_vgpr, 52
	.set _ZN12_GLOBAL__N_135rocblas_gemm_batched_general_kernelIfLi16ELi16ELi32ELi32ELi8ELi32ELi8ELi8ELi32ELc67ELc67EKDF16_KffEEvlllT_PT11_llS5_llS3_PT12_llPT13_lli.num_agpr, 0
	.set _ZN12_GLOBAL__N_135rocblas_gemm_batched_general_kernelIfLi16ELi16ELi32ELi32ELi8ELi32ELi8ELi8ELi32ELc67ELc67EKDF16_KffEEvlllT_PT11_llS5_llS3_PT12_llPT13_lli.numbered_sgpr, 44
	.set _ZN12_GLOBAL__N_135rocblas_gemm_batched_general_kernelIfLi16ELi16ELi32ELi32ELi8ELi32ELi8ELi8ELi32ELc67ELc67EKDF16_KffEEvlllT_PT11_llS5_llS3_PT12_llPT13_lli.num_named_barrier, 0
	.set _ZN12_GLOBAL__N_135rocblas_gemm_batched_general_kernelIfLi16ELi16ELi32ELi32ELi8ELi32ELi8ELi8ELi32ELc67ELc67EKDF16_KffEEvlllT_PT11_llS5_llS3_PT12_llPT13_lli.private_seg_size, 0
	.set _ZN12_GLOBAL__N_135rocblas_gemm_batched_general_kernelIfLi16ELi16ELi32ELi32ELi8ELi32ELi8ELi8ELi32ELc67ELc67EKDF16_KffEEvlllT_PT11_llS5_llS3_PT12_llPT13_lli.uses_vcc, 1
	.set _ZN12_GLOBAL__N_135rocblas_gemm_batched_general_kernelIfLi16ELi16ELi32ELi32ELi8ELi32ELi8ELi8ELi32ELc67ELc67EKDF16_KffEEvlllT_PT11_llS5_llS3_PT12_llPT13_lli.uses_flat_scratch, 0
	.set _ZN12_GLOBAL__N_135rocblas_gemm_batched_general_kernelIfLi16ELi16ELi32ELi32ELi8ELi32ELi8ELi8ELi32ELc67ELc67EKDF16_KffEEvlllT_PT11_llS5_llS3_PT12_llPT13_lli.has_dyn_sized_stack, 0
	.set _ZN12_GLOBAL__N_135rocblas_gemm_batched_general_kernelIfLi16ELi16ELi32ELi32ELi8ELi32ELi8ELi8ELi32ELc67ELc67EKDF16_KffEEvlllT_PT11_llS5_llS3_PT12_llPT13_lli.has_recursion, 0
	.set _ZN12_GLOBAL__N_135rocblas_gemm_batched_general_kernelIfLi16ELi16ELi32ELi32ELi8ELi32ELi8ELi8ELi32ELc67ELc67EKDF16_KffEEvlllT_PT11_llS5_llS3_PT12_llPT13_lli.has_indirect_call, 0
	.section	.AMDGPU.csdata,"",@progbits
; Kernel info:
; codeLenInByte = 1768
; TotalNumSgprs: 46
; NumVgprs: 52
; ScratchSize: 0
; MemoryBound: 0
; FloatMode: 240
; IeeeMode: 1
; LDSByteSize: 2048 bytes/workgroup (compile time only)
; SGPRBlocks: 0
; VGPRBlocks: 3
; NumSGPRsForWavesPerEU: 46
; NumVGPRsForWavesPerEU: 52
; NamedBarCnt: 0
; Occupancy: 16
; WaveLimiterHint : 0
; COMPUTE_PGM_RSRC2:SCRATCH_EN: 0
; COMPUTE_PGM_RSRC2:USER_SGPR: 2
; COMPUTE_PGM_RSRC2:TRAP_HANDLER: 0
; COMPUTE_PGM_RSRC2:TGID_X_EN: 1
; COMPUTE_PGM_RSRC2:TGID_Y_EN: 1
; COMPUTE_PGM_RSRC2:TGID_Z_EN: 1
; COMPUTE_PGM_RSRC2:TIDIG_COMP_CNT: 1
	.section	.text._ZN12_GLOBAL__N_135rocblas_gemm_batched_general_kernelIfLi16ELi16ELi32ELi32ELi8ELi32ELi8ELi8ELi32ELc67ELc78EKDF16_KffEEvlllT_PT11_llS5_llS3_PT12_llPT13_lli,"axG",@progbits,_ZN12_GLOBAL__N_135rocblas_gemm_batched_general_kernelIfLi16ELi16ELi32ELi32ELi8ELi32ELi8ELi8ELi32ELc67ELc78EKDF16_KffEEvlllT_PT11_llS5_llS3_PT12_llPT13_lli,comdat
	.globl	_ZN12_GLOBAL__N_135rocblas_gemm_batched_general_kernelIfLi16ELi16ELi32ELi32ELi8ELi32ELi8ELi8ELi32ELc67ELc78EKDF16_KffEEvlllT_PT11_llS5_llS3_PT12_llPT13_lli ; -- Begin function _ZN12_GLOBAL__N_135rocblas_gemm_batched_general_kernelIfLi16ELi16ELi32ELi32ELi8ELi32ELi8ELi8ELi32ELc67ELc78EKDF16_KffEEvlllT_PT11_llS5_llS3_PT12_llPT13_lli
	.p2align	8
	.type	_ZN12_GLOBAL__N_135rocblas_gemm_batched_general_kernelIfLi16ELi16ELi32ELi32ELi8ELi32ELi8ELi8ELi32ELc67ELc78EKDF16_KffEEvlllT_PT11_llS5_llS3_PT12_llPT13_lli,@function
_ZN12_GLOBAL__N_135rocblas_gemm_batched_general_kernelIfLi16ELi16ELi32ELi32ELi8ELi32ELi8ELi8ELi32ELc67ELc78EKDF16_KffEEvlllT_PT11_llS5_llS3_PT12_llPT13_lli: ; @_ZN12_GLOBAL__N_135rocblas_gemm_batched_general_kernelIfLi16ELi16ELi32ELi32ELi8ELi32ELi8ELi8ELi32ELc67ELc78EKDF16_KffEEvlllT_PT11_llS5_llS3_PT12_llPT13_lli
; %bb.0:
	s_load_b32 s33, s[0:1], 0x88
	s_bfe_u32 s2, ttmp6, 0x40014
	s_lshr_b32 s3, ttmp7, 16
	s_add_co_i32 s2, s2, 1
	s_bfe_u32 s5, ttmp6, 0x40008
	s_mul_i32 s4, s3, s2
	s_getreg_b32 s2, hwreg(HW_REG_IB_STS2, 6, 4)
	s_add_co_i32 s5, s5, s4
	s_cmp_eq_u32 s2, 0
	s_mov_b32 s35, 0
	s_cselect_b32 s34, s3, s5
	s_wait_kmcnt 0x0
	s_cmp_ge_i32 s34, s33
	s_cbranch_scc1 .LBB413_34
; %bb.1:
	v_bfe_u32 v8, v0, 10, 10
	v_and_b32_e32 v10, 0x3ff, v0
	s_bfe_u32 s3, ttmp6, 0x4000c
	s_bfe_u32 s25, ttmp6, 0x40010
	s_clause 0x2
	s_load_b256 s[16:23], s[0:1], 0x20
	s_load_b128 s[4:7], s[0:1], 0x40
	s_load_b256 s[8:15], s[0:1], 0x58
	s_add_co_i32 s3, s3, 1
	s_and_b32 s26, ttmp7, 0xffff
	s_add_co_i32 s25, s25, 1
	v_lshl_add_u32 v1, v8, 4, v10
	v_mov_b32_e32 v9, 0
	s_and_b32 s24, ttmp6, 15
	s_mul_i32 s3, ttmp9, s3
	s_mul_i32 s25, s26, s25
	s_bfe_u32 s27, ttmp6, 0x40004
	s_add_co_i32 s24, s24, s3
	s_add_co_i32 s27, s27, s25
	s_cmp_eq_u32 s2, 0
	v_dual_mov_b32 v7, v9 :: v_dual_lshrrev_b32 v6, 3, v1
	v_and_b32_e32 v4, 31, v1
	s_cselect_b32 s3, s26, s27
	s_cselect_b32 s2, ttmp9, s24
	s_lshl_b32 s36, s3, 5
	s_mov_b32 s37, s35
	s_ashr_i32 s3, s2, 31
	v_add_nc_u64_e32 v[12:13], s[36:37], v[6:7]
	s_clause 0x1
	s_load_b32 s41, s[0:1], 0x50
	s_load_b128 s[24:27], s[0:1], 0x78
	s_lshl_b64 s[2:3], s[2:3], 5
	v_add_nc_u64_e32 v[18:19], s[36:37], v[8:9]
	v_dual_mov_b32 v15, s3 :: v_dual_bitop2_b32 v14, s2, v4 bitop3:0x54
	s_wait_kmcnt 0x0
	v_mul_u64_e32 v[16:17], s[4:5], v[12:13]
	s_clause 0x1
	s_load_b128 s[28:31], s[0:1], 0x0
	s_load_b96 s[36:38], s[0:1], 0x10
	v_dual_mov_b32 v3, v9 :: v_dual_lshlrev_b32 v24, 2, v4
	v_mul_u64_e32 v[20:21], s[18:19], v[14:15]
	v_mul_u64_e32 v[22:23], s[10:11], v[18:19]
	v_dual_mov_b32 v11, v9 :: v_dual_bitop2_b32 v0, 7, v0 bitop3:0x40
	v_dual_mov_b32 v1, v9 :: v_dual_lshrrev_b32 v2, 5, v1
	v_lshl_add_u32 v30, v8, 5, 0x400
	s_delay_alu instid0(VALU_DEP_3) | instskip(SKIP_3) | instid1(VALU_DEP_3)
	v_dual_lshlrev_b32 v7, 2, v0 :: v_dual_lshlrev_b32 v8, 1, v0
	v_lshlrev_b32_e32 v31, 2, v10
	v_mul_u64_e32 v[4:5], s[24:25], v[18:19]
	s_cmp_eq_f32 s41, 0
	v_lshl_or_b32 v25, v6, 5, v7
	v_add_nc_u64_e32 v[6:7], s[2:3], v[10:11]
	v_lshl_or_b32 v28, v2, 7, v24
	s_cselect_b32 s39, -1, 0
	s_wait_kmcnt 0x0
	v_cmp_gt_i64_e64 s1, s[30:31], v[12:13]
	v_add_nc_u64_e32 v[12:13], 16, v[18:19]
	v_cmp_gt_i64_e64 s0, s[28:29], v[14:15]
	v_cmp_gt_i64_e64 s2, s[30:31], v[18:19]
	v_add_nc_u64_e32 v[10:11], 16, v[6:7]
	v_cmp_gt_i64_e64 s3, s[28:29], v[6:7]
	v_add_nc_u32_e32 v29, 0x400, v25
	s_lshl_b64 s[18:19], s[24:25], 4
	v_cmp_gt_i64_e64 s5, s[30:31], v[12:13]
	s_mov_b32 s40, s38
	s_lshl_b64 s[6:7], s[6:7], 1
	v_lshl_add_u64 v[14:15], v[16:17], 1, v[8:9]
	v_lshlrev_b32_e32 v8, 1, v2
	v_cmp_gt_i64_e64 s4, s[28:29], v[10:11]
	s_delay_alu instid0(VALU_DEP_3) | instskip(NEXT) | instid1(VALU_DEP_3)
	v_add_nc_u64_e32 v[10:11], s[22:23], v[14:15]
	v_lshl_add_u64 v[12:13], v[20:21], 1, v[8:9]
	v_cmp_gt_i64_e64 s22, s[36:37], 0
	v_lshl_add_u64 v[8:9], v[22:23], 2, s[8:9]
	s_lshl_b64 s[8:9], s[10:11], 4
	s_lshl_b64 s[10:11], s[20:21], 1
	v_add_nc_u64_e32 v[12:13], s[16:17], v[12:13]
	s_branch .LBB413_4
.LBB413_2:                              ;   in Loop: Header=BB413_4 Depth=1
	s_wait_xcnt 0x0
	s_or_b32 exec_lo, exec_lo, s20
.LBB413_3:                              ;   in Loop: Header=BB413_4 Depth=1
	s_add_co_i32 s34, s34, 0x10000
	s_delay_alu instid0(SALU_CYCLE_1)
	s_cmp_lt_i32 s34, s33
	s_cbranch_scc0 .LBB413_34
.LBB413_4:                              ; =>This Loop Header: Depth=1
                                        ;     Child Loop BB413_7 Depth 2
	v_dual_mov_b32 v17, 0 :: v_dual_mov_b32 v16, 0
	v_dual_mov_b32 v15, 0 :: v_dual_mov_b32 v14, 0
	s_and_not1_b32 vcc_lo, exec_lo, s22
	s_cbranch_vccnz .LBB413_11
; %bb.5:                                ;   in Loop: Header=BB413_4 Depth=1
	v_mad_nc_u64_u32 v[18:19], s6, s34, v[10:11]
	v_mad_nc_u64_u32 v[20:21], s10, s34, v[12:13]
	v_mov_b32_e32 v16, 0
	s_mov_b64 s[16:17], 0
	s_delay_alu instid0(VALU_DEP_1)
	v_dual_mov_b32 v17, v16 :: v_dual_mov_b32 v14, v16
	v_mov_b32_e32 v15, v16
	v_mad_u32 v19, s7, s34, v19
	v_mad_u32 v21, s11, s34, v21
	s_branch .LBB413_7
.LBB413_6:                              ;   in Loop: Header=BB413_7 Depth=2
	s_wait_xcnt 0x0
	s_or_b32 exec_lo, exec_lo, s20
	ds_store_b32 v29, v23
	s_wait_dscnt 0x0
	s_barrier_signal -1
	s_barrier_wait -1
	ds_load_b128 v[22:25], v30
	ds_load_2addr_b32 v[26:27], v31 offset1:16
	ds_load_b128 v[32:35], v30 offset:512
	ds_load_2addr_b32 v[44:45], v31 offset0:32 offset1:48
	ds_load_2addr_b32 v[46:47], v31 offset0:64 offset1:80
	;; [unrolled: 1-line block ×3, first 2 shown]
	ds_load_b128 v[36:39], v30 offset:16
	ds_load_2addr_b32 v[50:51], v31 offset0:128 offset1:144
	ds_load_b128 v[40:43], v30 offset:528
	s_add_nc_u64 s[16:17], s[16:17], 8
	v_add_nc_u64_e32 v[18:19], 16, v[18:19]
	v_cmp_lt_i64_e64 s20, s[16:17], s[36:37]
	v_add_nc_u64_e32 v[20:21], 16, v[20:21]
	s_and_b32 vcc_lo, exec_lo, s20
	s_wait_dscnt 0x7
	v_pk_fma_f32 v[16:17], v[26:27], v[22:23], v[16:17] op_sel_hi:[1,0,1]
	s_wait_dscnt 0x6
	v_pk_fma_f32 v[14:15], v[26:27], v[32:33], v[14:15] op_sel_hi:[1,0,1]
	ds_load_2addr_b32 v[26:27], v31 offset0:160 offset1:176
	s_wait_dscnt 0x6
	v_pk_fma_f32 v[16:17], v[44:45], v[22:23], v[16:17] op_sel:[0,1,0]
	v_pk_fma_f32 v[14:15], v[44:45], v[32:33], v[14:15] op_sel:[0,1,0]
	ds_load_2addr_b32 v[22:23], v31 offset0:192 offset1:208
	v_dual_mov_b32 v32, v25 :: v_dual_mov_b32 v44, v35
	s_wait_dscnt 0x6
	v_pk_fma_f32 v[16:17], v[46:47], v[24:25], v[16:17] op_sel_hi:[1,0,1]
	v_pk_fma_f32 v[14:15], v[46:47], v[34:35], v[14:15] op_sel_hi:[1,0,1]
	ds_load_2addr_b32 v[24:25], v31 offset0:224 offset1:240
	s_wait_dscnt 0x0
	s_barrier_signal -1
	v_pk_fma_f32 v[16:17], v[48:49], v[32:33], v[16:17] op_sel_hi:[1,0,1]
	v_pk_fma_f32 v[14:15], v[48:49], v[44:45], v[14:15] op_sel_hi:[1,0,1]
	s_barrier_wait -1
	v_mov_b32_e32 v32, v43
	s_delay_alu instid0(VALU_DEP_3) | instskip(NEXT) | instid1(VALU_DEP_3)
	v_pk_fma_f32 v[16:17], v[50:51], v[36:37], v[16:17] op_sel_hi:[1,0,1]
	v_pk_fma_f32 v[14:15], v[50:51], v[40:41], v[14:15] op_sel_hi:[1,0,1]
	s_delay_alu instid0(VALU_DEP_2) | instskip(NEXT) | instid1(VALU_DEP_2)
	v_pk_fma_f32 v[16:17], v[26:27], v[36:37], v[16:17] op_sel:[0,1,0]
	v_pk_fma_f32 v[14:15], v[26:27], v[40:41], v[14:15] op_sel:[0,1,0]
	v_mov_b32_e32 v26, v39
	s_delay_alu instid0(VALU_DEP_3) | instskip(NEXT) | instid1(VALU_DEP_3)
	v_pk_fma_f32 v[16:17], v[22:23], v[38:39], v[16:17] op_sel_hi:[1,0,1]
	v_pk_fma_f32 v[14:15], v[22:23], v[42:43], v[14:15] op_sel_hi:[1,0,1]
	s_delay_alu instid0(VALU_DEP_2) | instskip(NEXT) | instid1(VALU_DEP_2)
	v_pk_fma_f32 v[16:17], v[24:25], v[26:27], v[16:17] op_sel_hi:[1,0,1]
	v_pk_fma_f32 v[14:15], v[24:25], v[32:33], v[14:15] op_sel_hi:[1,0,1]
	s_cbranch_vccz .LBB413_11
.LBB413_7:                              ;   Parent Loop BB413_4 Depth=1
                                        ; =>  This Inner Loop Header: Depth=2
	v_add_nc_u64_e32 v[22:23], s[16:17], v[2:3]
	s_delay_alu instid0(VALU_DEP_1) | instskip(SKIP_2) | instid1(SALU_CYCLE_1)
	v_cmp_gt_i64_e32 vcc_lo, s[36:37], v[22:23]
	v_mov_b32_e32 v22, 0
	s_and_b32 s21, s0, vcc_lo
	s_and_saveexec_b32 s20, s21
	s_cbranch_execz .LBB413_9
; %bb.8:                                ;   in Loop: Header=BB413_7 Depth=2
	global_load_u16 v22, v[20:21], off
	s_wait_loadcnt 0x0
	v_cvt_f32_f16_e32 v22, v22
.LBB413_9:                              ;   in Loop: Header=BB413_7 Depth=2
	s_wait_xcnt 0x0
	s_or_b32 exec_lo, exec_lo, s20
	v_add_nc_u64_e32 v[24:25], s[16:17], v[0:1]
	v_mov_b32_e32 v23, 0
	ds_store_b32 v28, v22
	v_cmp_gt_i64_e32 vcc_lo, s[36:37], v[24:25]
	s_and_b32 s21, vcc_lo, s1
	s_delay_alu instid0(SALU_CYCLE_1)
	s_and_saveexec_b32 s20, s21
	s_cbranch_execz .LBB413_6
; %bb.10:                               ;   in Loop: Header=BB413_7 Depth=2
	global_load_u16 v22, v[18:19], off
	s_wait_loadcnt 0x0
	v_cvt_f32_f16_e32 v23, v22
	s_branch .LBB413_6
.LBB413_11:                             ;   in Loop: Header=BB413_4 Depth=1
	s_mul_u64 s[16:17], s[26:27], s[34:35]
	s_and_not1_b32 vcc_lo, exec_lo, s39
	s_lshl_b64 s[16:17], s[16:17], 2
	s_delay_alu instid0(SALU_CYCLE_1)
	s_add_nc_u64 s[16:17], s[14:15], s[16:17]
	s_cbranch_vccnz .LBB413_16
; %bb.12:                               ;   in Loop: Header=BB413_4 Depth=1
	s_and_saveexec_b32 s20, s2
	s_cbranch_execz .LBB413_23
; %bb.13:                               ;   in Loop: Header=BB413_4 Depth=1
	v_lshl_add_u64 v[18:19], v[4:5], 2, s[16:17]
	s_delay_alu instid0(VALU_DEP_1)
	v_lshl_add_u64 v[20:21], v[6:7], 2, v[18:19]
	s_and_saveexec_b32 s21, s3
	s_cbranch_execnz .LBB413_17
; %bb.14:                               ;   in Loop: Header=BB413_4 Depth=1
	s_or_b32 exec_lo, exec_lo, s21
	s_and_saveexec_b32 s21, s4
	s_cbranch_execnz .LBB413_18
.LBB413_15:                             ;   in Loop: Header=BB413_4 Depth=1
	s_or_b32 exec_lo, exec_lo, s21
	s_delay_alu instid0(SALU_CYCLE_1)
	s_and_b32 exec_lo, exec_lo, s5
	s_cbranch_execnz .LBB413_19
	s_branch .LBB413_23
.LBB413_16:                             ;   in Loop: Header=BB413_4 Depth=1
	s_branch .LBB413_24
.LBB413_17:                             ;   in Loop: Header=BB413_4 Depth=1
	v_mul_f32_e32 v22, s38, v16
	global_store_b32 v[20:21], v22, off
	s_wait_xcnt 0x0
	s_or_b32 exec_lo, exec_lo, s21
	s_and_saveexec_b32 s21, s4
	s_cbranch_execz .LBB413_15
.LBB413_18:                             ;   in Loop: Header=BB413_4 Depth=1
	v_mul_f32_e32 v22, s38, v17
	global_store_b32 v[20:21], v22, off offset:64
	s_wait_xcnt 0x0
	s_or_b32 exec_lo, exec_lo, s21
	s_delay_alu instid0(SALU_CYCLE_1)
	s_and_b32 exec_lo, exec_lo, s5
	s_cbranch_execz .LBB413_23
.LBB413_19:                             ;   in Loop: Header=BB413_4 Depth=1
	v_lshl_add_u64 v[18:19], s[18:19], 2, v[18:19]
	s_delay_alu instid0(VALU_DEP_1)
	v_lshl_add_u64 v[18:19], v[6:7], 2, v[18:19]
	s_and_saveexec_b32 s21, s3
	s_cbranch_execz .LBB413_21
; %bb.20:                               ;   in Loop: Header=BB413_4 Depth=1
	v_mul_f32_e32 v20, s38, v14
	global_store_b32 v[18:19], v20, off
.LBB413_21:                             ;   in Loop: Header=BB413_4 Depth=1
	s_wait_xcnt 0x0
	s_or_b32 exec_lo, exec_lo, s21
	s_delay_alu instid0(SALU_CYCLE_1)
	s_and_b32 exec_lo, exec_lo, s4
	s_cbranch_execz .LBB413_23
; %bb.22:                               ;   in Loop: Header=BB413_4 Depth=1
	v_mul_f32_e32 v20, s38, v15
	global_store_b32 v[18:19], v20, off offset:64
.LBB413_23:                             ;   in Loop: Header=BB413_4 Depth=1
	s_wait_xcnt 0x0
	s_or_b32 exec_lo, exec_lo, s20
	s_cbranch_execnz .LBB413_3
.LBB413_24:                             ;   in Loop: Header=BB413_4 Depth=1
	s_and_saveexec_b32 s20, s2
	s_cbranch_execz .LBB413_2
; %bb.25:                               ;   in Loop: Header=BB413_4 Depth=1
	s_mul_u64 s[24:25], s[12:13], s[34:35]
	v_lshlrev_b64_e32 v[18:19], 2, v[6:7]
	v_lshl_add_u64 v[20:21], s[24:25], 2, v[8:9]
	v_lshl_add_u64 v[22:23], v[4:5], 2, s[16:17]
	s_delay_alu instid0(VALU_DEP_2) | instskip(NEXT) | instid1(VALU_DEP_2)
	v_add_nc_u64_e32 v[26:27], v[20:21], v[18:19]
	v_add_nc_u64_e32 v[24:25], v[22:23], v[18:19]
	s_and_saveexec_b32 s16, s3
	s_cbranch_execnz .LBB413_28
; %bb.26:                               ;   in Loop: Header=BB413_4 Depth=1
	s_or_b32 exec_lo, exec_lo, s16
	s_and_saveexec_b32 s16, s4
	s_cbranch_execnz .LBB413_29
.LBB413_27:                             ;   in Loop: Header=BB413_4 Depth=1
	s_or_b32 exec_lo, exec_lo, s16
	s_delay_alu instid0(SALU_CYCLE_1)
	s_and_b32 exec_lo, exec_lo, s5
	s_cbranch_execz .LBB413_2
	s_branch .LBB413_30
.LBB413_28:                             ;   in Loop: Header=BB413_4 Depth=1
	global_load_b32 v33, v[26:27], off
	v_mov_b64_e32 v[34:35], s[40:41]
	v_mov_b32_e32 v32, v16
	s_wait_loadcnt 0x0
	s_delay_alu instid0(VALU_DEP_1) | instskip(NEXT) | instid1(VALU_DEP_1)
	v_pk_mul_f32 v[32:33], v[34:35], v[32:33]
	v_add_f32_e32 v16, v32, v33
	global_store_b32 v[24:25], v16, off
	s_wait_xcnt 0x0
	s_or_b32 exec_lo, exec_lo, s16
	s_and_saveexec_b32 s16, s4
	s_cbranch_execz .LBB413_27
.LBB413_29:                             ;   in Loop: Header=BB413_4 Depth=1
	global_load_b32 v27, v[26:27], off offset:64
	s_wait_xcnt 0x0
	v_mov_b32_e32 v26, v17
	v_mov_b64_e32 v[16:17], s[40:41]
	s_wait_loadcnt 0x0
	s_delay_alu instid0(VALU_DEP_1) | instskip(NEXT) | instid1(VALU_DEP_1)
	v_pk_mul_f32 v[16:17], v[16:17], v[26:27]
	v_add_f32_e32 v16, v16, v17
	global_store_b32 v[24:25], v16, off offset:64
	s_wait_xcnt 0x0
	s_or_b32 exec_lo, exec_lo, s16
	s_delay_alu instid0(SALU_CYCLE_1)
	s_and_b32 exec_lo, exec_lo, s5
	s_cbranch_execz .LBB413_2
.LBB413_30:                             ;   in Loop: Header=BB413_4 Depth=1
	v_lshl_add_u64 v[16:17], s[8:9], 2, v[20:21]
	v_lshl_add_u64 v[22:23], s[18:19], 2, v[22:23]
	s_delay_alu instid0(VALU_DEP_2) | instskip(NEXT) | instid1(VALU_DEP_2)
	v_add_nc_u64_e32 v[20:21], v[16:17], v[18:19]
	v_add_nc_u64_e32 v[16:17], v[22:23], v[18:19]
	s_and_saveexec_b32 s16, s3
	s_cbranch_execz .LBB413_32
; %bb.31:                               ;   in Loop: Header=BB413_4 Depth=1
	global_load_b32 v19, v[20:21], off
	v_mov_b64_e32 v[22:23], s[40:41]
	v_mov_b32_e32 v18, v14
	s_wait_loadcnt 0x0
	s_delay_alu instid0(VALU_DEP_1) | instskip(NEXT) | instid1(VALU_DEP_1)
	v_pk_mul_f32 v[18:19], v[22:23], v[18:19]
	v_add_f32_e32 v14, v18, v19
	global_store_b32 v[16:17], v14, off
.LBB413_32:                             ;   in Loop: Header=BB413_4 Depth=1
	s_wait_xcnt 0x0
	s_or_b32 exec_lo, exec_lo, s16
	s_delay_alu instid0(SALU_CYCLE_1)
	s_and_b32 exec_lo, exec_lo, s4
	s_cbranch_execz .LBB413_2
; %bb.33:                               ;   in Loop: Header=BB413_4 Depth=1
	global_load_b32 v19, v[20:21], off offset:64
	v_mov_b32_e32 v18, v15
	v_mov_b64_e32 v[14:15], s[40:41]
	s_wait_loadcnt 0x0
	s_delay_alu instid0(VALU_DEP_1) | instskip(NEXT) | instid1(VALU_DEP_1)
	v_pk_mul_f32 v[14:15], v[14:15], v[18:19]
	v_add_f32_e32 v14, v14, v15
	global_store_b32 v[16:17], v14, off offset:64
	s_branch .LBB413_2
.LBB413_34:
	s_endpgm
	.section	.rodata,"a",@progbits
	.p2align	6, 0x0
	.amdhsa_kernel _ZN12_GLOBAL__N_135rocblas_gemm_batched_general_kernelIfLi16ELi16ELi32ELi32ELi8ELi32ELi8ELi8ELi32ELc67ELc78EKDF16_KffEEvlllT_PT11_llS5_llS3_PT12_llPT13_lli
		.amdhsa_group_segment_fixed_size 2048
		.amdhsa_private_segment_fixed_size 0
		.amdhsa_kernarg_size 140
		.amdhsa_user_sgpr_count 2
		.amdhsa_user_sgpr_dispatch_ptr 0
		.amdhsa_user_sgpr_queue_ptr 0
		.amdhsa_user_sgpr_kernarg_segment_ptr 1
		.amdhsa_user_sgpr_dispatch_id 0
		.amdhsa_user_sgpr_kernarg_preload_length 0
		.amdhsa_user_sgpr_kernarg_preload_offset 0
		.amdhsa_user_sgpr_private_segment_size 0
		.amdhsa_wavefront_size32 1
		.amdhsa_uses_dynamic_stack 0
		.amdhsa_enable_private_segment 0
		.amdhsa_system_sgpr_workgroup_id_x 1
		.amdhsa_system_sgpr_workgroup_id_y 1
		.amdhsa_system_sgpr_workgroup_id_z 1
		.amdhsa_system_sgpr_workgroup_info 0
		.amdhsa_system_vgpr_workitem_id 1
		.amdhsa_next_free_vgpr 52
		.amdhsa_next_free_sgpr 42
		.amdhsa_named_barrier_count 0
		.amdhsa_reserve_vcc 1
		.amdhsa_float_round_mode_32 0
		.amdhsa_float_round_mode_16_64 0
		.amdhsa_float_denorm_mode_32 3
		.amdhsa_float_denorm_mode_16_64 3
		.amdhsa_fp16_overflow 0
		.amdhsa_memory_ordered 1
		.amdhsa_forward_progress 1
		.amdhsa_inst_pref_size 14
		.amdhsa_round_robin_scheduling 0
		.amdhsa_exception_fp_ieee_invalid_op 0
		.amdhsa_exception_fp_denorm_src 0
		.amdhsa_exception_fp_ieee_div_zero 0
		.amdhsa_exception_fp_ieee_overflow 0
		.amdhsa_exception_fp_ieee_underflow 0
		.amdhsa_exception_fp_ieee_inexact 0
		.amdhsa_exception_int_div_zero 0
	.end_amdhsa_kernel
	.section	.text._ZN12_GLOBAL__N_135rocblas_gemm_batched_general_kernelIfLi16ELi16ELi32ELi32ELi8ELi32ELi8ELi8ELi32ELc67ELc78EKDF16_KffEEvlllT_PT11_llS5_llS3_PT12_llPT13_lli,"axG",@progbits,_ZN12_GLOBAL__N_135rocblas_gemm_batched_general_kernelIfLi16ELi16ELi32ELi32ELi8ELi32ELi8ELi8ELi32ELc67ELc78EKDF16_KffEEvlllT_PT11_llS5_llS3_PT12_llPT13_lli,comdat
.Lfunc_end413:
	.size	_ZN12_GLOBAL__N_135rocblas_gemm_batched_general_kernelIfLi16ELi16ELi32ELi32ELi8ELi32ELi8ELi8ELi32ELc67ELc78EKDF16_KffEEvlllT_PT11_llS5_llS3_PT12_llPT13_lli, .Lfunc_end413-_ZN12_GLOBAL__N_135rocblas_gemm_batched_general_kernelIfLi16ELi16ELi32ELi32ELi8ELi32ELi8ELi8ELi32ELc67ELc78EKDF16_KffEEvlllT_PT11_llS5_llS3_PT12_llPT13_lli
                                        ; -- End function
	.set _ZN12_GLOBAL__N_135rocblas_gemm_batched_general_kernelIfLi16ELi16ELi32ELi32ELi8ELi32ELi8ELi8ELi32ELc67ELc78EKDF16_KffEEvlllT_PT11_llS5_llS3_PT12_llPT13_lli.num_vgpr, 52
	.set _ZN12_GLOBAL__N_135rocblas_gemm_batched_general_kernelIfLi16ELi16ELi32ELi32ELi8ELi32ELi8ELi8ELi32ELc67ELc78EKDF16_KffEEvlllT_PT11_llS5_llS3_PT12_llPT13_lli.num_agpr, 0
	.set _ZN12_GLOBAL__N_135rocblas_gemm_batched_general_kernelIfLi16ELi16ELi32ELi32ELi8ELi32ELi8ELi8ELi32ELc67ELc78EKDF16_KffEEvlllT_PT11_llS5_llS3_PT12_llPT13_lli.numbered_sgpr, 42
	.set _ZN12_GLOBAL__N_135rocblas_gemm_batched_general_kernelIfLi16ELi16ELi32ELi32ELi8ELi32ELi8ELi8ELi32ELc67ELc78EKDF16_KffEEvlllT_PT11_llS5_llS3_PT12_llPT13_lli.num_named_barrier, 0
	.set _ZN12_GLOBAL__N_135rocblas_gemm_batched_general_kernelIfLi16ELi16ELi32ELi32ELi8ELi32ELi8ELi8ELi32ELc67ELc78EKDF16_KffEEvlllT_PT11_llS5_llS3_PT12_llPT13_lli.private_seg_size, 0
	.set _ZN12_GLOBAL__N_135rocblas_gemm_batched_general_kernelIfLi16ELi16ELi32ELi32ELi8ELi32ELi8ELi8ELi32ELc67ELc78EKDF16_KffEEvlllT_PT11_llS5_llS3_PT12_llPT13_lli.uses_vcc, 1
	.set _ZN12_GLOBAL__N_135rocblas_gemm_batched_general_kernelIfLi16ELi16ELi32ELi32ELi8ELi32ELi8ELi8ELi32ELc67ELc78EKDF16_KffEEvlllT_PT11_llS5_llS3_PT12_llPT13_lli.uses_flat_scratch, 0
	.set _ZN12_GLOBAL__N_135rocblas_gemm_batched_general_kernelIfLi16ELi16ELi32ELi32ELi8ELi32ELi8ELi8ELi32ELc67ELc78EKDF16_KffEEvlllT_PT11_llS5_llS3_PT12_llPT13_lli.has_dyn_sized_stack, 0
	.set _ZN12_GLOBAL__N_135rocblas_gemm_batched_general_kernelIfLi16ELi16ELi32ELi32ELi8ELi32ELi8ELi8ELi32ELc67ELc78EKDF16_KffEEvlllT_PT11_llS5_llS3_PT12_llPT13_lli.has_recursion, 0
	.set _ZN12_GLOBAL__N_135rocblas_gemm_batched_general_kernelIfLi16ELi16ELi32ELi32ELi8ELi32ELi8ELi8ELi32ELc67ELc78EKDF16_KffEEvlllT_PT11_llS5_llS3_PT12_llPT13_lli.has_indirect_call, 0
	.section	.AMDGPU.csdata,"",@progbits
; Kernel info:
; codeLenInByte = 1756
; TotalNumSgprs: 44
; NumVgprs: 52
; ScratchSize: 0
; MemoryBound: 0
; FloatMode: 240
; IeeeMode: 1
; LDSByteSize: 2048 bytes/workgroup (compile time only)
; SGPRBlocks: 0
; VGPRBlocks: 3
; NumSGPRsForWavesPerEU: 44
; NumVGPRsForWavesPerEU: 52
; NamedBarCnt: 0
; Occupancy: 16
; WaveLimiterHint : 0
; COMPUTE_PGM_RSRC2:SCRATCH_EN: 0
; COMPUTE_PGM_RSRC2:USER_SGPR: 2
; COMPUTE_PGM_RSRC2:TRAP_HANDLER: 0
; COMPUTE_PGM_RSRC2:TGID_X_EN: 1
; COMPUTE_PGM_RSRC2:TGID_Y_EN: 1
; COMPUTE_PGM_RSRC2:TGID_Z_EN: 1
; COMPUTE_PGM_RSRC2:TIDIG_COMP_CNT: 1
	.section	.text._ZN12_GLOBAL__N_135rocblas_gemm_batched_general_kernelIfLi16ELi16ELi32ELi32ELi8ELi32ELi8ELi8ELi32ELc67ELc84EKDF16_KffEEvlllT_PT11_llS5_llS3_PT12_llPT13_lli,"axG",@progbits,_ZN12_GLOBAL__N_135rocblas_gemm_batched_general_kernelIfLi16ELi16ELi32ELi32ELi8ELi32ELi8ELi8ELi32ELc67ELc84EKDF16_KffEEvlllT_PT11_llS5_llS3_PT12_llPT13_lli,comdat
	.globl	_ZN12_GLOBAL__N_135rocblas_gemm_batched_general_kernelIfLi16ELi16ELi32ELi32ELi8ELi32ELi8ELi8ELi32ELc67ELc84EKDF16_KffEEvlllT_PT11_llS5_llS3_PT12_llPT13_lli ; -- Begin function _ZN12_GLOBAL__N_135rocblas_gemm_batched_general_kernelIfLi16ELi16ELi32ELi32ELi8ELi32ELi8ELi8ELi32ELc67ELc84EKDF16_KffEEvlllT_PT11_llS5_llS3_PT12_llPT13_lli
	.p2align	8
	.type	_ZN12_GLOBAL__N_135rocblas_gemm_batched_general_kernelIfLi16ELi16ELi32ELi32ELi8ELi32ELi8ELi8ELi32ELc67ELc84EKDF16_KffEEvlllT_PT11_llS5_llS3_PT12_llPT13_lli,@function
_ZN12_GLOBAL__N_135rocblas_gemm_batched_general_kernelIfLi16ELi16ELi32ELi32ELi8ELi32ELi8ELi8ELi32ELc67ELc84EKDF16_KffEEvlllT_PT11_llS5_llS3_PT12_llPT13_lli: ; @_ZN12_GLOBAL__N_135rocblas_gemm_batched_general_kernelIfLi16ELi16ELi32ELi32ELi8ELi32ELi8ELi8ELi32ELc67ELc84EKDF16_KffEEvlllT_PT11_llS5_llS3_PT12_llPT13_lli
; %bb.0:
	s_load_b32 s33, s[0:1], 0x88
	s_bfe_u32 s2, ttmp6, 0x40014
	s_lshr_b32 s3, ttmp7, 16
	s_add_co_i32 s2, s2, 1
	s_bfe_u32 s5, ttmp6, 0x40008
	s_mul_i32 s4, s3, s2
	s_getreg_b32 s2, hwreg(HW_REG_IB_STS2, 6, 4)
	s_add_co_i32 s5, s5, s4
	s_cmp_eq_u32 s2, 0
	s_mov_b32 s35, 0
	s_cselect_b32 s34, s3, s5
	s_wait_kmcnt 0x0
	s_cmp_ge_i32 s34, s33
	s_cbranch_scc1 .LBB414_34
; %bb.1:
	s_clause 0x4
	s_load_b128 s[4:7], s[0:1], 0x0
	s_load_b256 s[16:23], s[0:1], 0x20
	s_load_b128 s[28:31], s[0:1], 0x40
	s_load_b32 s41, s[0:1], 0x50
	s_load_b256 s[8:15], s[0:1], 0x58
	v_bfe_u32 v8, v0, 10, 10
	v_and_b32_e32 v10, 0x3ff, v0
	v_dual_mov_b32 v9, 0 :: v_dual_bitop2_b32 v0, 7, v0 bitop3:0x40
	s_bfe_u32 s3, ttmp6, 0x4000c
	s_bfe_u32 s25, ttmp6, 0x40010
	s_add_co_i32 s3, s3, 1
	s_and_b32 s26, ttmp7, 0xffff
	s_add_co_i32 s25, s25, 1
	s_and_b32 s24, ttmp6, 15
	s_mul_i32 s3, ttmp9, s3
	s_mul_i32 s25, s26, s25
	s_bfe_u32 s27, ttmp6, 0x40004
	v_lshl_add_u32 v2, v8, 4, v10
	v_mov_b32_e32 v1, v9
	s_add_co_i32 s24, s24, s3
	s_add_co_i32 s27, s27, s25
	s_cmp_eq_u32 s2, 0
	v_and_b32_e32 v3, 31, v2
	s_cselect_b32 s2, ttmp9, s24
	s_wait_kmcnt 0x0
	v_mul_u64_e32 v[12:13], s[28:29], v[0:1]
	s_cselect_b32 s40, s26, s27
	s_ashr_i32 s3, s2, 31
	s_clause 0x1
	s_load_b128 s[24:27], s[0:1], 0x78
	s_load_b96 s[36:38], s[0:1], 0x10
	s_lshl_b64 s[2:3], s[2:3], 5
	s_lshl_b32 s42, s40, 5
	v_dual_mov_b32 v5, s3 :: v_dual_bitop2_b32 v4, s2, v3 bitop3:0x54
	s_mov_b32 s43, s35
	v_dual_mov_b32 v11, v9 :: v_dual_lshrrev_b32 v16, 3, v2
	v_add_nc_u64_e32 v[14:15], s[42:43], v[8:9]
	s_delay_alu instid0(VALU_DEP_3)
	v_mul_u64_e32 v[18:19], s[18:19], v[4:5]
	v_dual_mov_b32 v17, v9 :: v_dual_lshrrev_b32 v2, 5, v2
	s_wait_xcnt 0x0
	v_cmp_gt_i64_e64 s0, s[4:5], v[4:5]
	s_cmp_eq_f32 s41, 0
	v_dual_lshlrev_b32 v22, 2, v0 :: v_dual_lshlrev_b32 v23, 2, v3
	v_mul_u64_e32 v[20:21], s[10:11], v[14:15]
	v_add_nc_u64_e32 v[6:7], s[42:43], v[16:17]
	s_cselect_b32 s39, -1, 0
	s_wait_kmcnt 0x0
	v_mul_u64_e32 v[4:5], s[24:25], v[14:15]
	v_mov_b32_e32 v3, v9
	v_lshl_add_u32 v30, v8, 5, 0x400
	v_lshlrev_b32_e32 v8, 1, v16
	v_lshl_or_b32 v17, v16, 5, v22
	v_cmp_gt_i64_e64 s1, s[6:7], v[6:7]
	v_add_nc_u64_e32 v[6:7], s[2:3], v[10:11]
	s_lshl_b32 s2, s40, 6
	s_mov_b32 s3, s35
	v_lshlrev_b32_e32 v31, 2, v10
	v_lshl_add_u64 v[12:13], v[12:13], 1, s[2:3]
	v_lshl_or_b32 v28, v2, 7, v23
	v_add_nc_u32_e32 v29, 0x400, v17
	v_add_nc_u64_e32 v[16:17], 16, v[6:7]
	v_add_nc_u64_e32 v[22:23], 16, v[14:15]
	;; [unrolled: 1-line block ×3, first 2 shown]
	v_lshlrev_b32_e32 v8, 1, v2
	v_cmp_gt_i64_e64 s2, s[6:7], v[14:15]
	v_cmp_gt_i64_e64 s3, s[4:5], v[6:7]
	s_mov_b32 s40, s38
	v_cmp_gt_i64_e64 s4, s[4:5], v[16:17]
	v_cmp_gt_i64_e64 s5, s[6:7], v[22:23]
	v_lshl_add_u64 v[12:13], v[18:19], 1, v[8:9]
	v_add_nc_u64_e32 v[10:11], s[22:23], v[10:11]
	v_cmp_gt_i64_e64 s22, s[36:37], 0
	s_lshl_b64 s[6:7], s[24:25], 4
	s_lshl_b64 s[10:11], s[10:11], 4
	v_add_nc_u64_e32 v[12:13], s[16:17], v[12:13]
	s_lshl_b64 s[16:17], s[28:29], 4
	v_lshl_add_u64 v[8:9], v[20:21], 2, s[8:9]
	s_lshl_b64 s[8:9], s[30:31], 1
	s_lshl_b64 s[18:19], s[20:21], 1
	s_branch .LBB414_4
.LBB414_2:                              ;   in Loop: Header=BB414_4 Depth=1
	s_wait_xcnt 0x0
	s_or_b32 exec_lo, exec_lo, s23
.LBB414_3:                              ;   in Loop: Header=BB414_4 Depth=1
	s_add_co_i32 s34, s34, 0x10000
	s_delay_alu instid0(SALU_CYCLE_1)
	s_cmp_lt_i32 s34, s33
	s_cbranch_scc0 .LBB414_34
.LBB414_4:                              ; =>This Loop Header: Depth=1
                                        ;     Child Loop BB414_7 Depth 2
	v_dual_mov_b32 v17, 0 :: v_dual_mov_b32 v16, 0
	v_dual_mov_b32 v15, 0 :: v_dual_mov_b32 v14, 0
	s_and_not1_b32 vcc_lo, exec_lo, s22
	s_cbranch_vccnz .LBB414_11
; %bb.5:                                ;   in Loop: Header=BB414_4 Depth=1
	v_mad_nc_u64_u32 v[18:19], s8, s34, v[10:11]
	v_mad_nc_u64_u32 v[20:21], s18, s34, v[12:13]
	v_mov_b32_e32 v16, 0
	s_mov_b64 s[20:21], 0
	s_delay_alu instid0(VALU_DEP_1)
	v_dual_mov_b32 v17, v16 :: v_dual_mov_b32 v14, v16
	v_mov_b32_e32 v15, v16
	v_mad_u32 v19, s9, s34, v19
	v_mad_u32 v21, s19, s34, v21
	s_branch .LBB414_7
.LBB414_6:                              ;   in Loop: Header=BB414_7 Depth=2
	s_wait_xcnt 0x0
	s_or_b32 exec_lo, exec_lo, s23
	ds_store_b32 v29, v23
	s_wait_dscnt 0x0
	s_barrier_signal -1
	s_barrier_wait -1
	ds_load_b128 v[22:25], v30
	ds_load_2addr_b32 v[26:27], v31 offset1:16
	ds_load_b128 v[32:35], v30 offset:512
	ds_load_2addr_b32 v[44:45], v31 offset0:32 offset1:48
	ds_load_2addr_b32 v[46:47], v31 offset0:64 offset1:80
	;; [unrolled: 1-line block ×3, first 2 shown]
	ds_load_b128 v[36:39], v30 offset:16
	ds_load_2addr_b32 v[50:51], v31 offset0:128 offset1:144
	ds_load_b128 v[40:43], v30 offset:528
	s_add_nc_u64 s[20:21], s[20:21], 8
	v_add_nc_u64_e32 v[18:19], s[16:17], v[18:19]
	v_cmp_lt_i64_e64 s23, s[20:21], s[36:37]
	v_add_nc_u64_e32 v[20:21], 16, v[20:21]
	s_and_b32 vcc_lo, exec_lo, s23
	s_wait_dscnt 0x7
	v_pk_fma_f32 v[16:17], v[26:27], v[22:23], v[16:17] op_sel_hi:[1,0,1]
	s_wait_dscnt 0x6
	v_pk_fma_f32 v[14:15], v[26:27], v[32:33], v[14:15] op_sel_hi:[1,0,1]
	ds_load_2addr_b32 v[26:27], v31 offset0:160 offset1:176
	s_wait_dscnt 0x6
	v_pk_fma_f32 v[16:17], v[44:45], v[22:23], v[16:17] op_sel:[0,1,0]
	v_pk_fma_f32 v[14:15], v[44:45], v[32:33], v[14:15] op_sel:[0,1,0]
	ds_load_2addr_b32 v[22:23], v31 offset0:192 offset1:208
	v_dual_mov_b32 v32, v25 :: v_dual_mov_b32 v44, v35
	s_wait_dscnt 0x6
	v_pk_fma_f32 v[16:17], v[46:47], v[24:25], v[16:17] op_sel_hi:[1,0,1]
	v_pk_fma_f32 v[14:15], v[46:47], v[34:35], v[14:15] op_sel_hi:[1,0,1]
	ds_load_2addr_b32 v[24:25], v31 offset0:224 offset1:240
	s_wait_dscnt 0x0
	s_barrier_signal -1
	v_pk_fma_f32 v[16:17], v[48:49], v[32:33], v[16:17] op_sel_hi:[1,0,1]
	v_pk_fma_f32 v[14:15], v[48:49], v[44:45], v[14:15] op_sel_hi:[1,0,1]
	s_barrier_wait -1
	v_mov_b32_e32 v32, v43
	s_delay_alu instid0(VALU_DEP_3) | instskip(NEXT) | instid1(VALU_DEP_3)
	v_pk_fma_f32 v[16:17], v[50:51], v[36:37], v[16:17] op_sel_hi:[1,0,1]
	v_pk_fma_f32 v[14:15], v[50:51], v[40:41], v[14:15] op_sel_hi:[1,0,1]
	s_delay_alu instid0(VALU_DEP_2) | instskip(NEXT) | instid1(VALU_DEP_2)
	v_pk_fma_f32 v[16:17], v[26:27], v[36:37], v[16:17] op_sel:[0,1,0]
	v_pk_fma_f32 v[14:15], v[26:27], v[40:41], v[14:15] op_sel:[0,1,0]
	v_mov_b32_e32 v26, v39
	s_delay_alu instid0(VALU_DEP_3) | instskip(NEXT) | instid1(VALU_DEP_3)
	v_pk_fma_f32 v[16:17], v[22:23], v[38:39], v[16:17] op_sel_hi:[1,0,1]
	v_pk_fma_f32 v[14:15], v[22:23], v[42:43], v[14:15] op_sel_hi:[1,0,1]
	s_delay_alu instid0(VALU_DEP_2) | instskip(NEXT) | instid1(VALU_DEP_2)
	v_pk_fma_f32 v[16:17], v[24:25], v[26:27], v[16:17] op_sel_hi:[1,0,1]
	v_pk_fma_f32 v[14:15], v[24:25], v[32:33], v[14:15] op_sel_hi:[1,0,1]
	s_cbranch_vccz .LBB414_11
.LBB414_7:                              ;   Parent Loop BB414_4 Depth=1
                                        ; =>  This Inner Loop Header: Depth=2
	v_add_nc_u64_e32 v[22:23], s[20:21], v[2:3]
	s_delay_alu instid0(VALU_DEP_1) | instskip(SKIP_2) | instid1(SALU_CYCLE_1)
	v_cmp_gt_i64_e32 vcc_lo, s[36:37], v[22:23]
	v_mov_b32_e32 v22, 0
	s_and_b32 s24, s0, vcc_lo
	s_and_saveexec_b32 s23, s24
	s_cbranch_execz .LBB414_9
; %bb.8:                                ;   in Loop: Header=BB414_7 Depth=2
	global_load_u16 v22, v[20:21], off
	s_wait_loadcnt 0x0
	v_cvt_f32_f16_e32 v22, v22
.LBB414_9:                              ;   in Loop: Header=BB414_7 Depth=2
	s_wait_xcnt 0x0
	s_or_b32 exec_lo, exec_lo, s23
	v_add_nc_u64_e32 v[24:25], s[20:21], v[0:1]
	v_mov_b32_e32 v23, 0
	ds_store_b32 v28, v22
	v_cmp_gt_i64_e32 vcc_lo, s[36:37], v[24:25]
	s_and_b32 s24, vcc_lo, s1
	s_delay_alu instid0(SALU_CYCLE_1)
	s_and_saveexec_b32 s23, s24
	s_cbranch_execz .LBB414_6
; %bb.10:                               ;   in Loop: Header=BB414_7 Depth=2
	global_load_u16 v22, v[18:19], off
	s_wait_loadcnt 0x0
	v_cvt_f32_f16_e32 v23, v22
	s_branch .LBB414_6
.LBB414_11:                             ;   in Loop: Header=BB414_4 Depth=1
	s_mul_u64 s[20:21], s[26:27], s[34:35]
	s_and_not1_b32 vcc_lo, exec_lo, s39
	s_lshl_b64 s[20:21], s[20:21], 2
	s_delay_alu instid0(SALU_CYCLE_1)
	s_add_nc_u64 s[20:21], s[14:15], s[20:21]
	s_cbranch_vccnz .LBB414_16
; %bb.12:                               ;   in Loop: Header=BB414_4 Depth=1
	s_and_saveexec_b32 s23, s2
	s_cbranch_execz .LBB414_23
; %bb.13:                               ;   in Loop: Header=BB414_4 Depth=1
	v_lshl_add_u64 v[18:19], v[4:5], 2, s[20:21]
	s_delay_alu instid0(VALU_DEP_1)
	v_lshl_add_u64 v[20:21], v[6:7], 2, v[18:19]
	s_and_saveexec_b32 s24, s3
	s_cbranch_execnz .LBB414_17
; %bb.14:                               ;   in Loop: Header=BB414_4 Depth=1
	s_or_b32 exec_lo, exec_lo, s24
	s_and_saveexec_b32 s24, s4
	s_cbranch_execnz .LBB414_18
.LBB414_15:                             ;   in Loop: Header=BB414_4 Depth=1
	s_or_b32 exec_lo, exec_lo, s24
	s_delay_alu instid0(SALU_CYCLE_1)
	s_and_b32 exec_lo, exec_lo, s5
	s_cbranch_execnz .LBB414_19
	s_branch .LBB414_23
.LBB414_16:                             ;   in Loop: Header=BB414_4 Depth=1
	s_branch .LBB414_24
.LBB414_17:                             ;   in Loop: Header=BB414_4 Depth=1
	v_mul_f32_e32 v22, s38, v16
	global_store_b32 v[20:21], v22, off
	s_wait_xcnt 0x0
	s_or_b32 exec_lo, exec_lo, s24
	s_and_saveexec_b32 s24, s4
	s_cbranch_execz .LBB414_15
.LBB414_18:                             ;   in Loop: Header=BB414_4 Depth=1
	v_mul_f32_e32 v22, s38, v17
	global_store_b32 v[20:21], v22, off offset:64
	s_wait_xcnt 0x0
	s_or_b32 exec_lo, exec_lo, s24
	s_delay_alu instid0(SALU_CYCLE_1)
	s_and_b32 exec_lo, exec_lo, s5
	s_cbranch_execz .LBB414_23
.LBB414_19:                             ;   in Loop: Header=BB414_4 Depth=1
	v_lshl_add_u64 v[18:19], s[6:7], 2, v[18:19]
	s_delay_alu instid0(VALU_DEP_1)
	v_lshl_add_u64 v[18:19], v[6:7], 2, v[18:19]
	s_and_saveexec_b32 s24, s3
	s_cbranch_execz .LBB414_21
; %bb.20:                               ;   in Loop: Header=BB414_4 Depth=1
	v_mul_f32_e32 v20, s38, v14
	global_store_b32 v[18:19], v20, off
.LBB414_21:                             ;   in Loop: Header=BB414_4 Depth=1
	s_wait_xcnt 0x0
	s_or_b32 exec_lo, exec_lo, s24
	s_delay_alu instid0(SALU_CYCLE_1)
	s_and_b32 exec_lo, exec_lo, s4
	s_cbranch_execz .LBB414_23
; %bb.22:                               ;   in Loop: Header=BB414_4 Depth=1
	v_mul_f32_e32 v20, s38, v15
	global_store_b32 v[18:19], v20, off offset:64
.LBB414_23:                             ;   in Loop: Header=BB414_4 Depth=1
	s_wait_xcnt 0x0
	s_or_b32 exec_lo, exec_lo, s23
	s_cbranch_execnz .LBB414_3
.LBB414_24:                             ;   in Loop: Header=BB414_4 Depth=1
	s_and_saveexec_b32 s23, s2
	s_cbranch_execz .LBB414_2
; %bb.25:                               ;   in Loop: Header=BB414_4 Depth=1
	s_mul_u64 s[24:25], s[12:13], s[34:35]
	v_lshlrev_b64_e32 v[18:19], 2, v[6:7]
	v_lshl_add_u64 v[20:21], s[24:25], 2, v[8:9]
	v_lshl_add_u64 v[22:23], v[4:5], 2, s[20:21]
	s_delay_alu instid0(VALU_DEP_2) | instskip(NEXT) | instid1(VALU_DEP_2)
	v_add_nc_u64_e32 v[26:27], v[20:21], v[18:19]
	v_add_nc_u64_e32 v[24:25], v[22:23], v[18:19]
	s_and_saveexec_b32 s20, s3
	s_cbranch_execnz .LBB414_28
; %bb.26:                               ;   in Loop: Header=BB414_4 Depth=1
	s_or_b32 exec_lo, exec_lo, s20
	s_and_saveexec_b32 s20, s4
	s_cbranch_execnz .LBB414_29
.LBB414_27:                             ;   in Loop: Header=BB414_4 Depth=1
	s_or_b32 exec_lo, exec_lo, s20
	s_delay_alu instid0(SALU_CYCLE_1)
	s_and_b32 exec_lo, exec_lo, s5
	s_cbranch_execz .LBB414_2
	s_branch .LBB414_30
.LBB414_28:                             ;   in Loop: Header=BB414_4 Depth=1
	global_load_b32 v33, v[26:27], off
	v_mov_b64_e32 v[34:35], s[40:41]
	v_mov_b32_e32 v32, v16
	s_wait_loadcnt 0x0
	s_delay_alu instid0(VALU_DEP_1) | instskip(NEXT) | instid1(VALU_DEP_1)
	v_pk_mul_f32 v[32:33], v[34:35], v[32:33]
	v_add_f32_e32 v16, v32, v33
	global_store_b32 v[24:25], v16, off
	s_wait_xcnt 0x0
	s_or_b32 exec_lo, exec_lo, s20
	s_and_saveexec_b32 s20, s4
	s_cbranch_execz .LBB414_27
.LBB414_29:                             ;   in Loop: Header=BB414_4 Depth=1
	global_load_b32 v27, v[26:27], off offset:64
	s_wait_xcnt 0x0
	v_mov_b32_e32 v26, v17
	v_mov_b64_e32 v[16:17], s[40:41]
	s_wait_loadcnt 0x0
	s_delay_alu instid0(VALU_DEP_1) | instskip(NEXT) | instid1(VALU_DEP_1)
	v_pk_mul_f32 v[16:17], v[16:17], v[26:27]
	v_add_f32_e32 v16, v16, v17
	global_store_b32 v[24:25], v16, off offset:64
	s_wait_xcnt 0x0
	s_or_b32 exec_lo, exec_lo, s20
	s_delay_alu instid0(SALU_CYCLE_1)
	s_and_b32 exec_lo, exec_lo, s5
	s_cbranch_execz .LBB414_2
.LBB414_30:                             ;   in Loop: Header=BB414_4 Depth=1
	v_lshl_add_u64 v[16:17], s[10:11], 2, v[20:21]
	v_lshl_add_u64 v[22:23], s[6:7], 2, v[22:23]
	s_delay_alu instid0(VALU_DEP_2) | instskip(NEXT) | instid1(VALU_DEP_2)
	v_add_nc_u64_e32 v[20:21], v[16:17], v[18:19]
	v_add_nc_u64_e32 v[16:17], v[22:23], v[18:19]
	s_and_saveexec_b32 s20, s3
	s_cbranch_execz .LBB414_32
; %bb.31:                               ;   in Loop: Header=BB414_4 Depth=1
	global_load_b32 v19, v[20:21], off
	v_mov_b64_e32 v[22:23], s[40:41]
	v_mov_b32_e32 v18, v14
	s_wait_loadcnt 0x0
	s_delay_alu instid0(VALU_DEP_1) | instskip(NEXT) | instid1(VALU_DEP_1)
	v_pk_mul_f32 v[18:19], v[22:23], v[18:19]
	v_add_f32_e32 v14, v18, v19
	global_store_b32 v[16:17], v14, off
.LBB414_32:                             ;   in Loop: Header=BB414_4 Depth=1
	s_wait_xcnt 0x0
	s_or_b32 exec_lo, exec_lo, s20
	s_delay_alu instid0(SALU_CYCLE_1)
	s_and_b32 exec_lo, exec_lo, s4
	s_cbranch_execz .LBB414_2
; %bb.33:                               ;   in Loop: Header=BB414_4 Depth=1
	global_load_b32 v19, v[20:21], off offset:64
	v_mov_b32_e32 v18, v15
	v_mov_b64_e32 v[14:15], s[40:41]
	s_wait_loadcnt 0x0
	s_delay_alu instid0(VALU_DEP_1) | instskip(NEXT) | instid1(VALU_DEP_1)
	v_pk_mul_f32 v[14:15], v[14:15], v[18:19]
	v_add_f32_e32 v14, v14, v15
	global_store_b32 v[16:17], v14, off offset:64
	s_branch .LBB414_2
.LBB414_34:
	s_endpgm
	.section	.rodata,"a",@progbits
	.p2align	6, 0x0
	.amdhsa_kernel _ZN12_GLOBAL__N_135rocblas_gemm_batched_general_kernelIfLi16ELi16ELi32ELi32ELi8ELi32ELi8ELi8ELi32ELc67ELc84EKDF16_KffEEvlllT_PT11_llS5_llS3_PT12_llPT13_lli
		.amdhsa_group_segment_fixed_size 2048
		.amdhsa_private_segment_fixed_size 0
		.amdhsa_kernarg_size 140
		.amdhsa_user_sgpr_count 2
		.amdhsa_user_sgpr_dispatch_ptr 0
		.amdhsa_user_sgpr_queue_ptr 0
		.amdhsa_user_sgpr_kernarg_segment_ptr 1
		.amdhsa_user_sgpr_dispatch_id 0
		.amdhsa_user_sgpr_kernarg_preload_length 0
		.amdhsa_user_sgpr_kernarg_preload_offset 0
		.amdhsa_user_sgpr_private_segment_size 0
		.amdhsa_wavefront_size32 1
		.amdhsa_uses_dynamic_stack 0
		.amdhsa_enable_private_segment 0
		.amdhsa_system_sgpr_workgroup_id_x 1
		.amdhsa_system_sgpr_workgroup_id_y 1
		.amdhsa_system_sgpr_workgroup_id_z 1
		.amdhsa_system_sgpr_workgroup_info 0
		.amdhsa_system_vgpr_workitem_id 1
		.amdhsa_next_free_vgpr 52
		.amdhsa_next_free_sgpr 44
		.amdhsa_named_barrier_count 0
		.amdhsa_reserve_vcc 1
		.amdhsa_float_round_mode_32 0
		.amdhsa_float_round_mode_16_64 0
		.amdhsa_float_denorm_mode_32 3
		.amdhsa_float_denorm_mode_16_64 3
		.amdhsa_fp16_overflow 0
		.amdhsa_memory_ordered 1
		.amdhsa_forward_progress 1
		.amdhsa_inst_pref_size 14
		.amdhsa_round_robin_scheduling 0
		.amdhsa_exception_fp_ieee_invalid_op 0
		.amdhsa_exception_fp_denorm_src 0
		.amdhsa_exception_fp_ieee_div_zero 0
		.amdhsa_exception_fp_ieee_overflow 0
		.amdhsa_exception_fp_ieee_underflow 0
		.amdhsa_exception_fp_ieee_inexact 0
		.amdhsa_exception_int_div_zero 0
	.end_amdhsa_kernel
	.section	.text._ZN12_GLOBAL__N_135rocblas_gemm_batched_general_kernelIfLi16ELi16ELi32ELi32ELi8ELi32ELi8ELi8ELi32ELc67ELc84EKDF16_KffEEvlllT_PT11_llS5_llS3_PT12_llPT13_lli,"axG",@progbits,_ZN12_GLOBAL__N_135rocblas_gemm_batched_general_kernelIfLi16ELi16ELi32ELi32ELi8ELi32ELi8ELi8ELi32ELc67ELc84EKDF16_KffEEvlllT_PT11_llS5_llS3_PT12_llPT13_lli,comdat
.Lfunc_end414:
	.size	_ZN12_GLOBAL__N_135rocblas_gemm_batched_general_kernelIfLi16ELi16ELi32ELi32ELi8ELi32ELi8ELi8ELi32ELc67ELc84EKDF16_KffEEvlllT_PT11_llS5_llS3_PT12_llPT13_lli, .Lfunc_end414-_ZN12_GLOBAL__N_135rocblas_gemm_batched_general_kernelIfLi16ELi16ELi32ELi32ELi8ELi32ELi8ELi8ELi32ELc67ELc84EKDF16_KffEEvlllT_PT11_llS5_llS3_PT12_llPT13_lli
                                        ; -- End function
	.set _ZN12_GLOBAL__N_135rocblas_gemm_batched_general_kernelIfLi16ELi16ELi32ELi32ELi8ELi32ELi8ELi8ELi32ELc67ELc84EKDF16_KffEEvlllT_PT11_llS5_llS3_PT12_llPT13_lli.num_vgpr, 52
	.set _ZN12_GLOBAL__N_135rocblas_gemm_batched_general_kernelIfLi16ELi16ELi32ELi32ELi8ELi32ELi8ELi8ELi32ELc67ELc84EKDF16_KffEEvlllT_PT11_llS5_llS3_PT12_llPT13_lli.num_agpr, 0
	.set _ZN12_GLOBAL__N_135rocblas_gemm_batched_general_kernelIfLi16ELi16ELi32ELi32ELi8ELi32ELi8ELi8ELi32ELc67ELc84EKDF16_KffEEvlllT_PT11_llS5_llS3_PT12_llPT13_lli.numbered_sgpr, 44
	.set _ZN12_GLOBAL__N_135rocblas_gemm_batched_general_kernelIfLi16ELi16ELi32ELi32ELi8ELi32ELi8ELi8ELi32ELc67ELc84EKDF16_KffEEvlllT_PT11_llS5_llS3_PT12_llPT13_lli.num_named_barrier, 0
	.set _ZN12_GLOBAL__N_135rocblas_gemm_batched_general_kernelIfLi16ELi16ELi32ELi32ELi8ELi32ELi8ELi8ELi32ELc67ELc84EKDF16_KffEEvlllT_PT11_llS5_llS3_PT12_llPT13_lli.private_seg_size, 0
	.set _ZN12_GLOBAL__N_135rocblas_gemm_batched_general_kernelIfLi16ELi16ELi32ELi32ELi8ELi32ELi8ELi8ELi32ELc67ELc84EKDF16_KffEEvlllT_PT11_llS5_llS3_PT12_llPT13_lli.uses_vcc, 1
	.set _ZN12_GLOBAL__N_135rocblas_gemm_batched_general_kernelIfLi16ELi16ELi32ELi32ELi8ELi32ELi8ELi8ELi32ELc67ELc84EKDF16_KffEEvlllT_PT11_llS5_llS3_PT12_llPT13_lli.uses_flat_scratch, 0
	.set _ZN12_GLOBAL__N_135rocblas_gemm_batched_general_kernelIfLi16ELi16ELi32ELi32ELi8ELi32ELi8ELi8ELi32ELc67ELc84EKDF16_KffEEvlllT_PT11_llS5_llS3_PT12_llPT13_lli.has_dyn_sized_stack, 0
	.set _ZN12_GLOBAL__N_135rocblas_gemm_batched_general_kernelIfLi16ELi16ELi32ELi32ELi8ELi32ELi8ELi8ELi32ELc67ELc84EKDF16_KffEEvlllT_PT11_llS5_llS3_PT12_llPT13_lli.has_recursion, 0
	.set _ZN12_GLOBAL__N_135rocblas_gemm_batched_general_kernelIfLi16ELi16ELi32ELi32ELi8ELi32ELi8ELi8ELi32ELc67ELc84EKDF16_KffEEvlllT_PT11_llS5_llS3_PT12_llPT13_lli.has_indirect_call, 0
	.section	.AMDGPU.csdata,"",@progbits
; Kernel info:
; codeLenInByte = 1768
; TotalNumSgprs: 46
; NumVgprs: 52
; ScratchSize: 0
; MemoryBound: 0
; FloatMode: 240
; IeeeMode: 1
; LDSByteSize: 2048 bytes/workgroup (compile time only)
; SGPRBlocks: 0
; VGPRBlocks: 3
; NumSGPRsForWavesPerEU: 46
; NumVGPRsForWavesPerEU: 52
; NamedBarCnt: 0
; Occupancy: 16
; WaveLimiterHint : 0
; COMPUTE_PGM_RSRC2:SCRATCH_EN: 0
; COMPUTE_PGM_RSRC2:USER_SGPR: 2
; COMPUTE_PGM_RSRC2:TRAP_HANDLER: 0
; COMPUTE_PGM_RSRC2:TGID_X_EN: 1
; COMPUTE_PGM_RSRC2:TGID_Y_EN: 1
; COMPUTE_PGM_RSRC2:TGID_Z_EN: 1
; COMPUTE_PGM_RSRC2:TIDIG_COMP_CNT: 1
	.section	.text._ZN12_GLOBAL__N_135rocblas_gemm_batched_general_kernelIfLi16ELi16ELi32ELi32ELi8ELi32ELi8ELi8ELi32ELc78ELc67EKDF16_KffEEvlllT_PT11_llS5_llS3_PT12_llPT13_lli,"axG",@progbits,_ZN12_GLOBAL__N_135rocblas_gemm_batched_general_kernelIfLi16ELi16ELi32ELi32ELi8ELi32ELi8ELi8ELi32ELc78ELc67EKDF16_KffEEvlllT_PT11_llS5_llS3_PT12_llPT13_lli,comdat
	.globl	_ZN12_GLOBAL__N_135rocblas_gemm_batched_general_kernelIfLi16ELi16ELi32ELi32ELi8ELi32ELi8ELi8ELi32ELc78ELc67EKDF16_KffEEvlllT_PT11_llS5_llS3_PT12_llPT13_lli ; -- Begin function _ZN12_GLOBAL__N_135rocblas_gemm_batched_general_kernelIfLi16ELi16ELi32ELi32ELi8ELi32ELi8ELi8ELi32ELc78ELc67EKDF16_KffEEvlllT_PT11_llS5_llS3_PT12_llPT13_lli
	.p2align	8
	.type	_ZN12_GLOBAL__N_135rocblas_gemm_batched_general_kernelIfLi16ELi16ELi32ELi32ELi8ELi32ELi8ELi8ELi32ELc78ELc67EKDF16_KffEEvlllT_PT11_llS5_llS3_PT12_llPT13_lli,@function
_ZN12_GLOBAL__N_135rocblas_gemm_batched_general_kernelIfLi16ELi16ELi32ELi32ELi8ELi32ELi8ELi8ELi32ELc78ELc67EKDF16_KffEEvlllT_PT11_llS5_llS3_PT12_llPT13_lli: ; @_ZN12_GLOBAL__N_135rocblas_gemm_batched_general_kernelIfLi16ELi16ELi32ELi32ELi8ELi32ELi8ELi8ELi32ELc78ELc67EKDF16_KffEEvlllT_PT11_llS5_llS3_PT12_llPT13_lli
; %bb.0:
	s_load_b32 s33, s[0:1], 0x88
	s_bfe_u32 s2, ttmp6, 0x40014
	s_lshr_b32 s3, ttmp7, 16
	s_add_co_i32 s2, s2, 1
	s_bfe_u32 s5, ttmp6, 0x40008
	s_mul_i32 s4, s3, s2
	s_getreg_b32 s2, hwreg(HW_REG_IB_STS2, 6, 4)
	s_add_co_i32 s5, s5, s4
	s_cmp_eq_u32 s2, 0
	s_mov_b32 s35, 0
	s_cselect_b32 s34, s3, s5
	s_wait_kmcnt 0x0
	s_cmp_ge_i32 s34, s33
	s_cbranch_scc1 .LBB415_34
; %bb.1:
	s_clause 0x3
	s_load_b128 s[4:7], s[0:1], 0x0
	s_load_b256 s[16:23], s[0:1], 0x20
	s_load_b128 s[28:31], s[0:1], 0x40
	s_load_b32 s41, s[0:1], 0x50
	v_bfe_u32 v8, v0, 10, 10
	v_and_b32_e32 v10, 0x3ff, v0
	s_bfe_u32 s3, ttmp6, 0x4000c
	s_clause 0x1
	s_load_b128 s[24:27], s[0:1], 0x78
	s_load_b256 s[8:15], s[0:1], 0x58
	s_add_co_i32 s3, s3, 1
	s_bfe_u32 s38, ttmp6, 0x40010
	v_lshl_add_u32 v1, v8, 4, v10
	v_dual_mov_b32 v9, 0 :: v_dual_bitop2_b32 v0, 7, v0 bitop3:0x40
	s_and_b32 s36, ttmp6, 15
	s_mul_i32 s3, ttmp9, s3
	s_delay_alu instid0(VALU_DEP_2) | instskip(NEXT) | instid1(VALU_DEP_2)
	v_dual_lshrrev_b32 v2, 5, v1 :: v_dual_bitop2_b32 v22, 31, v1 bitop3:0x40
	v_dual_mov_b32 v3, v9 :: v_dual_lshrrev_b32 v12, 3, v1
	v_dual_mov_b32 v1, v9 :: v_dual_mov_b32 v13, v9
	s_and_b32 s37, ttmp7, 0xffff
	s_add_co_i32 s38, s38, 1
	s_add_co_i32 s36, s36, s3
	s_wait_kmcnt 0x0
	v_mul_u64_e32 v[14:15], s[28:29], v[0:1]
	s_mul_i32 s3, s37, s38
	s_bfe_u32 s38, ttmp6, 0x40004
	v_mul_u64_e32 v[16:17], s[18:19], v[2:3]
	s_add_co_i32 s38, s38, s3
	s_cmp_eq_u32 s2, 0
	s_mov_b32 s43, s35
	s_cselect_b32 s40, s37, s38
	s_cselect_b32 s2, ttmp9, s36
	s_lshl_b32 s42, s40, 5
	s_ashr_i32 s3, s2, 31
	v_add_nc_u64_e32 v[18:19], s[42:43], v[8:9]
	s_lshl_b64 s[44:45], s[2:3], 5
	v_add_nc_u64_e32 v[6:7], s[42:43], v[12:13]
	v_dual_mov_b32 v5, s45 :: v_dual_bitop2_b32 v4, s44, v22 bitop3:0x54
	v_mov_b32_e32 v11, v9
	s_load_b96 s[36:38], s[0:1], 0x10
	s_delay_alu instid0(VALU_DEP_4)
	v_mul_u64_e32 v[20:21], s[10:11], v[18:19]
	s_cmp_eq_f32 s41, 0
	s_wait_xcnt 0x0
	v_cmp_gt_i64_e64 s0, s[4:5], v[4:5]
	v_mul_u64_e32 v[4:5], s[24:25], v[18:19]
	v_cmp_gt_i64_e64 s1, s[6:7], v[6:7]
	v_lshl_add_u32 v30, v8, 5, 0x400
	v_lshlrev_b32_e32 v8, 1, v12
	v_add_nc_u64_e32 v[6:7], s[44:45], v[10:11]
	v_dual_lshlrev_b32 v23, 2, v0 :: v_dual_lshlrev_b32 v13, 2, v22
	s_cselect_b32 s39, -1, 0
	s_lshl_b32 s42, s40, 6
	v_lshlrev_b32_e32 v31, 2, v10
	s_delay_alu instid0(VALU_DEP_2)
	v_lshl_or_b32 v23, v12, 5, v23
	v_lshl_add_u64 v[14:15], v[14:15], 1, s[42:43]
	v_lshl_or_b32 v28, v2, 7, v13
	v_add_nc_u64_e32 v[10:11], 16, v[6:7]
	v_add_nc_u64_e32 v[12:13], 16, v[18:19]
	s_lshl_b64 s[2:3], s[2:3], 6
	v_add_nc_u64_e32 v[14:15], v[14:15], v[8:9]
	v_lshl_add_u64 v[16:17], v[16:17], 1, s[2:3]
	v_lshlrev_b32_e32 v8, 1, v22
	v_cmp_gt_i64_e64 s3, s[4:5], v[6:7]
	v_cmp_gt_i64_e64 s4, s[4:5], v[10:11]
	;; [unrolled: 1-line block ×4, first 2 shown]
	v_add_nc_u64_e32 v[12:13], v[16:17], v[8:9]
	s_lshl_b64 s[6:7], s[24:25], 4
	v_add_nc_u64_e32 v[10:11], s[22:23], v[14:15]
	s_wait_kmcnt 0x0
	v_cmp_gt_i64_e64 s24, s[36:37], 0
	v_add_nc_u32_e32 v29, 0x400, v23
	s_mov_b32 s40, s38
	v_lshl_add_u64 v[8:9], v[20:21], 2, s[8:9]
	v_add_nc_u64_e32 v[12:13], s[16:17], v[12:13]
	s_lshl_b64 s[10:11], s[10:11], 4
	s_lshl_b64 s[8:9], s[30:31], 1
	s_lshl_b64 s[16:17], s[28:29], 4
	s_lshl_b64 s[20:21], s[20:21], 1
	s_lshl_b64 s[18:19], s[18:19], 4
	s_branch .LBB415_4
.LBB415_2:                              ;   in Loop: Header=BB415_4 Depth=1
	s_wait_xcnt 0x0
	s_or_b32 exec_lo, exec_lo, s25
.LBB415_3:                              ;   in Loop: Header=BB415_4 Depth=1
	s_add_co_i32 s34, s34, 0x10000
	s_delay_alu instid0(SALU_CYCLE_1)
	s_cmp_lt_i32 s34, s33
	s_cbranch_scc0 .LBB415_34
.LBB415_4:                              ; =>This Loop Header: Depth=1
                                        ;     Child Loop BB415_7 Depth 2
	v_dual_mov_b32 v17, 0 :: v_dual_mov_b32 v16, 0
	v_dual_mov_b32 v15, 0 :: v_dual_mov_b32 v14, 0
	s_and_not1_b32 vcc_lo, exec_lo, s24
	s_cbranch_vccnz .LBB415_11
; %bb.5:                                ;   in Loop: Header=BB415_4 Depth=1
	v_mad_nc_u64_u32 v[18:19], s8, s34, v[10:11]
	v_mad_nc_u64_u32 v[20:21], s20, s34, v[12:13]
	v_mov_b32_e32 v16, 0
	s_mov_b64 s[22:23], 0
	s_delay_alu instid0(VALU_DEP_1)
	v_dual_mov_b32 v17, v16 :: v_dual_mov_b32 v14, v16
	v_mov_b32_e32 v15, v16
	v_mad_u32 v19, s9, s34, v19
	v_mad_u32 v21, s21, s34, v21
	s_branch .LBB415_7
.LBB415_6:                              ;   in Loop: Header=BB415_7 Depth=2
	s_wait_xcnt 0x0
	s_or_b32 exec_lo, exec_lo, s25
	ds_store_b32 v29, v23
	s_wait_dscnt 0x0
	s_barrier_signal -1
	s_barrier_wait -1
	ds_load_b128 v[22:25], v30
	ds_load_2addr_b32 v[26:27], v31 offset1:16
	ds_load_b128 v[32:35], v30 offset:512
	ds_load_2addr_b32 v[44:45], v31 offset0:32 offset1:48
	ds_load_2addr_b32 v[46:47], v31 offset0:64 offset1:80
	;; [unrolled: 1-line block ×3, first 2 shown]
	ds_load_b128 v[36:39], v30 offset:16
	ds_load_2addr_b32 v[50:51], v31 offset0:128 offset1:144
	ds_load_b128 v[40:43], v30 offset:528
	s_add_nc_u64 s[22:23], s[22:23], 8
	v_add_nc_u64_e32 v[18:19], s[16:17], v[18:19]
	v_cmp_lt_i64_e64 s25, s[22:23], s[36:37]
	v_add_nc_u64_e32 v[20:21], s[18:19], v[20:21]
	s_and_b32 vcc_lo, exec_lo, s25
	s_wait_dscnt 0x7
	v_pk_fma_f32 v[16:17], v[26:27], v[22:23], v[16:17] op_sel_hi:[1,0,1]
	s_wait_dscnt 0x6
	v_pk_fma_f32 v[14:15], v[26:27], v[32:33], v[14:15] op_sel_hi:[1,0,1]
	ds_load_2addr_b32 v[26:27], v31 offset0:160 offset1:176
	s_wait_dscnt 0x6
	v_pk_fma_f32 v[16:17], v[44:45], v[22:23], v[16:17] op_sel:[0,1,0]
	v_pk_fma_f32 v[14:15], v[44:45], v[32:33], v[14:15] op_sel:[0,1,0]
	ds_load_2addr_b32 v[22:23], v31 offset0:192 offset1:208
	v_dual_mov_b32 v32, v25 :: v_dual_mov_b32 v44, v35
	s_wait_dscnt 0x6
	v_pk_fma_f32 v[16:17], v[46:47], v[24:25], v[16:17] op_sel_hi:[1,0,1]
	v_pk_fma_f32 v[14:15], v[46:47], v[34:35], v[14:15] op_sel_hi:[1,0,1]
	ds_load_2addr_b32 v[24:25], v31 offset0:224 offset1:240
	s_wait_dscnt 0x0
	s_barrier_signal -1
	v_pk_fma_f32 v[16:17], v[48:49], v[32:33], v[16:17] op_sel_hi:[1,0,1]
	v_pk_fma_f32 v[14:15], v[48:49], v[44:45], v[14:15] op_sel_hi:[1,0,1]
	s_barrier_wait -1
	v_mov_b32_e32 v32, v43
	s_delay_alu instid0(VALU_DEP_3) | instskip(NEXT) | instid1(VALU_DEP_3)
	v_pk_fma_f32 v[16:17], v[50:51], v[36:37], v[16:17] op_sel_hi:[1,0,1]
	v_pk_fma_f32 v[14:15], v[50:51], v[40:41], v[14:15] op_sel_hi:[1,0,1]
	s_delay_alu instid0(VALU_DEP_2) | instskip(NEXT) | instid1(VALU_DEP_2)
	v_pk_fma_f32 v[16:17], v[26:27], v[36:37], v[16:17] op_sel:[0,1,0]
	v_pk_fma_f32 v[14:15], v[26:27], v[40:41], v[14:15] op_sel:[0,1,0]
	v_mov_b32_e32 v26, v39
	s_delay_alu instid0(VALU_DEP_3) | instskip(NEXT) | instid1(VALU_DEP_3)
	v_pk_fma_f32 v[16:17], v[22:23], v[38:39], v[16:17] op_sel_hi:[1,0,1]
	v_pk_fma_f32 v[14:15], v[22:23], v[42:43], v[14:15] op_sel_hi:[1,0,1]
	s_delay_alu instid0(VALU_DEP_2) | instskip(NEXT) | instid1(VALU_DEP_2)
	v_pk_fma_f32 v[16:17], v[24:25], v[26:27], v[16:17] op_sel_hi:[1,0,1]
	v_pk_fma_f32 v[14:15], v[24:25], v[32:33], v[14:15] op_sel_hi:[1,0,1]
	s_cbranch_vccz .LBB415_11
.LBB415_7:                              ;   Parent Loop BB415_4 Depth=1
                                        ; =>  This Inner Loop Header: Depth=2
	v_add_nc_u64_e32 v[22:23], s[22:23], v[2:3]
	s_delay_alu instid0(VALU_DEP_1) | instskip(SKIP_2) | instid1(SALU_CYCLE_1)
	v_cmp_gt_i64_e32 vcc_lo, s[36:37], v[22:23]
	v_mov_b32_e32 v22, 0
	s_and_b32 s28, s0, vcc_lo
	s_and_saveexec_b32 s25, s28
	s_cbranch_execz .LBB415_9
; %bb.8:                                ;   in Loop: Header=BB415_7 Depth=2
	global_load_u16 v22, v[20:21], off
	s_wait_loadcnt 0x0
	v_cvt_f32_f16_e32 v22, v22
.LBB415_9:                              ;   in Loop: Header=BB415_7 Depth=2
	s_wait_xcnt 0x0
	s_or_b32 exec_lo, exec_lo, s25
	v_add_nc_u64_e32 v[24:25], s[22:23], v[0:1]
	v_mov_b32_e32 v23, 0
	ds_store_b32 v28, v22
	v_cmp_gt_i64_e32 vcc_lo, s[36:37], v[24:25]
	s_and_b32 s28, vcc_lo, s1
	s_delay_alu instid0(SALU_CYCLE_1)
	s_and_saveexec_b32 s25, s28
	s_cbranch_execz .LBB415_6
; %bb.10:                               ;   in Loop: Header=BB415_7 Depth=2
	global_load_u16 v22, v[18:19], off
	s_wait_loadcnt 0x0
	v_cvt_f32_f16_e32 v23, v22
	s_branch .LBB415_6
.LBB415_11:                             ;   in Loop: Header=BB415_4 Depth=1
	s_mul_u64 s[22:23], s[26:27], s[34:35]
	s_and_not1_b32 vcc_lo, exec_lo, s39
	s_lshl_b64 s[22:23], s[22:23], 2
	s_delay_alu instid0(SALU_CYCLE_1)
	s_add_nc_u64 s[22:23], s[14:15], s[22:23]
	s_cbranch_vccnz .LBB415_16
; %bb.12:                               ;   in Loop: Header=BB415_4 Depth=1
	s_and_saveexec_b32 s25, s2
	s_cbranch_execz .LBB415_23
; %bb.13:                               ;   in Loop: Header=BB415_4 Depth=1
	v_lshl_add_u64 v[18:19], v[4:5], 2, s[22:23]
	s_delay_alu instid0(VALU_DEP_1)
	v_lshl_add_u64 v[20:21], v[6:7], 2, v[18:19]
	s_and_saveexec_b32 s28, s3
	s_cbranch_execnz .LBB415_17
; %bb.14:                               ;   in Loop: Header=BB415_4 Depth=1
	s_or_b32 exec_lo, exec_lo, s28
	s_and_saveexec_b32 s28, s4
	s_cbranch_execnz .LBB415_18
.LBB415_15:                             ;   in Loop: Header=BB415_4 Depth=1
	s_or_b32 exec_lo, exec_lo, s28
	s_delay_alu instid0(SALU_CYCLE_1)
	s_and_b32 exec_lo, exec_lo, s5
	s_cbranch_execnz .LBB415_19
	s_branch .LBB415_23
.LBB415_16:                             ;   in Loop: Header=BB415_4 Depth=1
	s_branch .LBB415_24
.LBB415_17:                             ;   in Loop: Header=BB415_4 Depth=1
	v_mul_f32_e32 v22, s38, v16
	global_store_b32 v[20:21], v22, off
	s_wait_xcnt 0x0
	s_or_b32 exec_lo, exec_lo, s28
	s_and_saveexec_b32 s28, s4
	s_cbranch_execz .LBB415_15
.LBB415_18:                             ;   in Loop: Header=BB415_4 Depth=1
	v_mul_f32_e32 v22, s38, v17
	global_store_b32 v[20:21], v22, off offset:64
	s_wait_xcnt 0x0
	s_or_b32 exec_lo, exec_lo, s28
	s_delay_alu instid0(SALU_CYCLE_1)
	s_and_b32 exec_lo, exec_lo, s5
	s_cbranch_execz .LBB415_23
.LBB415_19:                             ;   in Loop: Header=BB415_4 Depth=1
	v_lshl_add_u64 v[18:19], s[6:7], 2, v[18:19]
	s_delay_alu instid0(VALU_DEP_1)
	v_lshl_add_u64 v[18:19], v[6:7], 2, v[18:19]
	s_and_saveexec_b32 s28, s3
	s_cbranch_execz .LBB415_21
; %bb.20:                               ;   in Loop: Header=BB415_4 Depth=1
	v_mul_f32_e32 v20, s38, v14
	global_store_b32 v[18:19], v20, off
.LBB415_21:                             ;   in Loop: Header=BB415_4 Depth=1
	s_wait_xcnt 0x0
	s_or_b32 exec_lo, exec_lo, s28
	s_delay_alu instid0(SALU_CYCLE_1)
	s_and_b32 exec_lo, exec_lo, s4
	s_cbranch_execz .LBB415_23
; %bb.22:                               ;   in Loop: Header=BB415_4 Depth=1
	v_mul_f32_e32 v20, s38, v15
	global_store_b32 v[18:19], v20, off offset:64
.LBB415_23:                             ;   in Loop: Header=BB415_4 Depth=1
	s_wait_xcnt 0x0
	s_or_b32 exec_lo, exec_lo, s25
	s_cbranch_execnz .LBB415_3
.LBB415_24:                             ;   in Loop: Header=BB415_4 Depth=1
	s_and_saveexec_b32 s25, s2
	s_cbranch_execz .LBB415_2
; %bb.25:                               ;   in Loop: Header=BB415_4 Depth=1
	s_mul_u64 s[28:29], s[12:13], s[34:35]
	v_lshlrev_b64_e32 v[18:19], 2, v[6:7]
	v_lshl_add_u64 v[20:21], s[28:29], 2, v[8:9]
	v_lshl_add_u64 v[22:23], v[4:5], 2, s[22:23]
	s_delay_alu instid0(VALU_DEP_2) | instskip(NEXT) | instid1(VALU_DEP_2)
	v_add_nc_u64_e32 v[26:27], v[20:21], v[18:19]
	v_add_nc_u64_e32 v[24:25], v[22:23], v[18:19]
	s_and_saveexec_b32 s22, s3
	s_cbranch_execnz .LBB415_28
; %bb.26:                               ;   in Loop: Header=BB415_4 Depth=1
	s_or_b32 exec_lo, exec_lo, s22
	s_and_saveexec_b32 s22, s4
	s_cbranch_execnz .LBB415_29
.LBB415_27:                             ;   in Loop: Header=BB415_4 Depth=1
	s_or_b32 exec_lo, exec_lo, s22
	s_delay_alu instid0(SALU_CYCLE_1)
	s_and_b32 exec_lo, exec_lo, s5
	s_cbranch_execz .LBB415_2
	s_branch .LBB415_30
.LBB415_28:                             ;   in Loop: Header=BB415_4 Depth=1
	global_load_b32 v33, v[26:27], off
	v_mov_b64_e32 v[34:35], s[40:41]
	v_mov_b32_e32 v32, v16
	s_wait_loadcnt 0x0
	s_delay_alu instid0(VALU_DEP_1) | instskip(NEXT) | instid1(VALU_DEP_1)
	v_pk_mul_f32 v[32:33], v[34:35], v[32:33]
	v_add_f32_e32 v16, v32, v33
	global_store_b32 v[24:25], v16, off
	s_wait_xcnt 0x0
	s_or_b32 exec_lo, exec_lo, s22
	s_and_saveexec_b32 s22, s4
	s_cbranch_execz .LBB415_27
.LBB415_29:                             ;   in Loop: Header=BB415_4 Depth=1
	global_load_b32 v27, v[26:27], off offset:64
	s_wait_xcnt 0x0
	v_mov_b32_e32 v26, v17
	v_mov_b64_e32 v[16:17], s[40:41]
	s_wait_loadcnt 0x0
	s_delay_alu instid0(VALU_DEP_1) | instskip(NEXT) | instid1(VALU_DEP_1)
	v_pk_mul_f32 v[16:17], v[16:17], v[26:27]
	v_add_f32_e32 v16, v16, v17
	global_store_b32 v[24:25], v16, off offset:64
	s_wait_xcnt 0x0
	s_or_b32 exec_lo, exec_lo, s22
	s_delay_alu instid0(SALU_CYCLE_1)
	s_and_b32 exec_lo, exec_lo, s5
	s_cbranch_execz .LBB415_2
.LBB415_30:                             ;   in Loop: Header=BB415_4 Depth=1
	v_lshl_add_u64 v[16:17], s[10:11], 2, v[20:21]
	v_lshl_add_u64 v[22:23], s[6:7], 2, v[22:23]
	s_delay_alu instid0(VALU_DEP_2) | instskip(NEXT) | instid1(VALU_DEP_2)
	v_add_nc_u64_e32 v[20:21], v[16:17], v[18:19]
	v_add_nc_u64_e32 v[16:17], v[22:23], v[18:19]
	s_and_saveexec_b32 s22, s3
	s_cbranch_execz .LBB415_32
; %bb.31:                               ;   in Loop: Header=BB415_4 Depth=1
	global_load_b32 v19, v[20:21], off
	v_mov_b64_e32 v[22:23], s[40:41]
	v_mov_b32_e32 v18, v14
	s_wait_loadcnt 0x0
	s_delay_alu instid0(VALU_DEP_1) | instskip(NEXT) | instid1(VALU_DEP_1)
	v_pk_mul_f32 v[18:19], v[22:23], v[18:19]
	v_add_f32_e32 v14, v18, v19
	global_store_b32 v[16:17], v14, off
.LBB415_32:                             ;   in Loop: Header=BB415_4 Depth=1
	s_wait_xcnt 0x0
	s_or_b32 exec_lo, exec_lo, s22
	s_delay_alu instid0(SALU_CYCLE_1)
	s_and_b32 exec_lo, exec_lo, s4
	s_cbranch_execz .LBB415_2
; %bb.33:                               ;   in Loop: Header=BB415_4 Depth=1
	global_load_b32 v19, v[20:21], off offset:64
	v_mov_b32_e32 v18, v15
	v_mov_b64_e32 v[14:15], s[40:41]
	s_wait_loadcnt 0x0
	s_delay_alu instid0(VALU_DEP_1) | instskip(NEXT) | instid1(VALU_DEP_1)
	v_pk_mul_f32 v[14:15], v[14:15], v[18:19]
	v_add_f32_e32 v14, v14, v15
	global_store_b32 v[16:17], v14, off offset:64
	s_branch .LBB415_2
.LBB415_34:
	s_endpgm
	.section	.rodata,"a",@progbits
	.p2align	6, 0x0
	.amdhsa_kernel _ZN12_GLOBAL__N_135rocblas_gemm_batched_general_kernelIfLi16ELi16ELi32ELi32ELi8ELi32ELi8ELi8ELi32ELc78ELc67EKDF16_KffEEvlllT_PT11_llS5_llS3_PT12_llPT13_lli
		.amdhsa_group_segment_fixed_size 2048
		.amdhsa_private_segment_fixed_size 0
		.amdhsa_kernarg_size 140
		.amdhsa_user_sgpr_count 2
		.amdhsa_user_sgpr_dispatch_ptr 0
		.amdhsa_user_sgpr_queue_ptr 0
		.amdhsa_user_sgpr_kernarg_segment_ptr 1
		.amdhsa_user_sgpr_dispatch_id 0
		.amdhsa_user_sgpr_kernarg_preload_length 0
		.amdhsa_user_sgpr_kernarg_preload_offset 0
		.amdhsa_user_sgpr_private_segment_size 0
		.amdhsa_wavefront_size32 1
		.amdhsa_uses_dynamic_stack 0
		.amdhsa_enable_private_segment 0
		.amdhsa_system_sgpr_workgroup_id_x 1
		.amdhsa_system_sgpr_workgroup_id_y 1
		.amdhsa_system_sgpr_workgroup_id_z 1
		.amdhsa_system_sgpr_workgroup_info 0
		.amdhsa_system_vgpr_workitem_id 1
		.amdhsa_next_free_vgpr 52
		.amdhsa_next_free_sgpr 46
		.amdhsa_named_barrier_count 0
		.amdhsa_reserve_vcc 1
		.amdhsa_float_round_mode_32 0
		.amdhsa_float_round_mode_16_64 0
		.amdhsa_float_denorm_mode_32 3
		.amdhsa_float_denorm_mode_16_64 3
		.amdhsa_fp16_overflow 0
		.amdhsa_memory_ordered 1
		.amdhsa_forward_progress 1
		.amdhsa_inst_pref_size 14
		.amdhsa_round_robin_scheduling 0
		.amdhsa_exception_fp_ieee_invalid_op 0
		.amdhsa_exception_fp_denorm_src 0
		.amdhsa_exception_fp_ieee_div_zero 0
		.amdhsa_exception_fp_ieee_overflow 0
		.amdhsa_exception_fp_ieee_underflow 0
		.amdhsa_exception_fp_ieee_inexact 0
		.amdhsa_exception_int_div_zero 0
	.end_amdhsa_kernel
	.section	.text._ZN12_GLOBAL__N_135rocblas_gemm_batched_general_kernelIfLi16ELi16ELi32ELi32ELi8ELi32ELi8ELi8ELi32ELc78ELc67EKDF16_KffEEvlllT_PT11_llS5_llS3_PT12_llPT13_lli,"axG",@progbits,_ZN12_GLOBAL__N_135rocblas_gemm_batched_general_kernelIfLi16ELi16ELi32ELi32ELi8ELi32ELi8ELi8ELi32ELc78ELc67EKDF16_KffEEvlllT_PT11_llS5_llS3_PT12_llPT13_lli,comdat
.Lfunc_end415:
	.size	_ZN12_GLOBAL__N_135rocblas_gemm_batched_general_kernelIfLi16ELi16ELi32ELi32ELi8ELi32ELi8ELi8ELi32ELc78ELc67EKDF16_KffEEvlllT_PT11_llS5_llS3_PT12_llPT13_lli, .Lfunc_end415-_ZN12_GLOBAL__N_135rocblas_gemm_batched_general_kernelIfLi16ELi16ELi32ELi32ELi8ELi32ELi8ELi8ELi32ELc78ELc67EKDF16_KffEEvlllT_PT11_llS5_llS3_PT12_llPT13_lli
                                        ; -- End function
	.set _ZN12_GLOBAL__N_135rocblas_gemm_batched_general_kernelIfLi16ELi16ELi32ELi32ELi8ELi32ELi8ELi8ELi32ELc78ELc67EKDF16_KffEEvlllT_PT11_llS5_llS3_PT12_llPT13_lli.num_vgpr, 52
	.set _ZN12_GLOBAL__N_135rocblas_gemm_batched_general_kernelIfLi16ELi16ELi32ELi32ELi8ELi32ELi8ELi8ELi32ELc78ELc67EKDF16_KffEEvlllT_PT11_llS5_llS3_PT12_llPT13_lli.num_agpr, 0
	.set _ZN12_GLOBAL__N_135rocblas_gemm_batched_general_kernelIfLi16ELi16ELi32ELi32ELi8ELi32ELi8ELi8ELi32ELc78ELc67EKDF16_KffEEvlllT_PT11_llS5_llS3_PT12_llPT13_lli.numbered_sgpr, 46
	.set _ZN12_GLOBAL__N_135rocblas_gemm_batched_general_kernelIfLi16ELi16ELi32ELi32ELi8ELi32ELi8ELi8ELi32ELc78ELc67EKDF16_KffEEvlllT_PT11_llS5_llS3_PT12_llPT13_lli.num_named_barrier, 0
	.set _ZN12_GLOBAL__N_135rocblas_gemm_batched_general_kernelIfLi16ELi16ELi32ELi32ELi8ELi32ELi8ELi8ELi32ELc78ELc67EKDF16_KffEEvlllT_PT11_llS5_llS3_PT12_llPT13_lli.private_seg_size, 0
	.set _ZN12_GLOBAL__N_135rocblas_gemm_batched_general_kernelIfLi16ELi16ELi32ELi32ELi8ELi32ELi8ELi8ELi32ELc78ELc67EKDF16_KffEEvlllT_PT11_llS5_llS3_PT12_llPT13_lli.uses_vcc, 1
	.set _ZN12_GLOBAL__N_135rocblas_gemm_batched_general_kernelIfLi16ELi16ELi32ELi32ELi8ELi32ELi8ELi8ELi32ELc78ELc67EKDF16_KffEEvlllT_PT11_llS5_llS3_PT12_llPT13_lli.uses_flat_scratch, 0
	.set _ZN12_GLOBAL__N_135rocblas_gemm_batched_general_kernelIfLi16ELi16ELi32ELi32ELi8ELi32ELi8ELi8ELi32ELc78ELc67EKDF16_KffEEvlllT_PT11_llS5_llS3_PT12_llPT13_lli.has_dyn_sized_stack, 0
	.set _ZN12_GLOBAL__N_135rocblas_gemm_batched_general_kernelIfLi16ELi16ELi32ELi32ELi8ELi32ELi8ELi8ELi32ELc78ELc67EKDF16_KffEEvlllT_PT11_llS5_llS3_PT12_llPT13_lli.has_recursion, 0
	.set _ZN12_GLOBAL__N_135rocblas_gemm_batched_general_kernelIfLi16ELi16ELi32ELi32ELi8ELi32ELi8ELi8ELi32ELc78ELc67EKDF16_KffEEvlllT_PT11_llS5_llS3_PT12_llPT13_lli.has_indirect_call, 0
	.section	.AMDGPU.csdata,"",@progbits
; Kernel info:
; codeLenInByte = 1792
; TotalNumSgprs: 48
; NumVgprs: 52
; ScratchSize: 0
; MemoryBound: 0
; FloatMode: 240
; IeeeMode: 1
; LDSByteSize: 2048 bytes/workgroup (compile time only)
; SGPRBlocks: 0
; VGPRBlocks: 3
; NumSGPRsForWavesPerEU: 48
; NumVGPRsForWavesPerEU: 52
; NamedBarCnt: 0
; Occupancy: 16
; WaveLimiterHint : 0
; COMPUTE_PGM_RSRC2:SCRATCH_EN: 0
; COMPUTE_PGM_RSRC2:USER_SGPR: 2
; COMPUTE_PGM_RSRC2:TRAP_HANDLER: 0
; COMPUTE_PGM_RSRC2:TGID_X_EN: 1
; COMPUTE_PGM_RSRC2:TGID_Y_EN: 1
; COMPUTE_PGM_RSRC2:TGID_Z_EN: 1
; COMPUTE_PGM_RSRC2:TIDIG_COMP_CNT: 1
	.section	.text._ZN12_GLOBAL__N_135rocblas_gemm_batched_general_kernelIfLi16ELi16ELi32ELi32ELi8ELi32ELi8ELi8ELi32ELc84ELc67EKDF16_KffEEvlllT_PT11_llS5_llS3_PT12_llPT13_lli,"axG",@progbits,_ZN12_GLOBAL__N_135rocblas_gemm_batched_general_kernelIfLi16ELi16ELi32ELi32ELi8ELi32ELi8ELi8ELi32ELc84ELc67EKDF16_KffEEvlllT_PT11_llS5_llS3_PT12_llPT13_lli,comdat
	.globl	_ZN12_GLOBAL__N_135rocblas_gemm_batched_general_kernelIfLi16ELi16ELi32ELi32ELi8ELi32ELi8ELi8ELi32ELc84ELc67EKDF16_KffEEvlllT_PT11_llS5_llS3_PT12_llPT13_lli ; -- Begin function _ZN12_GLOBAL__N_135rocblas_gemm_batched_general_kernelIfLi16ELi16ELi32ELi32ELi8ELi32ELi8ELi8ELi32ELc84ELc67EKDF16_KffEEvlllT_PT11_llS5_llS3_PT12_llPT13_lli
	.p2align	8
	.type	_ZN12_GLOBAL__N_135rocblas_gemm_batched_general_kernelIfLi16ELi16ELi32ELi32ELi8ELi32ELi8ELi8ELi32ELc84ELc67EKDF16_KffEEvlllT_PT11_llS5_llS3_PT12_llPT13_lli,@function
_ZN12_GLOBAL__N_135rocblas_gemm_batched_general_kernelIfLi16ELi16ELi32ELi32ELi8ELi32ELi8ELi8ELi32ELc84ELc67EKDF16_KffEEvlllT_PT11_llS5_llS3_PT12_llPT13_lli: ; @_ZN12_GLOBAL__N_135rocblas_gemm_batched_general_kernelIfLi16ELi16ELi32ELi32ELi8ELi32ELi8ELi8ELi32ELc84ELc67EKDF16_KffEEvlllT_PT11_llS5_llS3_PT12_llPT13_lli
; %bb.0:
	s_load_b32 s33, s[0:1], 0x88
	s_bfe_u32 s2, ttmp6, 0x40014
	s_lshr_b32 s3, ttmp7, 16
	s_add_co_i32 s2, s2, 1
	s_bfe_u32 s5, ttmp6, 0x40008
	s_mul_i32 s4, s3, s2
	s_getreg_b32 s2, hwreg(HW_REG_IB_STS2, 6, 4)
	s_add_co_i32 s5, s5, s4
	s_cmp_eq_u32 s2, 0
	s_mov_b32 s35, 0
	s_cselect_b32 s34, s3, s5
	s_wait_kmcnt 0x0
	s_cmp_ge_i32 s34, s33
	s_cbranch_scc1 .LBB416_34
; %bb.1:
	s_clause 0x4
	s_load_b128 s[4:7], s[0:1], 0x0
	s_load_b256 s[16:23], s[0:1], 0x20
	s_load_b128 s[28:31], s[0:1], 0x40
	s_load_b32 s41, s[0:1], 0x50
	s_load_b256 s[8:15], s[0:1], 0x58
	v_bfe_u32 v8, v0, 10, 10
	v_and_b32_e32 v10, 0x3ff, v0
	v_dual_mov_b32 v9, 0 :: v_dual_bitop2_b32 v0, 7, v0 bitop3:0x40
	s_bfe_u32 s3, ttmp6, 0x4000c
	s_bfe_u32 s25, ttmp6, 0x40010
	s_add_co_i32 s3, s3, 1
	s_and_b32 s26, ttmp7, 0xffff
	s_add_co_i32 s25, s25, 1
	s_and_b32 s24, ttmp6, 15
	s_mul_i32 s3, ttmp9, s3
	s_mul_i32 s25, s26, s25
	s_bfe_u32 s27, ttmp6, 0x40004
	v_lshl_add_u32 v2, v8, 4, v10
	v_mov_b32_e32 v1, v9
	s_add_co_i32 s24, s24, s3
	s_add_co_i32 s27, s27, s25
	s_cmp_eq_u32 s2, 0
	v_and_b32_e32 v3, 31, v2
	s_cselect_b32 s2, ttmp9, s24
	s_wait_kmcnt 0x0
	v_mul_u64_e32 v[12:13], s[28:29], v[0:1]
	s_cselect_b32 s40, s26, s27
	s_ashr_i32 s3, s2, 31
	s_clause 0x1
	s_load_b128 s[24:27], s[0:1], 0x78
	s_load_b96 s[36:38], s[0:1], 0x10
	s_lshl_b64 s[2:3], s[2:3], 5
	s_lshl_b32 s42, s40, 5
	v_dual_mov_b32 v5, s3 :: v_dual_bitop2_b32 v4, s2, v3 bitop3:0x54
	s_mov_b32 s43, s35
	v_dual_mov_b32 v11, v9 :: v_dual_lshrrev_b32 v16, 3, v2
	v_add_nc_u64_e32 v[14:15], s[42:43], v[8:9]
	s_delay_alu instid0(VALU_DEP_3)
	v_mul_u64_e32 v[18:19], s[18:19], v[4:5]
	v_dual_mov_b32 v17, v9 :: v_dual_lshrrev_b32 v2, 5, v2
	s_wait_xcnt 0x0
	v_cmp_gt_i64_e64 s0, s[4:5], v[4:5]
	s_cmp_eq_f32 s41, 0
	v_dual_lshlrev_b32 v22, 2, v0 :: v_dual_lshlrev_b32 v23, 2, v3
	v_mul_u64_e32 v[20:21], s[10:11], v[14:15]
	v_add_nc_u64_e32 v[6:7], s[42:43], v[16:17]
	s_cselect_b32 s39, -1, 0
	s_wait_kmcnt 0x0
	v_mul_u64_e32 v[4:5], s[24:25], v[14:15]
	v_mov_b32_e32 v3, v9
	v_lshl_add_u32 v30, v8, 5, 0x400
	v_lshlrev_b32_e32 v8, 1, v16
	v_lshl_or_b32 v17, v16, 5, v22
	v_cmp_gt_i64_e64 s1, s[6:7], v[6:7]
	v_add_nc_u64_e32 v[6:7], s[2:3], v[10:11]
	s_lshl_b32 s2, s40, 6
	s_mov_b32 s3, s35
	v_lshlrev_b32_e32 v31, 2, v10
	v_lshl_add_u64 v[12:13], v[12:13], 1, s[2:3]
	v_lshl_or_b32 v28, v2, 7, v23
	v_add_nc_u32_e32 v29, 0x400, v17
	v_add_nc_u64_e32 v[16:17], 16, v[6:7]
	v_add_nc_u64_e32 v[22:23], 16, v[14:15]
	;; [unrolled: 1-line block ×3, first 2 shown]
	v_lshlrev_b32_e32 v8, 1, v2
	v_cmp_gt_i64_e64 s2, s[6:7], v[14:15]
	v_cmp_gt_i64_e64 s3, s[4:5], v[6:7]
	s_mov_b32 s40, s38
	v_cmp_gt_i64_e64 s4, s[4:5], v[16:17]
	v_cmp_gt_i64_e64 s5, s[6:7], v[22:23]
	v_lshl_add_u64 v[12:13], v[18:19], 1, v[8:9]
	v_add_nc_u64_e32 v[10:11], s[22:23], v[10:11]
	v_cmp_gt_i64_e64 s22, s[36:37], 0
	s_lshl_b64 s[6:7], s[24:25], 4
	s_lshl_b64 s[10:11], s[10:11], 4
	v_add_nc_u64_e32 v[12:13], s[16:17], v[12:13]
	s_lshl_b64 s[16:17], s[28:29], 4
	v_lshl_add_u64 v[8:9], v[20:21], 2, s[8:9]
	s_lshl_b64 s[8:9], s[30:31], 1
	s_lshl_b64 s[18:19], s[20:21], 1
	s_branch .LBB416_4
.LBB416_2:                              ;   in Loop: Header=BB416_4 Depth=1
	s_wait_xcnt 0x0
	s_or_b32 exec_lo, exec_lo, s23
.LBB416_3:                              ;   in Loop: Header=BB416_4 Depth=1
	s_add_co_i32 s34, s34, 0x10000
	s_delay_alu instid0(SALU_CYCLE_1)
	s_cmp_lt_i32 s34, s33
	s_cbranch_scc0 .LBB416_34
.LBB416_4:                              ; =>This Loop Header: Depth=1
                                        ;     Child Loop BB416_7 Depth 2
	v_dual_mov_b32 v17, 0 :: v_dual_mov_b32 v16, 0
	v_dual_mov_b32 v15, 0 :: v_dual_mov_b32 v14, 0
	s_and_not1_b32 vcc_lo, exec_lo, s22
	s_cbranch_vccnz .LBB416_11
; %bb.5:                                ;   in Loop: Header=BB416_4 Depth=1
	v_mad_nc_u64_u32 v[18:19], s8, s34, v[10:11]
	v_mad_nc_u64_u32 v[20:21], s18, s34, v[12:13]
	v_mov_b32_e32 v16, 0
	s_mov_b64 s[20:21], 0
	s_delay_alu instid0(VALU_DEP_1)
	v_dual_mov_b32 v17, v16 :: v_dual_mov_b32 v14, v16
	v_mov_b32_e32 v15, v16
	v_mad_u32 v19, s9, s34, v19
	v_mad_u32 v21, s19, s34, v21
	s_branch .LBB416_7
.LBB416_6:                              ;   in Loop: Header=BB416_7 Depth=2
	s_wait_xcnt 0x0
	s_or_b32 exec_lo, exec_lo, s23
	ds_store_b32 v29, v23
	s_wait_dscnt 0x0
	s_barrier_signal -1
	s_barrier_wait -1
	ds_load_b128 v[22:25], v30
	ds_load_2addr_b32 v[26:27], v31 offset1:16
	ds_load_b128 v[32:35], v30 offset:512
	ds_load_2addr_b32 v[44:45], v31 offset0:32 offset1:48
	ds_load_2addr_b32 v[46:47], v31 offset0:64 offset1:80
	;; [unrolled: 1-line block ×3, first 2 shown]
	ds_load_b128 v[36:39], v30 offset:16
	ds_load_2addr_b32 v[50:51], v31 offset0:128 offset1:144
	ds_load_b128 v[40:43], v30 offset:528
	s_add_nc_u64 s[20:21], s[20:21], 8
	v_add_nc_u64_e32 v[18:19], s[16:17], v[18:19]
	v_cmp_lt_i64_e64 s23, s[20:21], s[36:37]
	v_add_nc_u64_e32 v[20:21], 16, v[20:21]
	s_and_b32 vcc_lo, exec_lo, s23
	s_wait_dscnt 0x7
	v_pk_fma_f32 v[16:17], v[26:27], v[22:23], v[16:17] op_sel_hi:[1,0,1]
	s_wait_dscnt 0x6
	v_pk_fma_f32 v[14:15], v[26:27], v[32:33], v[14:15] op_sel_hi:[1,0,1]
	ds_load_2addr_b32 v[26:27], v31 offset0:160 offset1:176
	s_wait_dscnt 0x6
	v_pk_fma_f32 v[16:17], v[44:45], v[22:23], v[16:17] op_sel:[0,1,0]
	v_pk_fma_f32 v[14:15], v[44:45], v[32:33], v[14:15] op_sel:[0,1,0]
	ds_load_2addr_b32 v[22:23], v31 offset0:192 offset1:208
	v_dual_mov_b32 v32, v25 :: v_dual_mov_b32 v44, v35
	s_wait_dscnt 0x6
	v_pk_fma_f32 v[16:17], v[46:47], v[24:25], v[16:17] op_sel_hi:[1,0,1]
	v_pk_fma_f32 v[14:15], v[46:47], v[34:35], v[14:15] op_sel_hi:[1,0,1]
	ds_load_2addr_b32 v[24:25], v31 offset0:224 offset1:240
	s_wait_dscnt 0x0
	s_barrier_signal -1
	v_pk_fma_f32 v[16:17], v[48:49], v[32:33], v[16:17] op_sel_hi:[1,0,1]
	v_pk_fma_f32 v[14:15], v[48:49], v[44:45], v[14:15] op_sel_hi:[1,0,1]
	s_barrier_wait -1
	v_mov_b32_e32 v32, v43
	s_delay_alu instid0(VALU_DEP_3) | instskip(NEXT) | instid1(VALU_DEP_3)
	v_pk_fma_f32 v[16:17], v[50:51], v[36:37], v[16:17] op_sel_hi:[1,0,1]
	v_pk_fma_f32 v[14:15], v[50:51], v[40:41], v[14:15] op_sel_hi:[1,0,1]
	s_delay_alu instid0(VALU_DEP_2) | instskip(NEXT) | instid1(VALU_DEP_2)
	v_pk_fma_f32 v[16:17], v[26:27], v[36:37], v[16:17] op_sel:[0,1,0]
	v_pk_fma_f32 v[14:15], v[26:27], v[40:41], v[14:15] op_sel:[0,1,0]
	v_mov_b32_e32 v26, v39
	s_delay_alu instid0(VALU_DEP_3) | instskip(NEXT) | instid1(VALU_DEP_3)
	v_pk_fma_f32 v[16:17], v[22:23], v[38:39], v[16:17] op_sel_hi:[1,0,1]
	v_pk_fma_f32 v[14:15], v[22:23], v[42:43], v[14:15] op_sel_hi:[1,0,1]
	s_delay_alu instid0(VALU_DEP_2) | instskip(NEXT) | instid1(VALU_DEP_2)
	v_pk_fma_f32 v[16:17], v[24:25], v[26:27], v[16:17] op_sel_hi:[1,0,1]
	v_pk_fma_f32 v[14:15], v[24:25], v[32:33], v[14:15] op_sel_hi:[1,0,1]
	s_cbranch_vccz .LBB416_11
.LBB416_7:                              ;   Parent Loop BB416_4 Depth=1
                                        ; =>  This Inner Loop Header: Depth=2
	v_add_nc_u64_e32 v[22:23], s[20:21], v[2:3]
	s_delay_alu instid0(VALU_DEP_1) | instskip(SKIP_2) | instid1(SALU_CYCLE_1)
	v_cmp_gt_i64_e32 vcc_lo, s[36:37], v[22:23]
	v_mov_b32_e32 v22, 0
	s_and_b32 s24, s0, vcc_lo
	s_and_saveexec_b32 s23, s24
	s_cbranch_execz .LBB416_9
; %bb.8:                                ;   in Loop: Header=BB416_7 Depth=2
	global_load_u16 v22, v[20:21], off
	s_wait_loadcnt 0x0
	v_cvt_f32_f16_e32 v22, v22
.LBB416_9:                              ;   in Loop: Header=BB416_7 Depth=2
	s_wait_xcnt 0x0
	s_or_b32 exec_lo, exec_lo, s23
	v_add_nc_u64_e32 v[24:25], s[20:21], v[0:1]
	v_mov_b32_e32 v23, 0
	ds_store_b32 v28, v22
	v_cmp_gt_i64_e32 vcc_lo, s[36:37], v[24:25]
	s_and_b32 s24, vcc_lo, s1
	s_delay_alu instid0(SALU_CYCLE_1)
	s_and_saveexec_b32 s23, s24
	s_cbranch_execz .LBB416_6
; %bb.10:                               ;   in Loop: Header=BB416_7 Depth=2
	global_load_u16 v22, v[18:19], off
	s_wait_loadcnt 0x0
	v_cvt_f32_f16_e32 v23, v22
	s_branch .LBB416_6
.LBB416_11:                             ;   in Loop: Header=BB416_4 Depth=1
	s_mul_u64 s[20:21], s[26:27], s[34:35]
	s_and_not1_b32 vcc_lo, exec_lo, s39
	s_lshl_b64 s[20:21], s[20:21], 2
	s_delay_alu instid0(SALU_CYCLE_1)
	s_add_nc_u64 s[20:21], s[14:15], s[20:21]
	s_cbranch_vccnz .LBB416_16
; %bb.12:                               ;   in Loop: Header=BB416_4 Depth=1
	s_and_saveexec_b32 s23, s2
	s_cbranch_execz .LBB416_23
; %bb.13:                               ;   in Loop: Header=BB416_4 Depth=1
	v_lshl_add_u64 v[18:19], v[4:5], 2, s[20:21]
	s_delay_alu instid0(VALU_DEP_1)
	v_lshl_add_u64 v[20:21], v[6:7], 2, v[18:19]
	s_and_saveexec_b32 s24, s3
	s_cbranch_execnz .LBB416_17
; %bb.14:                               ;   in Loop: Header=BB416_4 Depth=1
	s_or_b32 exec_lo, exec_lo, s24
	s_and_saveexec_b32 s24, s4
	s_cbranch_execnz .LBB416_18
.LBB416_15:                             ;   in Loop: Header=BB416_4 Depth=1
	s_or_b32 exec_lo, exec_lo, s24
	s_delay_alu instid0(SALU_CYCLE_1)
	s_and_b32 exec_lo, exec_lo, s5
	s_cbranch_execnz .LBB416_19
	s_branch .LBB416_23
.LBB416_16:                             ;   in Loop: Header=BB416_4 Depth=1
	s_branch .LBB416_24
.LBB416_17:                             ;   in Loop: Header=BB416_4 Depth=1
	v_mul_f32_e32 v22, s38, v16
	global_store_b32 v[20:21], v22, off
	s_wait_xcnt 0x0
	s_or_b32 exec_lo, exec_lo, s24
	s_and_saveexec_b32 s24, s4
	s_cbranch_execz .LBB416_15
.LBB416_18:                             ;   in Loop: Header=BB416_4 Depth=1
	v_mul_f32_e32 v22, s38, v17
	global_store_b32 v[20:21], v22, off offset:64
	s_wait_xcnt 0x0
	s_or_b32 exec_lo, exec_lo, s24
	s_delay_alu instid0(SALU_CYCLE_1)
	s_and_b32 exec_lo, exec_lo, s5
	s_cbranch_execz .LBB416_23
.LBB416_19:                             ;   in Loop: Header=BB416_4 Depth=1
	v_lshl_add_u64 v[18:19], s[6:7], 2, v[18:19]
	s_delay_alu instid0(VALU_DEP_1)
	v_lshl_add_u64 v[18:19], v[6:7], 2, v[18:19]
	s_and_saveexec_b32 s24, s3
	s_cbranch_execz .LBB416_21
; %bb.20:                               ;   in Loop: Header=BB416_4 Depth=1
	v_mul_f32_e32 v20, s38, v14
	global_store_b32 v[18:19], v20, off
.LBB416_21:                             ;   in Loop: Header=BB416_4 Depth=1
	s_wait_xcnt 0x0
	s_or_b32 exec_lo, exec_lo, s24
	s_delay_alu instid0(SALU_CYCLE_1)
	s_and_b32 exec_lo, exec_lo, s4
	s_cbranch_execz .LBB416_23
; %bb.22:                               ;   in Loop: Header=BB416_4 Depth=1
	v_mul_f32_e32 v20, s38, v15
	global_store_b32 v[18:19], v20, off offset:64
.LBB416_23:                             ;   in Loop: Header=BB416_4 Depth=1
	s_wait_xcnt 0x0
	s_or_b32 exec_lo, exec_lo, s23
	s_cbranch_execnz .LBB416_3
.LBB416_24:                             ;   in Loop: Header=BB416_4 Depth=1
	s_and_saveexec_b32 s23, s2
	s_cbranch_execz .LBB416_2
; %bb.25:                               ;   in Loop: Header=BB416_4 Depth=1
	s_mul_u64 s[24:25], s[12:13], s[34:35]
	v_lshlrev_b64_e32 v[18:19], 2, v[6:7]
	v_lshl_add_u64 v[20:21], s[24:25], 2, v[8:9]
	v_lshl_add_u64 v[22:23], v[4:5], 2, s[20:21]
	s_delay_alu instid0(VALU_DEP_2) | instskip(NEXT) | instid1(VALU_DEP_2)
	v_add_nc_u64_e32 v[26:27], v[20:21], v[18:19]
	v_add_nc_u64_e32 v[24:25], v[22:23], v[18:19]
	s_and_saveexec_b32 s20, s3
	s_cbranch_execnz .LBB416_28
; %bb.26:                               ;   in Loop: Header=BB416_4 Depth=1
	s_or_b32 exec_lo, exec_lo, s20
	s_and_saveexec_b32 s20, s4
	s_cbranch_execnz .LBB416_29
.LBB416_27:                             ;   in Loop: Header=BB416_4 Depth=1
	s_or_b32 exec_lo, exec_lo, s20
	s_delay_alu instid0(SALU_CYCLE_1)
	s_and_b32 exec_lo, exec_lo, s5
	s_cbranch_execz .LBB416_2
	s_branch .LBB416_30
.LBB416_28:                             ;   in Loop: Header=BB416_4 Depth=1
	global_load_b32 v33, v[26:27], off
	v_mov_b64_e32 v[34:35], s[40:41]
	v_mov_b32_e32 v32, v16
	s_wait_loadcnt 0x0
	s_delay_alu instid0(VALU_DEP_1) | instskip(NEXT) | instid1(VALU_DEP_1)
	v_pk_mul_f32 v[32:33], v[34:35], v[32:33]
	v_add_f32_e32 v16, v32, v33
	global_store_b32 v[24:25], v16, off
	s_wait_xcnt 0x0
	s_or_b32 exec_lo, exec_lo, s20
	s_and_saveexec_b32 s20, s4
	s_cbranch_execz .LBB416_27
.LBB416_29:                             ;   in Loop: Header=BB416_4 Depth=1
	global_load_b32 v27, v[26:27], off offset:64
	s_wait_xcnt 0x0
	v_mov_b32_e32 v26, v17
	v_mov_b64_e32 v[16:17], s[40:41]
	s_wait_loadcnt 0x0
	s_delay_alu instid0(VALU_DEP_1) | instskip(NEXT) | instid1(VALU_DEP_1)
	v_pk_mul_f32 v[16:17], v[16:17], v[26:27]
	v_add_f32_e32 v16, v16, v17
	global_store_b32 v[24:25], v16, off offset:64
	s_wait_xcnt 0x0
	s_or_b32 exec_lo, exec_lo, s20
	s_delay_alu instid0(SALU_CYCLE_1)
	s_and_b32 exec_lo, exec_lo, s5
	s_cbranch_execz .LBB416_2
.LBB416_30:                             ;   in Loop: Header=BB416_4 Depth=1
	v_lshl_add_u64 v[16:17], s[10:11], 2, v[20:21]
	v_lshl_add_u64 v[22:23], s[6:7], 2, v[22:23]
	s_delay_alu instid0(VALU_DEP_2) | instskip(NEXT) | instid1(VALU_DEP_2)
	v_add_nc_u64_e32 v[20:21], v[16:17], v[18:19]
	v_add_nc_u64_e32 v[16:17], v[22:23], v[18:19]
	s_and_saveexec_b32 s20, s3
	s_cbranch_execz .LBB416_32
; %bb.31:                               ;   in Loop: Header=BB416_4 Depth=1
	global_load_b32 v19, v[20:21], off
	v_mov_b64_e32 v[22:23], s[40:41]
	v_mov_b32_e32 v18, v14
	s_wait_loadcnt 0x0
	s_delay_alu instid0(VALU_DEP_1) | instskip(NEXT) | instid1(VALU_DEP_1)
	v_pk_mul_f32 v[18:19], v[22:23], v[18:19]
	v_add_f32_e32 v14, v18, v19
	global_store_b32 v[16:17], v14, off
.LBB416_32:                             ;   in Loop: Header=BB416_4 Depth=1
	s_wait_xcnt 0x0
	s_or_b32 exec_lo, exec_lo, s20
	s_delay_alu instid0(SALU_CYCLE_1)
	s_and_b32 exec_lo, exec_lo, s4
	s_cbranch_execz .LBB416_2
; %bb.33:                               ;   in Loop: Header=BB416_4 Depth=1
	global_load_b32 v19, v[20:21], off offset:64
	v_mov_b32_e32 v18, v15
	v_mov_b64_e32 v[14:15], s[40:41]
	s_wait_loadcnt 0x0
	s_delay_alu instid0(VALU_DEP_1) | instskip(NEXT) | instid1(VALU_DEP_1)
	v_pk_mul_f32 v[14:15], v[14:15], v[18:19]
	v_add_f32_e32 v14, v14, v15
	global_store_b32 v[16:17], v14, off offset:64
	s_branch .LBB416_2
.LBB416_34:
	s_endpgm
	.section	.rodata,"a",@progbits
	.p2align	6, 0x0
	.amdhsa_kernel _ZN12_GLOBAL__N_135rocblas_gemm_batched_general_kernelIfLi16ELi16ELi32ELi32ELi8ELi32ELi8ELi8ELi32ELc84ELc67EKDF16_KffEEvlllT_PT11_llS5_llS3_PT12_llPT13_lli
		.amdhsa_group_segment_fixed_size 2048
		.amdhsa_private_segment_fixed_size 0
		.amdhsa_kernarg_size 140
		.amdhsa_user_sgpr_count 2
		.amdhsa_user_sgpr_dispatch_ptr 0
		.amdhsa_user_sgpr_queue_ptr 0
		.amdhsa_user_sgpr_kernarg_segment_ptr 1
		.amdhsa_user_sgpr_dispatch_id 0
		.amdhsa_user_sgpr_kernarg_preload_length 0
		.amdhsa_user_sgpr_kernarg_preload_offset 0
		.amdhsa_user_sgpr_private_segment_size 0
		.amdhsa_wavefront_size32 1
		.amdhsa_uses_dynamic_stack 0
		.amdhsa_enable_private_segment 0
		.amdhsa_system_sgpr_workgroup_id_x 1
		.amdhsa_system_sgpr_workgroup_id_y 1
		.amdhsa_system_sgpr_workgroup_id_z 1
		.amdhsa_system_sgpr_workgroup_info 0
		.amdhsa_system_vgpr_workitem_id 1
		.amdhsa_next_free_vgpr 52
		.amdhsa_next_free_sgpr 44
		.amdhsa_named_barrier_count 0
		.amdhsa_reserve_vcc 1
		.amdhsa_float_round_mode_32 0
		.amdhsa_float_round_mode_16_64 0
		.amdhsa_float_denorm_mode_32 3
		.amdhsa_float_denorm_mode_16_64 3
		.amdhsa_fp16_overflow 0
		.amdhsa_memory_ordered 1
		.amdhsa_forward_progress 1
		.amdhsa_inst_pref_size 14
		.amdhsa_round_robin_scheduling 0
		.amdhsa_exception_fp_ieee_invalid_op 0
		.amdhsa_exception_fp_denorm_src 0
		.amdhsa_exception_fp_ieee_div_zero 0
		.amdhsa_exception_fp_ieee_overflow 0
		.amdhsa_exception_fp_ieee_underflow 0
		.amdhsa_exception_fp_ieee_inexact 0
		.amdhsa_exception_int_div_zero 0
	.end_amdhsa_kernel
	.section	.text._ZN12_GLOBAL__N_135rocblas_gemm_batched_general_kernelIfLi16ELi16ELi32ELi32ELi8ELi32ELi8ELi8ELi32ELc84ELc67EKDF16_KffEEvlllT_PT11_llS5_llS3_PT12_llPT13_lli,"axG",@progbits,_ZN12_GLOBAL__N_135rocblas_gemm_batched_general_kernelIfLi16ELi16ELi32ELi32ELi8ELi32ELi8ELi8ELi32ELc84ELc67EKDF16_KffEEvlllT_PT11_llS5_llS3_PT12_llPT13_lli,comdat
.Lfunc_end416:
	.size	_ZN12_GLOBAL__N_135rocblas_gemm_batched_general_kernelIfLi16ELi16ELi32ELi32ELi8ELi32ELi8ELi8ELi32ELc84ELc67EKDF16_KffEEvlllT_PT11_llS5_llS3_PT12_llPT13_lli, .Lfunc_end416-_ZN12_GLOBAL__N_135rocblas_gemm_batched_general_kernelIfLi16ELi16ELi32ELi32ELi8ELi32ELi8ELi8ELi32ELc84ELc67EKDF16_KffEEvlllT_PT11_llS5_llS3_PT12_llPT13_lli
                                        ; -- End function
	.set _ZN12_GLOBAL__N_135rocblas_gemm_batched_general_kernelIfLi16ELi16ELi32ELi32ELi8ELi32ELi8ELi8ELi32ELc84ELc67EKDF16_KffEEvlllT_PT11_llS5_llS3_PT12_llPT13_lli.num_vgpr, 52
	.set _ZN12_GLOBAL__N_135rocblas_gemm_batched_general_kernelIfLi16ELi16ELi32ELi32ELi8ELi32ELi8ELi8ELi32ELc84ELc67EKDF16_KffEEvlllT_PT11_llS5_llS3_PT12_llPT13_lli.num_agpr, 0
	.set _ZN12_GLOBAL__N_135rocblas_gemm_batched_general_kernelIfLi16ELi16ELi32ELi32ELi8ELi32ELi8ELi8ELi32ELc84ELc67EKDF16_KffEEvlllT_PT11_llS5_llS3_PT12_llPT13_lli.numbered_sgpr, 44
	.set _ZN12_GLOBAL__N_135rocblas_gemm_batched_general_kernelIfLi16ELi16ELi32ELi32ELi8ELi32ELi8ELi8ELi32ELc84ELc67EKDF16_KffEEvlllT_PT11_llS5_llS3_PT12_llPT13_lli.num_named_barrier, 0
	.set _ZN12_GLOBAL__N_135rocblas_gemm_batched_general_kernelIfLi16ELi16ELi32ELi32ELi8ELi32ELi8ELi8ELi32ELc84ELc67EKDF16_KffEEvlllT_PT11_llS5_llS3_PT12_llPT13_lli.private_seg_size, 0
	.set _ZN12_GLOBAL__N_135rocblas_gemm_batched_general_kernelIfLi16ELi16ELi32ELi32ELi8ELi32ELi8ELi8ELi32ELc84ELc67EKDF16_KffEEvlllT_PT11_llS5_llS3_PT12_llPT13_lli.uses_vcc, 1
	.set _ZN12_GLOBAL__N_135rocblas_gemm_batched_general_kernelIfLi16ELi16ELi32ELi32ELi8ELi32ELi8ELi8ELi32ELc84ELc67EKDF16_KffEEvlllT_PT11_llS5_llS3_PT12_llPT13_lli.uses_flat_scratch, 0
	.set _ZN12_GLOBAL__N_135rocblas_gemm_batched_general_kernelIfLi16ELi16ELi32ELi32ELi8ELi32ELi8ELi8ELi32ELc84ELc67EKDF16_KffEEvlllT_PT11_llS5_llS3_PT12_llPT13_lli.has_dyn_sized_stack, 0
	.set _ZN12_GLOBAL__N_135rocblas_gemm_batched_general_kernelIfLi16ELi16ELi32ELi32ELi8ELi32ELi8ELi8ELi32ELc84ELc67EKDF16_KffEEvlllT_PT11_llS5_llS3_PT12_llPT13_lli.has_recursion, 0
	.set _ZN12_GLOBAL__N_135rocblas_gemm_batched_general_kernelIfLi16ELi16ELi32ELi32ELi8ELi32ELi8ELi8ELi32ELc84ELc67EKDF16_KffEEvlllT_PT11_llS5_llS3_PT12_llPT13_lli.has_indirect_call, 0
	.section	.AMDGPU.csdata,"",@progbits
; Kernel info:
; codeLenInByte = 1768
; TotalNumSgprs: 46
; NumVgprs: 52
; ScratchSize: 0
; MemoryBound: 0
; FloatMode: 240
; IeeeMode: 1
; LDSByteSize: 2048 bytes/workgroup (compile time only)
; SGPRBlocks: 0
; VGPRBlocks: 3
; NumSGPRsForWavesPerEU: 46
; NumVGPRsForWavesPerEU: 52
; NamedBarCnt: 0
; Occupancy: 16
; WaveLimiterHint : 0
; COMPUTE_PGM_RSRC2:SCRATCH_EN: 0
; COMPUTE_PGM_RSRC2:USER_SGPR: 2
; COMPUTE_PGM_RSRC2:TRAP_HANDLER: 0
; COMPUTE_PGM_RSRC2:TGID_X_EN: 1
; COMPUTE_PGM_RSRC2:TGID_Y_EN: 1
; COMPUTE_PGM_RSRC2:TGID_Z_EN: 1
; COMPUTE_PGM_RSRC2:TIDIG_COMP_CNT: 1
	.section	.text._ZN12_GLOBAL__N_120gemm_ex_scale_kernelILi32ELi32EfPK16rocblas_bfloat16PS1_EEviiT1_T2_lllT3_llli,"axG",@progbits,_ZN12_GLOBAL__N_120gemm_ex_scale_kernelILi32ELi32EfPK16rocblas_bfloat16PS1_EEviiT1_T2_lllT3_llli,comdat
	.globl	_ZN12_GLOBAL__N_120gemm_ex_scale_kernelILi32ELi32EfPK16rocblas_bfloat16PS1_EEviiT1_T2_lllT3_llli ; -- Begin function _ZN12_GLOBAL__N_120gemm_ex_scale_kernelILi32ELi32EfPK16rocblas_bfloat16PS1_EEviiT1_T2_lllT3_llli
	.p2align	8
	.type	_ZN12_GLOBAL__N_120gemm_ex_scale_kernelILi32ELi32EfPK16rocblas_bfloat16PS1_EEviiT1_T2_lllT3_llli,@function
_ZN12_GLOBAL__N_120gemm_ex_scale_kernelILi32ELi32EfPK16rocblas_bfloat16PS1_EEviiT1_T2_lllT3_llli: ; @_ZN12_GLOBAL__N_120gemm_ex_scale_kernelILi32ELi32EfPK16rocblas_bfloat16PS1_EEviiT1_T2_lllT3_llli
; %bb.0:
	s_load_b32 s3, s[0:1], 0x50
	s_bfe_u32 s2, ttmp6, 0x40014
	s_lshr_b32 s4, ttmp7, 16
	s_add_co_i32 s2, s2, 1
	s_bfe_u32 s6, ttmp6, 0x40008
	s_mul_i32 s5, s4, s2
	s_getreg_b32 s2, hwreg(HW_REG_IB_STS2, 6, 4)
	s_add_co_i32 s6, s6, s5
	s_cmp_eq_u32 s2, 0
	s_mov_b32 s21, 0
	s_cselect_b32 s20, s4, s6
	s_wait_kmcnt 0x0
	s_cmp_ge_u32 s20, s3
	s_cbranch_scc1 .LBB417_12
; %bb.1:
	s_load_b512 s[4:19], s[0:1], 0x10
	s_bfe_u32 s23, ttmp6, 0x40010
	s_bfe_u32 s26, ttmp6, 0x4000c
	s_and_b32 s22, ttmp7, 0xffff
	s_add_co_i32 s23, s23, 1
	s_add_co_i32 s26, s26, 1
	s_bfe_u32 s24, ttmp6, 0x40004
	s_and_b32 s25, ttmp6, 15
	s_mul_i32 s23, s22, s23
	s_mul_i32 s26, ttmp9, s26
	v_bfe_u32 v1, v0, 10, 10
	s_add_co_i32 s24, s24, s23
	s_add_co_i32 s25, s25, s26
	v_mov_b32_e32 v3, 0
	v_and_b32_e32 v0, 0x3ff, v0
	s_wait_kmcnt 0x0
	s_lshl_b64 s[14:15], s[14:15], 1
	s_lshl_b64 s[6:7], s[6:7], 1
	s_cmp_eq_u32 s2, 0
	s_add_nc_u64 s[4:5], s[4:5], s[6:7]
	s_cselect_b32 s2, s22, s24
	s_add_nc_u64 s[6:7], s[12:13], s[14:15]
	v_lshl_add_u32 v2, s2, 5, v1
	s_load_b96 s[0:2], s[0:1], 0x0
	v_mov_b32_e32 v1, v3
	s_delay_alu instid0(VALU_DEP_2) | instskip(SKIP_2) | instid1(SALU_CYCLE_1)
	v_mul_u64_e32 v[4:5], s[8:9], v[2:3]
	v_mul_u64_e32 v[6:7], s[16:17], v[2:3]
	s_cselect_b32 s8, ttmp9, s25
	v_lshl_add_u32 v0, s8, 5, v0
	s_wait_kmcnt 0x0
	s_delay_alu instid0(VALU_DEP_1)
	v_cmp_gt_u32_e32 vcc_lo, s0, v0
	v_cmp_gt_u32_e64 s0, s1, v2
	v_lshlrev_b64_e32 v[2:3], 1, v[0:1]
	s_and_b32 s0, vcc_lo, s0
	s_cmp_neq_f32 s2, 0
	s_cselect_b32 s1, -1, 0
	v_lshl_add_u64 v[0:1], v[4:5], 1, s[4:5]
	v_lshl_add_u64 v[4:5], v[6:7], 1, s[6:7]
	s_delay_alu instid0(VALU_DEP_2) | instskip(NEXT) | instid1(VALU_DEP_2)
	v_add_nc_u64_e32 v[0:1], v[0:1], v[2:3]
	v_add_nc_u64_e32 v[2:3], v[4:5], v[2:3]
	s_branch .LBB417_5
.LBB417_2:                              ;   in Loop: Header=BB417_5 Depth=1
	s_or_b32 exec_lo, exec_lo, s5
	s_delay_alu instid0(VALU_DEP_1)
	v_lshrrev_b32_e32 v4, 16, v5
.LBB417_3:                              ;   in Loop: Header=BB417_5 Depth=1
	s_mul_u64 s[6:7], s[18:19], s[20:21]
	s_delay_alu instid0(SALU_CYCLE_1)
	v_lshl_add_u64 v[6:7], s[6:7], 1, v[2:3]
	global_store_b16 v[6:7], v4, off
.LBB417_4:                              ;   in Loop: Header=BB417_5 Depth=1
	s_wait_xcnt 0x0
	s_or_b32 exec_lo, exec_lo, s4
	s_add_co_i32 s20, s20, 0x10000
	s_delay_alu instid0(SALU_CYCLE_1)
	s_cmp_lt_u32 s20, s3
	s_cbranch_scc0 .LBB417_12
.LBB417_5:                              ; =>This Inner Loop Header: Depth=1
	s_and_saveexec_b32 s4, s0
	s_cbranch_execz .LBB417_4
; %bb.6:                                ;   in Loop: Header=BB417_5 Depth=1
	s_and_not1_b32 vcc_lo, exec_lo, s1
	s_cbranch_vccnz .LBB417_11
; %bb.7:                                ;   in Loop: Header=BB417_5 Depth=1
	s_mul_u64 s[6:7], s[10:11], s[20:21]
	s_delay_alu instid0(SALU_CYCLE_1) | instskip(SKIP_4) | instid1(VALU_DEP_1)
	v_lshl_add_u64 v[4:5], s[6:7], 1, v[0:1]
	global_load_u16 v4, v[4:5], off
	s_wait_loadcnt 0x0
	s_wait_xcnt 0x0
	v_lshlrev_b32_e32 v4, 16, v4
	v_mul_f32_e32 v4, s2, v4
	s_delay_alu instid0(VALU_DEP_1) | instskip(NEXT) | instid1(VALU_DEP_1)
	v_and_b32_e32 v5, 0x7f800000, v4
	v_cmp_ne_u32_e32 vcc_lo, 0x7f800000, v5
                                        ; implicit-def: $vgpr5
	s_and_saveexec_b32 s5, vcc_lo
	s_delay_alu instid0(SALU_CYCLE_1)
	s_xor_b32 s5, exec_lo, s5
; %bb.8:                                ;   in Loop: Header=BB417_5 Depth=1
	v_bfe_u32 v5, v4, 16, 1
	s_delay_alu instid0(VALU_DEP_1)
	v_add3_u32 v5, v4, v5, 0x7fff
                                        ; implicit-def: $vgpr4
; %bb.9:                                ;   in Loop: Header=BB417_5 Depth=1
	s_and_not1_saveexec_b32 s5, s5
	s_cbranch_execz .LBB417_2
; %bb.10:                               ;   in Loop: Header=BB417_5 Depth=1
	v_and_b32_e32 v5, 0xffff, v4
	v_or_b32_e32 v6, 0x10000, v4
	s_delay_alu instid0(VALU_DEP_2) | instskip(NEXT) | instid1(VALU_DEP_2)
	v_cmp_eq_u32_e32 vcc_lo, 0, v5
	v_cndmask_b32_e32 v5, v6, v4, vcc_lo
	s_branch .LBB417_2
.LBB417_11:                             ;   in Loop: Header=BB417_5 Depth=1
	v_mov_b32_e32 v4, 0
	s_branch .LBB417_3
.LBB417_12:
	s_endpgm
	.section	.rodata,"a",@progbits
	.p2align	6, 0x0
	.amdhsa_kernel _ZN12_GLOBAL__N_120gemm_ex_scale_kernelILi32ELi32EfPK16rocblas_bfloat16PS1_EEviiT1_T2_lllT3_llli
		.amdhsa_group_segment_fixed_size 0
		.amdhsa_private_segment_fixed_size 0
		.amdhsa_kernarg_size 84
		.amdhsa_user_sgpr_count 2
		.amdhsa_user_sgpr_dispatch_ptr 0
		.amdhsa_user_sgpr_queue_ptr 0
		.amdhsa_user_sgpr_kernarg_segment_ptr 1
		.amdhsa_user_sgpr_dispatch_id 0
		.amdhsa_user_sgpr_kernarg_preload_length 0
		.amdhsa_user_sgpr_kernarg_preload_offset 0
		.amdhsa_user_sgpr_private_segment_size 0
		.amdhsa_wavefront_size32 1
		.amdhsa_uses_dynamic_stack 0
		.amdhsa_enable_private_segment 0
		.amdhsa_system_sgpr_workgroup_id_x 1
		.amdhsa_system_sgpr_workgroup_id_y 1
		.amdhsa_system_sgpr_workgroup_id_z 1
		.amdhsa_system_sgpr_workgroup_info 0
		.amdhsa_system_vgpr_workitem_id 1
		.amdhsa_next_free_vgpr 8
		.amdhsa_next_free_sgpr 27
		.amdhsa_named_barrier_count 0
		.amdhsa_reserve_vcc 1
		.amdhsa_float_round_mode_32 0
		.amdhsa_float_round_mode_16_64 0
		.amdhsa_float_denorm_mode_32 3
		.amdhsa_float_denorm_mode_16_64 3
		.amdhsa_fp16_overflow 0
		.amdhsa_memory_ordered 1
		.amdhsa_forward_progress 1
		.amdhsa_inst_pref_size 5
		.amdhsa_round_robin_scheduling 0
		.amdhsa_exception_fp_ieee_invalid_op 0
		.amdhsa_exception_fp_denorm_src 0
		.amdhsa_exception_fp_ieee_div_zero 0
		.amdhsa_exception_fp_ieee_overflow 0
		.amdhsa_exception_fp_ieee_underflow 0
		.amdhsa_exception_fp_ieee_inexact 0
		.amdhsa_exception_int_div_zero 0
	.end_amdhsa_kernel
	.section	.text._ZN12_GLOBAL__N_120gemm_ex_scale_kernelILi32ELi32EfPK16rocblas_bfloat16PS1_EEviiT1_T2_lllT3_llli,"axG",@progbits,_ZN12_GLOBAL__N_120gemm_ex_scale_kernelILi32ELi32EfPK16rocblas_bfloat16PS1_EEviiT1_T2_lllT3_llli,comdat
.Lfunc_end417:
	.size	_ZN12_GLOBAL__N_120gemm_ex_scale_kernelILi32ELi32EfPK16rocblas_bfloat16PS1_EEviiT1_T2_lllT3_llli, .Lfunc_end417-_ZN12_GLOBAL__N_120gemm_ex_scale_kernelILi32ELi32EfPK16rocblas_bfloat16PS1_EEviiT1_T2_lllT3_llli
                                        ; -- End function
	.set _ZN12_GLOBAL__N_120gemm_ex_scale_kernelILi32ELi32EfPK16rocblas_bfloat16PS1_EEviiT1_T2_lllT3_llli.num_vgpr, 8
	.set _ZN12_GLOBAL__N_120gemm_ex_scale_kernelILi32ELi32EfPK16rocblas_bfloat16PS1_EEviiT1_T2_lllT3_llli.num_agpr, 0
	.set _ZN12_GLOBAL__N_120gemm_ex_scale_kernelILi32ELi32EfPK16rocblas_bfloat16PS1_EEviiT1_T2_lllT3_llli.numbered_sgpr, 27
	.set _ZN12_GLOBAL__N_120gemm_ex_scale_kernelILi32ELi32EfPK16rocblas_bfloat16PS1_EEviiT1_T2_lllT3_llli.num_named_barrier, 0
	.set _ZN12_GLOBAL__N_120gemm_ex_scale_kernelILi32ELi32EfPK16rocblas_bfloat16PS1_EEviiT1_T2_lllT3_llli.private_seg_size, 0
	.set _ZN12_GLOBAL__N_120gemm_ex_scale_kernelILi32ELi32EfPK16rocblas_bfloat16PS1_EEviiT1_T2_lllT3_llli.uses_vcc, 1
	.set _ZN12_GLOBAL__N_120gemm_ex_scale_kernelILi32ELi32EfPK16rocblas_bfloat16PS1_EEviiT1_T2_lllT3_llli.uses_flat_scratch, 0
	.set _ZN12_GLOBAL__N_120gemm_ex_scale_kernelILi32ELi32EfPK16rocblas_bfloat16PS1_EEviiT1_T2_lllT3_llli.has_dyn_sized_stack, 0
	.set _ZN12_GLOBAL__N_120gemm_ex_scale_kernelILi32ELi32EfPK16rocblas_bfloat16PS1_EEviiT1_T2_lllT3_llli.has_recursion, 0
	.set _ZN12_GLOBAL__N_120gemm_ex_scale_kernelILi32ELi32EfPK16rocblas_bfloat16PS1_EEviiT1_T2_lllT3_llli.has_indirect_call, 0
	.section	.AMDGPU.csdata,"",@progbits
; Kernel info:
; codeLenInByte = 532
; TotalNumSgprs: 29
; NumVgprs: 8
; ScratchSize: 0
; MemoryBound: 0
; FloatMode: 240
; IeeeMode: 1
; LDSByteSize: 0 bytes/workgroup (compile time only)
; SGPRBlocks: 0
; VGPRBlocks: 0
; NumSGPRsForWavesPerEU: 29
; NumVGPRsForWavesPerEU: 8
; NamedBarCnt: 0
; Occupancy: 16
; WaveLimiterHint : 0
; COMPUTE_PGM_RSRC2:SCRATCH_EN: 0
; COMPUTE_PGM_RSRC2:USER_SGPR: 2
; COMPUTE_PGM_RSRC2:TRAP_HANDLER: 0
; COMPUTE_PGM_RSRC2:TGID_X_EN: 1
; COMPUTE_PGM_RSRC2:TGID_Y_EN: 1
; COMPUTE_PGM_RSRC2:TGID_Z_EN: 1
; COMPUTE_PGM_RSRC2:TIDIG_COMP_CNT: 1
	.section	.text._ZN12_GLOBAL__N_127rocblas_gemm_batched_kernelIfLi16ELi16ELi64ELi64ELi4ELi64ELi4ELi4ELi64ELc78ELc78EK16rocblas_bfloat16S2_S1_EEvlllT_PT11_llS5_llS3_PT12_llPT13_lli,"axG",@progbits,_ZN12_GLOBAL__N_127rocblas_gemm_batched_kernelIfLi16ELi16ELi64ELi64ELi4ELi64ELi4ELi4ELi64ELc78ELc78EK16rocblas_bfloat16S2_S1_EEvlllT_PT11_llS5_llS3_PT12_llPT13_lli,comdat
	.globl	_ZN12_GLOBAL__N_127rocblas_gemm_batched_kernelIfLi16ELi16ELi64ELi64ELi4ELi64ELi4ELi4ELi64ELc78ELc78EK16rocblas_bfloat16S2_S1_EEvlllT_PT11_llS5_llS3_PT12_llPT13_lli ; -- Begin function _ZN12_GLOBAL__N_127rocblas_gemm_batched_kernelIfLi16ELi16ELi64ELi64ELi4ELi64ELi4ELi4ELi64ELc78ELc78EK16rocblas_bfloat16S2_S1_EEvlllT_PT11_llS5_llS3_PT12_llPT13_lli
	.p2align	8
	.type	_ZN12_GLOBAL__N_127rocblas_gemm_batched_kernelIfLi16ELi16ELi64ELi64ELi4ELi64ELi4ELi4ELi64ELc78ELc78EK16rocblas_bfloat16S2_S1_EEvlllT_PT11_llS5_llS3_PT12_llPT13_lli,@function
_ZN12_GLOBAL__N_127rocblas_gemm_batched_kernelIfLi16ELi16ELi64ELi64ELi4ELi64ELi4ELi4ELi64ELc78ELc78EK16rocblas_bfloat16S2_S1_EEvlllT_PT11_llS5_llS3_PT12_llPT13_lli: ; @_ZN12_GLOBAL__N_127rocblas_gemm_batched_kernelIfLi16ELi16ELi64ELi64ELi4ELi64ELi4ELi4ELi64ELc78ELc78EK16rocblas_bfloat16S2_S1_EEvlllT_PT11_llS5_llS3_PT12_llPT13_lli
; %bb.0:
	s_load_b32 s3, s[0:1], 0x88
	s_bfe_u32 s2, ttmp6, 0x40014
	s_lshr_b32 s4, ttmp7, 16
	s_add_co_i32 s2, s2, 1
	s_bfe_u32 s6, ttmp6, 0x40008
	s_mul_i32 s5, s4, s2
	s_getreg_b32 s2, hwreg(HW_REG_IB_STS2, 6, 4)
	s_add_co_i32 s6, s6, s5
	s_cmp_eq_u32 s2, 0
	s_mov_b32 s29, 0
	s_cselect_b32 s28, s4, s6
	s_wait_kmcnt 0x0
	s_cmp_ge_i32 s28, s3
	s_cbranch_scc1 .LBB418_202
; %bb.1:
	v_bfe_u32 v4, v0, 10, 10
	v_and_b32_e32 v6, 0x3ff, v0
	s_bfe_u32 s21, ttmp6, 0x4000c
	s_bfe_u32 s23, ttmp6, 0x40010
	s_clause 0x2
	s_load_b256 s[12:19], s[0:1], 0x20
	s_load_b128 s[24:27], s[0:1], 0x40
	s_load_b256 s[4:11], s[0:1], 0x58
	v_dual_lshlrev_b32 v1, 4, v4 :: v_dual_mov_b32 v5, 0
	s_and_b32 s22, ttmp7, 0xffff
	s_add_co_i32 s21, s21, 1
	s_add_co_i32 s23, s23, 1
	s_delay_alu instid0(VALU_DEP_1)
	v_dual_add_nc_u32 v18, v1, v6 :: v_dual_bitop2_b32 v0, 3, v0 bitop3:0x40
	s_and_b32 s20, ttmp6, 15
	s_mul_i32 s21, ttmp9, s21
	s_mul_i32 s23, s22, s23
	s_bfe_u32 s30, ttmp6, 0x40004
	s_add_co_i32 s20, s20, s21
	s_add_co_i32 s30, s30, s23
	s_cmp_eq_u32 s2, 0
	v_dual_mov_b32 v9, v5 :: v_dual_lshrrev_b32 v8, 2, v18
	s_cselect_b32 s2, s22, s30
	s_cselect_b32 s34, ttmp9, s20
	s_lshl_b32 s30, s2, 6
	s_mov_b32 s31, s29
	s_load_b128 s[20:23], s[0:1], 0x78
	v_add_nc_u64_e32 v[2:3], s[30:31], v[8:9]
	v_add_nc_u64_e32 v[10:11], s[30:31], v[4:5]
	v_dual_lshrrev_b32 v19, 6, v18 :: v_dual_mov_b32 v7, v5
	s_ashr_i32 s35, s34, 31
	s_load_b32 s30, s[0:1], 0x50
	v_lshlrev_b32_e32 v9, 2, v0
	s_wait_kmcnt 0x0
	v_mul_u64_e32 v[12:13], s[24:25], v[2:3]
	v_mul_u64_e32 v[14:15], s[6:7], v[10:11]
	s_lshl_b64 s[24:25], s[34:35], 6
	s_load_b96 s[0:2], s[0:1], 0x10
	v_mad_nc_u64_u32 v[16:17], s14, v19, s[24:25]
	v_dual_lshlrev_b32 v34, 2, v6 :: v_dual_lshlrev_b32 v4, 1, v0
	v_add_nc_u32_e32 v35, 0x400, v1
	v_add_nc_u64_e32 v[0:1], s[24:25], v[6:7]
	v_lshl_or_b32 v20, v8, 4, v9
	v_mul_u64_e32 v[2:3], s[20:21], v[10:11]
	v_dual_mov_b32 v11, v5 :: v_dual_bitop2_b32 v10, 63, v18 bitop3:0x40
	v_mad_u32 v17, s15, v19, v17
	s_delay_alu instid0(VALU_DEP_4) | instskip(SKIP_1) | instid1(VALU_DEP_3)
	v_add_nc_u32_e32 v37, 0x400, v20
	s_cmp_eq_f32 s30, 0
	v_lshlrev_b32_e32 v18, 2, v10
	s_cselect_b32 s24, -1, 0
	s_lshl_b64 s[20:21], s[20:21], 4
	s_delay_alu instid0(VALU_DEP_1) | instskip(SKIP_1) | instid1(VALU_DEP_4)
	v_lshl_or_b32 v36, v19, 8, v18
	s_lshl_b64 s[6:7], s[6:7], 4
	v_add_nc_u64_e32 v[8:9], v[16:17], v[10:11]
	s_lshl_b64 s[14:15], s[14:15], 3
	v_lshl_add_u64 v[6:7], v[12:13], 1, v[4:5]
	v_lshl_add_u64 v[4:5], v[14:15], 1, s[4:5]
	s_delay_alu instid0(VALU_DEP_3)
	v_lshl_add_u64 v[8:9], v[8:9], 1, s[12:13]
	s_lshl_b64 s[4:5], s[26:27], 1
	s_lshl_b64 s[12:13], s[16:17], 1
	v_add_nc_u64_e32 v[6:7], s[18:19], v[6:7]
	s_wait_kmcnt 0x0
	v_cmp_gt_i64_e64 s18, s[0:1], 0
	s_branch .LBB418_4
.LBB418_2:                              ;   in Loop: Header=BB418_4 Depth=1
	s_or_b32 exec_lo, exec_lo, s16
	global_store_d16_hi_b16 v[16:17], v11, off offset:96
.LBB418_3:                              ;   in Loop: Header=BB418_4 Depth=1
	s_add_co_i32 s28, s28, 0x10000
	s_delay_alu instid0(SALU_CYCLE_1)
	s_cmp_lt_i32 s28, s3
	s_cbranch_scc0 .LBB418_202
.LBB418_4:                              ; =>This Loop Header: Depth=1
                                        ;     Child Loop BB418_6 Depth 2
	v_dual_mov_b32 v25, 0 :: v_dual_mov_b32 v24, 0
	v_dual_mov_b32 v23, 0 :: v_dual_mov_b32 v22, 0
	;; [unrolled: 1-line block ×4, first 2 shown]
	s_wait_xcnt 0x0
	v_dual_mov_b32 v17, 0 :: v_dual_mov_b32 v16, 0
	v_dual_mov_b32 v15, 0 :: v_dual_mov_b32 v14, 0
	;; [unrolled: 1-line block ×4, first 2 shown]
	s_and_not1_b32 vcc_lo, exec_lo, s18
	s_cbranch_vccnz .LBB418_7
; %bb.5:                                ;   in Loop: Header=BB418_4 Depth=1
	v_mad_nc_u64_u32 v[26:27], s4, s28, v[6:7]
	v_mad_nc_u64_u32 v[28:29], s12, s28, v[8:9]
	v_mov_b32_e32 v10, 0
	s_mov_b64 s[16:17], 0
	s_delay_alu instid0(VALU_DEP_1)
	v_dual_mov_b32 v11, v10 :: v_dual_mov_b32 v12, v10
	v_dual_mov_b32 v13, v10 :: v_dual_mov_b32 v14, v10
	v_mad_u32 v27, s5, s28, v27
	v_mad_u32 v29, s13, s28, v29
	v_dual_mov_b32 v15, v10 :: v_dual_mov_b32 v16, v10
	v_dual_mov_b32 v17, v10 :: v_dual_mov_b32 v18, v10
	;; [unrolled: 1-line block ×5, first 2 shown]
	v_mov_b32_e32 v25, v10
.LBB418_6:                              ;   Parent Loop BB418_4 Depth=1
                                        ; =>  This Inner Loop Header: Depth=2
	global_load_u16 v30, v[28:29], off
	global_load_u16 v31, v[26:27], off
	s_add_nc_u64 s[16:17], s[16:17], 4
	s_wait_xcnt 0x0
	v_add_nc_u64_e32 v[26:27], 8, v[26:27]
	v_cmp_lt_i64_e64 s19, s[16:17], s[0:1]
	v_add_nc_u64_e32 v[28:29], s[14:15], v[28:29]
	s_and_b32 vcc_lo, exec_lo, s19
	s_wait_loadcnt 0x0
	v_dual_lshlrev_b32 v30, 16, v30 :: v_dual_lshlrev_b32 v31, 16, v31
	ds_store_b32 v36, v30
	ds_store_b32 v37, v31
	s_wait_dscnt 0x0
	s_barrier_signal -1
	s_barrier_wait -1
	ds_load_b128 v[30:33], v35
	ds_load_2addr_b32 v[50:51], v34 offset1:16
	ds_load_2addr_b32 v[52:53], v34 offset0:32 offset1:48
	ds_load_b128 v[38:41], v35 offset:256
	ds_load_b128 v[42:45], v35 offset:512
	;; [unrolled: 1-line block ×3, first 2 shown]
	ds_load_2addr_b32 v[54:55], v34 offset0:64 offset1:80
	ds_load_2addr_b32 v[56:57], v34 offset0:96 offset1:112
	;; [unrolled: 1-line block ×6, first 2 shown]
	s_wait_dscnt 0x0
	s_barrier_signal -1
	s_barrier_wait -1
	v_mov_b32_e32 v66, v33
	v_pk_fma_f32 v[24:25], v[50:51], v[30:31], v[24:25] op_sel_hi:[1,0,1]
	v_pk_fma_f32 v[22:23], v[52:53], v[30:31], v[22:23] op_sel_hi:[1,0,1]
	;; [unrolled: 1-line block ×8, first 2 shown]
	v_pk_fma_f32 v[24:25], v[54:55], v[30:31], v[24:25] op_sel:[0,1,0]
	v_pk_fma_f32 v[22:23], v[56:57], v[30:31], v[22:23] op_sel:[0,1,0]
	;; [unrolled: 1-line block ×8, first 2 shown]
	v_dual_mov_b32 v50, v41 :: v_dual_mov_b32 v52, v45
	v_mov_b32_e32 v68, v49
	v_pk_fma_f32 v[24:25], v[58:59], v[32:33], v[24:25] op_sel_hi:[1,0,1]
	v_pk_fma_f32 v[22:23], v[60:61], v[32:33], v[22:23] op_sel_hi:[1,0,1]
	;; [unrolled: 1-line block ×16, first 2 shown]
	s_cbranch_vccnz .LBB418_6
.LBB418_7:                              ;   in Loop: Header=BB418_4 Depth=1
	s_mul_u64 s[16:17], s[22:23], s[28:29]
	s_and_not1_b32 vcc_lo, exec_lo, s24
	s_lshl_b64 s[16:17], s[16:17], 1
	s_delay_alu instid0(SALU_CYCLE_1)
	s_add_nc_u64 s[16:17], s[10:11], s[16:17]
	s_cbranch_vccnz .LBB418_73
; %bb.8:                                ;   in Loop: Header=BB418_4 Depth=1
	v_mul_f32_e32 v26, s2, v24
	s_mov_b32 s19, exec_lo
                                        ; implicit-def: $vgpr30
	s_delay_alu instid0(VALU_DEP_1) | instskip(NEXT) | instid1(VALU_DEP_1)
	v_and_b32_e32 v27, 0x7f800000, v26
	v_cmpx_ne_u32_e32 0x7f800000, v27
	s_xor_b32 s19, exec_lo, s19
; %bb.9:                                ;   in Loop: Header=BB418_4 Depth=1
	v_bfe_u32 v27, v26, 16, 1
	s_delay_alu instid0(VALU_DEP_1)
	v_add3_u32 v30, v26, v27, 0x7fff
                                        ; implicit-def: $vgpr26
; %bb.10:                               ;   in Loop: Header=BB418_4 Depth=1
	s_and_not1_saveexec_b32 s19, s19
; %bb.11:                               ;   in Loop: Header=BB418_4 Depth=1
	v_and_b32_e32 v27, 0xffff, v26
	v_or_b32_e32 v28, 0x10000, v26
	s_delay_alu instid0(VALU_DEP_2) | instskip(NEXT) | instid1(VALU_DEP_2)
	v_cmp_eq_u32_e32 vcc_lo, 0, v27
	v_cndmask_b32_e32 v30, v28, v26, vcc_lo
; %bb.12:                               ;   in Loop: Header=BB418_4 Depth=1
	s_or_b32 exec_lo, exec_lo, s19
	v_mul_f32_e32 v31, s2, v25
	v_lshl_add_u64 v[26:27], v[2:3], 1, s[16:17]
	s_delay_alu instid0(VALU_DEP_2) | instskip(NEXT) | instid1(VALU_DEP_2)
	v_and_b32_e32 v32, 0x7f800000, v31
	v_lshl_add_u64 v[28:29], v[0:1], 1, v[26:27]
	s_delay_alu instid0(VALU_DEP_2) | instskip(SKIP_3) | instid1(SALU_CYCLE_1)
	v_cmp_ne_u32_e32 vcc_lo, 0x7f800000, v32
	global_store_d16_hi_b16 v[28:29], v30, off
                                        ; implicit-def: $vgpr32
	s_wait_xcnt 0x0
	s_and_saveexec_b32 s19, vcc_lo
	s_xor_b32 s19, exec_lo, s19
; %bb.13:                               ;   in Loop: Header=BB418_4 Depth=1
	v_bfe_u32 v30, v31, 16, 1
	s_delay_alu instid0(VALU_DEP_1)
	v_add3_u32 v32, v31, v30, 0x7fff
                                        ; implicit-def: $vgpr31
; %bb.14:                               ;   in Loop: Header=BB418_4 Depth=1
	s_and_not1_saveexec_b32 s19, s19
; %bb.15:                               ;   in Loop: Header=BB418_4 Depth=1
	v_and_b32_e32 v30, 0xffff, v31
	v_or_b32_e32 v32, 0x10000, v31
	s_delay_alu instid0(VALU_DEP_2) | instskip(NEXT) | instid1(VALU_DEP_2)
	v_cmp_eq_u32_e32 vcc_lo, 0, v30
	v_cndmask_b32_e32 v32, v32, v31, vcc_lo
; %bb.16:                               ;   in Loop: Header=BB418_4 Depth=1
	s_or_b32 exec_lo, exec_lo, s19
	v_mul_f32_e32 v30, s2, v22
	global_store_d16_hi_b16 v[28:29], v32, off offset:32
	v_and_b32_e32 v31, 0x7f800000, v30
	s_delay_alu instid0(VALU_DEP_1) | instskip(SKIP_2) | instid1(SALU_CYCLE_1)
	v_cmp_ne_u32_e32 vcc_lo, 0x7f800000, v31
                                        ; implicit-def: $vgpr31
	s_wait_xcnt 0x0
	s_and_saveexec_b32 s19, vcc_lo
	s_xor_b32 s19, exec_lo, s19
; %bb.17:                               ;   in Loop: Header=BB418_4 Depth=1
	v_bfe_u32 v31, v30, 16, 1
	s_delay_alu instid0(VALU_DEP_1)
	v_add3_u32 v31, v30, v31, 0x7fff
                                        ; implicit-def: $vgpr30
; %bb.18:                               ;   in Loop: Header=BB418_4 Depth=1
	s_and_not1_saveexec_b32 s19, s19
; %bb.19:                               ;   in Loop: Header=BB418_4 Depth=1
	v_and_b32_e32 v31, 0xffff, v30
	v_or_b32_e32 v32, 0x10000, v30
	s_delay_alu instid0(VALU_DEP_2) | instskip(NEXT) | instid1(VALU_DEP_2)
	v_cmp_eq_u32_e32 vcc_lo, 0, v31
	v_cndmask_b32_e32 v31, v32, v30, vcc_lo
; %bb.20:                               ;   in Loop: Header=BB418_4 Depth=1
	s_or_b32 exec_lo, exec_lo, s19
	v_mul_f32_e32 v30, s2, v23
	global_store_d16_hi_b16 v[28:29], v31, off offset:64
	v_and_b32_e32 v32, 0x7f800000, v30
	s_delay_alu instid0(VALU_DEP_1) | instskip(SKIP_2) | instid1(SALU_CYCLE_1)
	v_cmp_ne_u32_e32 vcc_lo, 0x7f800000, v32
                                        ; implicit-def: $vgpr32
	s_wait_xcnt 0x0
	s_and_saveexec_b32 s19, vcc_lo
	s_xor_b32 s19, exec_lo, s19
; %bb.21:                               ;   in Loop: Header=BB418_4 Depth=1
	v_bfe_u32 v31, v30, 16, 1
	s_delay_alu instid0(VALU_DEP_1)
	v_add3_u32 v32, v30, v31, 0x7fff
                                        ; implicit-def: $vgpr30
; %bb.22:                               ;   in Loop: Header=BB418_4 Depth=1
	s_and_not1_saveexec_b32 s19, s19
; %bb.23:                               ;   in Loop: Header=BB418_4 Depth=1
	v_and_b32_e32 v31, 0xffff, v30
	v_or_b32_e32 v32, 0x10000, v30
	s_delay_alu instid0(VALU_DEP_2) | instskip(NEXT) | instid1(VALU_DEP_2)
	v_cmp_eq_u32_e32 vcc_lo, 0, v31
	v_cndmask_b32_e32 v32, v32, v30, vcc_lo
; %bb.24:                               ;   in Loop: Header=BB418_4 Depth=1
	s_or_b32 exec_lo, exec_lo, s19
	v_mul_f32_e32 v31, s2, v20
	global_store_d16_hi_b16 v[28:29], v32, off offset:96
	v_and_b32_e32 v30, 0x7f800000, v31
	s_delay_alu instid0(VALU_DEP_1) | instskip(SKIP_2) | instid1(SALU_CYCLE_1)
	v_cmp_ne_u32_e32 vcc_lo, 0x7f800000, v30
                                        ; implicit-def: $vgpr30
	s_wait_xcnt 0x0
	s_and_saveexec_b32 s19, vcc_lo
	s_xor_b32 s19, exec_lo, s19
; %bb.25:                               ;   in Loop: Header=BB418_4 Depth=1
	v_bfe_u32 v28, v31, 16, 1
	s_delay_alu instid0(VALU_DEP_1)
	v_add3_u32 v30, v31, v28, 0x7fff
                                        ; implicit-def: $vgpr31
; %bb.26:                               ;   in Loop: Header=BB418_4 Depth=1
	s_and_not1_saveexec_b32 s19, s19
; %bb.27:                               ;   in Loop: Header=BB418_4 Depth=1
	v_and_b32_e32 v28, 0xffff, v31
	v_or_b32_e32 v29, 0x10000, v31
	s_delay_alu instid0(VALU_DEP_2) | instskip(NEXT) | instid1(VALU_DEP_2)
	v_cmp_eq_u32_e32 vcc_lo, 0, v28
	v_cndmask_b32_e32 v30, v29, v31, vcc_lo
; %bb.28:                               ;   in Loop: Header=BB418_4 Depth=1
	s_or_b32 exec_lo, exec_lo, s19
	v_mul_f32_e32 v31, s2, v21
	v_lshl_add_u64 v[26:27], s[20:21], 1, v[26:27]
	s_delay_alu instid0(VALU_DEP_2) | instskip(NEXT) | instid1(VALU_DEP_2)
	v_and_b32_e32 v32, 0x7f800000, v31
	v_lshl_add_u64 v[28:29], v[0:1], 1, v[26:27]
	s_delay_alu instid0(VALU_DEP_2) | instskip(SKIP_3) | instid1(SALU_CYCLE_1)
	v_cmp_ne_u32_e32 vcc_lo, 0x7f800000, v32
	global_store_d16_hi_b16 v[28:29], v30, off
                                        ; implicit-def: $vgpr32
	s_wait_xcnt 0x0
	s_and_saveexec_b32 s19, vcc_lo
	s_xor_b32 s19, exec_lo, s19
; %bb.29:                               ;   in Loop: Header=BB418_4 Depth=1
	v_bfe_u32 v30, v31, 16, 1
	s_delay_alu instid0(VALU_DEP_1)
	v_add3_u32 v32, v31, v30, 0x7fff
                                        ; implicit-def: $vgpr31
; %bb.30:                               ;   in Loop: Header=BB418_4 Depth=1
	s_and_not1_saveexec_b32 s19, s19
; %bb.31:                               ;   in Loop: Header=BB418_4 Depth=1
	v_and_b32_e32 v30, 0xffff, v31
	v_or_b32_e32 v32, 0x10000, v31
	s_delay_alu instid0(VALU_DEP_2) | instskip(NEXT) | instid1(VALU_DEP_2)
	v_cmp_eq_u32_e32 vcc_lo, 0, v30
	v_cndmask_b32_e32 v32, v32, v31, vcc_lo
; %bb.32:                               ;   in Loop: Header=BB418_4 Depth=1
	s_or_b32 exec_lo, exec_lo, s19
	v_mul_f32_e32 v30, s2, v18
	global_store_d16_hi_b16 v[28:29], v32, off offset:32
	v_and_b32_e32 v31, 0x7f800000, v30
	s_delay_alu instid0(VALU_DEP_1) | instskip(SKIP_2) | instid1(SALU_CYCLE_1)
	v_cmp_ne_u32_e32 vcc_lo, 0x7f800000, v31
                                        ; implicit-def: $vgpr31
	s_wait_xcnt 0x0
	s_and_saveexec_b32 s19, vcc_lo
	s_xor_b32 s19, exec_lo, s19
; %bb.33:                               ;   in Loop: Header=BB418_4 Depth=1
	v_bfe_u32 v31, v30, 16, 1
	s_delay_alu instid0(VALU_DEP_1)
	v_add3_u32 v31, v30, v31, 0x7fff
                                        ; implicit-def: $vgpr30
; %bb.34:                               ;   in Loop: Header=BB418_4 Depth=1
	s_and_not1_saveexec_b32 s19, s19
; %bb.35:                               ;   in Loop: Header=BB418_4 Depth=1
	v_and_b32_e32 v31, 0xffff, v30
	v_or_b32_e32 v32, 0x10000, v30
	s_delay_alu instid0(VALU_DEP_2) | instskip(NEXT) | instid1(VALU_DEP_2)
	v_cmp_eq_u32_e32 vcc_lo, 0, v31
	v_cndmask_b32_e32 v31, v32, v30, vcc_lo
; %bb.36:                               ;   in Loop: Header=BB418_4 Depth=1
	s_or_b32 exec_lo, exec_lo, s19
	v_mul_f32_e32 v30, s2, v19
	global_store_d16_hi_b16 v[28:29], v31, off offset:64
	v_and_b32_e32 v32, 0x7f800000, v30
	s_delay_alu instid0(VALU_DEP_1) | instskip(SKIP_2) | instid1(SALU_CYCLE_1)
	v_cmp_ne_u32_e32 vcc_lo, 0x7f800000, v32
                                        ; implicit-def: $vgpr32
	s_wait_xcnt 0x0
	s_and_saveexec_b32 s19, vcc_lo
	s_xor_b32 s19, exec_lo, s19
; %bb.37:                               ;   in Loop: Header=BB418_4 Depth=1
	v_bfe_u32 v31, v30, 16, 1
	s_delay_alu instid0(VALU_DEP_1)
	v_add3_u32 v32, v30, v31, 0x7fff
                                        ; implicit-def: $vgpr30
; %bb.38:                               ;   in Loop: Header=BB418_4 Depth=1
	s_and_not1_saveexec_b32 s19, s19
; %bb.39:                               ;   in Loop: Header=BB418_4 Depth=1
	v_and_b32_e32 v31, 0xffff, v30
	v_or_b32_e32 v32, 0x10000, v30
	s_delay_alu instid0(VALU_DEP_2) | instskip(NEXT) | instid1(VALU_DEP_2)
	v_cmp_eq_u32_e32 vcc_lo, 0, v31
	v_cndmask_b32_e32 v32, v32, v30, vcc_lo
; %bb.40:                               ;   in Loop: Header=BB418_4 Depth=1
	s_or_b32 exec_lo, exec_lo, s19
	v_mul_f32_e32 v31, s2, v16
	global_store_d16_hi_b16 v[28:29], v32, off offset:96
	v_and_b32_e32 v30, 0x7f800000, v31
	s_delay_alu instid0(VALU_DEP_1) | instskip(SKIP_2) | instid1(SALU_CYCLE_1)
	v_cmp_ne_u32_e32 vcc_lo, 0x7f800000, v30
                                        ; implicit-def: $vgpr30
	s_wait_xcnt 0x0
	s_and_saveexec_b32 s19, vcc_lo
	s_xor_b32 s19, exec_lo, s19
; %bb.41:                               ;   in Loop: Header=BB418_4 Depth=1
	v_bfe_u32 v28, v31, 16, 1
	s_delay_alu instid0(VALU_DEP_1)
	v_add3_u32 v30, v31, v28, 0x7fff
                                        ; implicit-def: $vgpr31
; %bb.42:                               ;   in Loop: Header=BB418_4 Depth=1
	s_and_not1_saveexec_b32 s19, s19
; %bb.43:                               ;   in Loop: Header=BB418_4 Depth=1
	v_and_b32_e32 v28, 0xffff, v31
	v_or_b32_e32 v29, 0x10000, v31
	s_delay_alu instid0(VALU_DEP_2) | instskip(NEXT) | instid1(VALU_DEP_2)
	v_cmp_eq_u32_e32 vcc_lo, 0, v28
	v_cndmask_b32_e32 v30, v29, v31, vcc_lo
; %bb.44:                               ;   in Loop: Header=BB418_4 Depth=1
	s_or_b32 exec_lo, exec_lo, s19
	v_mul_f32_e32 v31, s2, v17
	v_lshl_add_u64 v[26:27], s[20:21], 1, v[26:27]
	s_delay_alu instid0(VALU_DEP_2) | instskip(NEXT) | instid1(VALU_DEP_2)
	v_and_b32_e32 v32, 0x7f800000, v31
	v_lshl_add_u64 v[28:29], v[0:1], 1, v[26:27]
	s_delay_alu instid0(VALU_DEP_2) | instskip(SKIP_3) | instid1(SALU_CYCLE_1)
	v_cmp_ne_u32_e32 vcc_lo, 0x7f800000, v32
	global_store_d16_hi_b16 v[28:29], v30, off
                                        ; implicit-def: $vgpr32
	s_wait_xcnt 0x0
	s_and_saveexec_b32 s19, vcc_lo
	s_xor_b32 s19, exec_lo, s19
; %bb.45:                               ;   in Loop: Header=BB418_4 Depth=1
	v_bfe_u32 v30, v31, 16, 1
	s_delay_alu instid0(VALU_DEP_1)
	v_add3_u32 v32, v31, v30, 0x7fff
                                        ; implicit-def: $vgpr31
; %bb.46:                               ;   in Loop: Header=BB418_4 Depth=1
	s_and_not1_saveexec_b32 s19, s19
; %bb.47:                               ;   in Loop: Header=BB418_4 Depth=1
	v_and_b32_e32 v30, 0xffff, v31
	v_or_b32_e32 v32, 0x10000, v31
	s_delay_alu instid0(VALU_DEP_2) | instskip(NEXT) | instid1(VALU_DEP_2)
	v_cmp_eq_u32_e32 vcc_lo, 0, v30
	v_cndmask_b32_e32 v32, v32, v31, vcc_lo
; %bb.48:                               ;   in Loop: Header=BB418_4 Depth=1
	s_or_b32 exec_lo, exec_lo, s19
	v_mul_f32_e32 v30, s2, v14
	global_store_d16_hi_b16 v[28:29], v32, off offset:32
	v_and_b32_e32 v31, 0x7f800000, v30
	s_delay_alu instid0(VALU_DEP_1) | instskip(SKIP_2) | instid1(SALU_CYCLE_1)
	v_cmp_ne_u32_e32 vcc_lo, 0x7f800000, v31
                                        ; implicit-def: $vgpr31
	s_wait_xcnt 0x0
	s_and_saveexec_b32 s19, vcc_lo
	s_xor_b32 s19, exec_lo, s19
; %bb.49:                               ;   in Loop: Header=BB418_4 Depth=1
	v_bfe_u32 v31, v30, 16, 1
	s_delay_alu instid0(VALU_DEP_1)
	v_add3_u32 v31, v30, v31, 0x7fff
                                        ; implicit-def: $vgpr30
; %bb.50:                               ;   in Loop: Header=BB418_4 Depth=1
	s_and_not1_saveexec_b32 s19, s19
; %bb.51:                               ;   in Loop: Header=BB418_4 Depth=1
	v_and_b32_e32 v31, 0xffff, v30
	v_or_b32_e32 v32, 0x10000, v30
	s_delay_alu instid0(VALU_DEP_2) | instskip(NEXT) | instid1(VALU_DEP_2)
	v_cmp_eq_u32_e32 vcc_lo, 0, v31
	v_cndmask_b32_e32 v31, v32, v30, vcc_lo
; %bb.52:                               ;   in Loop: Header=BB418_4 Depth=1
	s_or_b32 exec_lo, exec_lo, s19
	v_mul_f32_e32 v30, s2, v15
	s_mov_b32 s19, exec_lo
	global_store_d16_hi_b16 v[28:29], v31, off offset:64
                                        ; implicit-def: $vgpr31
	v_and_b32_e32 v32, 0x7f800000, v30
	s_wait_xcnt 0x0
	s_delay_alu instid0(VALU_DEP_1)
	v_cmpx_ne_u32_e32 0x7f800000, v32
	s_xor_b32 s19, exec_lo, s19
; %bb.53:                               ;   in Loop: Header=BB418_4 Depth=1
	v_bfe_u32 v31, v30, 16, 1
	s_delay_alu instid0(VALU_DEP_1)
	v_add3_u32 v31, v30, v31, 0x7fff
                                        ; implicit-def: $vgpr30
; %bb.54:                               ;   in Loop: Header=BB418_4 Depth=1
	s_and_not1_saveexec_b32 s19, s19
; %bb.55:                               ;   in Loop: Header=BB418_4 Depth=1
	v_and_b32_e32 v31, 0xffff, v30
	v_or_b32_e32 v32, 0x10000, v30
	s_delay_alu instid0(VALU_DEP_2) | instskip(NEXT) | instid1(VALU_DEP_2)
	v_cmp_eq_u32_e32 vcc_lo, 0, v31
	v_cndmask_b32_e32 v31, v32, v30, vcc_lo
; %bb.56:                               ;   in Loop: Header=BB418_4 Depth=1
	s_or_b32 exec_lo, exec_lo, s19
	v_mul_f32_e32 v30, s2, v12
	s_mov_b32 s19, exec_lo
	global_store_d16_hi_b16 v[28:29], v31, off offset:96
                                        ; implicit-def: $vgpr28
	v_and_b32_e32 v32, 0x7f800000, v30
	s_wait_xcnt 0x0
	s_delay_alu instid0(VALU_DEP_1)
	v_cmpx_ne_u32_e32 0x7f800000, v32
	s_xor_b32 s19, exec_lo, s19
; %bb.57:                               ;   in Loop: Header=BB418_4 Depth=1
	v_bfe_u32 v28, v30, 16, 1
	s_delay_alu instid0(VALU_DEP_1)
	v_add3_u32 v28, v30, v28, 0x7fff
                                        ; implicit-def: $vgpr30
; %bb.58:                               ;   in Loop: Header=BB418_4 Depth=1
	s_and_not1_saveexec_b32 s19, s19
; %bb.59:                               ;   in Loop: Header=BB418_4 Depth=1
	v_and_b32_e32 v28, 0xffff, v30
	v_or_b32_e32 v29, 0x10000, v30
	s_delay_alu instid0(VALU_DEP_2) | instskip(NEXT) | instid1(VALU_DEP_2)
	v_cmp_eq_u32_e32 vcc_lo, 0, v28
	v_cndmask_b32_e32 v28, v29, v30, vcc_lo
; %bb.60:                               ;   in Loop: Header=BB418_4 Depth=1
	s_or_b32 exec_lo, exec_lo, s19
	v_mul_f32_e32 v29, s2, v13
	v_lshl_add_u64 v[26:27], s[20:21], 1, v[26:27]
	s_delay_alu instid0(VALU_DEP_2) | instskip(NEXT) | instid1(VALU_DEP_2)
	v_and_b32_e32 v30, 0x7f800000, v29
	v_lshl_add_u64 v[26:27], v[0:1], 1, v[26:27]
	s_delay_alu instid0(VALU_DEP_2) | instskip(SKIP_3) | instid1(SALU_CYCLE_1)
	v_cmp_ne_u32_e32 vcc_lo, 0x7f800000, v30
	global_store_d16_hi_b16 v[26:27], v28, off
                                        ; implicit-def: $vgpr30
	s_wait_xcnt 0x0
	s_and_saveexec_b32 s19, vcc_lo
	s_xor_b32 s19, exec_lo, s19
; %bb.61:                               ;   in Loop: Header=BB418_4 Depth=1
	v_bfe_u32 v28, v29, 16, 1
	s_delay_alu instid0(VALU_DEP_1)
	v_add3_u32 v30, v29, v28, 0x7fff
                                        ; implicit-def: $vgpr29
; %bb.62:                               ;   in Loop: Header=BB418_4 Depth=1
	s_and_not1_saveexec_b32 s19, s19
; %bb.63:                               ;   in Loop: Header=BB418_4 Depth=1
	v_and_b32_e32 v28, 0xffff, v29
	v_or_b32_e32 v30, 0x10000, v29
	s_delay_alu instid0(VALU_DEP_2) | instskip(NEXT) | instid1(VALU_DEP_2)
	v_cmp_eq_u32_e32 vcc_lo, 0, v28
	v_cndmask_b32_e32 v30, v30, v29, vcc_lo
; %bb.64:                               ;   in Loop: Header=BB418_4 Depth=1
	s_or_b32 exec_lo, exec_lo, s19
	v_mul_f32_e32 v28, s2, v10
	global_store_d16_hi_b16 v[26:27], v30, off offset:32
	v_and_b32_e32 v29, 0x7f800000, v28
	s_delay_alu instid0(VALU_DEP_1) | instskip(SKIP_2) | instid1(SALU_CYCLE_1)
	v_cmp_ne_u32_e32 vcc_lo, 0x7f800000, v29
                                        ; implicit-def: $vgpr29
	s_wait_xcnt 0x0
	s_and_saveexec_b32 s19, vcc_lo
	s_xor_b32 s19, exec_lo, s19
; %bb.65:                               ;   in Loop: Header=BB418_4 Depth=1
	v_bfe_u32 v29, v28, 16, 1
	s_delay_alu instid0(VALU_DEP_1)
	v_add3_u32 v29, v28, v29, 0x7fff
                                        ; implicit-def: $vgpr28
; %bb.66:                               ;   in Loop: Header=BB418_4 Depth=1
	s_and_not1_saveexec_b32 s19, s19
; %bb.67:                               ;   in Loop: Header=BB418_4 Depth=1
	v_and_b32_e32 v29, 0xffff, v28
	v_or_b32_e32 v30, 0x10000, v28
	s_delay_alu instid0(VALU_DEP_2) | instskip(NEXT) | instid1(VALU_DEP_2)
	v_cmp_eq_u32_e32 vcc_lo, 0, v29
	v_cndmask_b32_e32 v29, v30, v28, vcc_lo
; %bb.68:                               ;   in Loop: Header=BB418_4 Depth=1
	s_or_b32 exec_lo, exec_lo, s19
	v_mul_f32_e32 v28, s2, v11
	s_mov_b32 s19, exec_lo
	global_store_d16_hi_b16 v[26:27], v29, off offset:64
                                        ; implicit-def: $vgpr29
	v_and_b32_e32 v30, 0x7f800000, v28
	s_wait_xcnt 0x0
	s_delay_alu instid0(VALU_DEP_1)
	v_cmpx_ne_u32_e32 0x7f800000, v30
	s_xor_b32 s19, exec_lo, s19
; %bb.69:                               ;   in Loop: Header=BB418_4 Depth=1
	v_bfe_u32 v29, v28, 16, 1
	s_delay_alu instid0(VALU_DEP_1)
	v_add3_u32 v29, v28, v29, 0x7fff
                                        ; implicit-def: $vgpr28
; %bb.70:                               ;   in Loop: Header=BB418_4 Depth=1
	s_and_not1_saveexec_b32 s19, s19
; %bb.71:                               ;   in Loop: Header=BB418_4 Depth=1
	v_and_b32_e32 v29, 0xffff, v28
	v_or_b32_e32 v30, 0x10000, v28
	s_delay_alu instid0(VALU_DEP_2) | instskip(NEXT) | instid1(VALU_DEP_2)
	v_cmp_eq_u32_e32 vcc_lo, 0, v29
	v_cndmask_b32_e32 v29, v30, v28, vcc_lo
; %bb.72:                               ;   in Loop: Header=BB418_4 Depth=1
	s_or_b32 exec_lo, exec_lo, s19
	global_store_d16_hi_b16 v[26:27], v29, off offset:96
	s_branch .LBB418_3
.LBB418_73:                             ;   in Loop: Header=BB418_4 Depth=1
	s_cbranch_execz .LBB418_3
; %bb.74:                               ;   in Loop: Header=BB418_4 Depth=1
	s_mul_u64 s[26:27], s[8:9], s[28:29]
	s_wait_xcnt 0x0
	v_lshl_add_u64 v[26:27], s[26:27], 1, v[4:5]
	s_delay_alu instid0(VALU_DEP_1) | instskip(SKIP_3) | instid1(VALU_DEP_1)
	v_lshl_add_u64 v[30:31], v[0:1], 1, v[26:27]
	global_load_u16 v28, v[30:31], off
	s_wait_loadcnt 0x0
	v_lshlrev_b32_e32 v28, 16, v28
	v_mul_f32_e32 v28, s30, v28
	s_delay_alu instid0(VALU_DEP_1) | instskip(NEXT) | instid1(VALU_DEP_1)
	v_and_b32_e32 v29, 0x7f800000, v28
	v_cmp_ne_u32_e32 vcc_lo, 0x7f800000, v29
                                        ; implicit-def: $vgpr29
	s_wait_xcnt 0x0
	s_and_saveexec_b32 s19, vcc_lo
	s_delay_alu instid0(SALU_CYCLE_1)
	s_xor_b32 s19, exec_lo, s19
; %bb.75:                               ;   in Loop: Header=BB418_4 Depth=1
	v_bfe_u32 v29, v28, 16, 1
	s_delay_alu instid0(VALU_DEP_1)
	v_add3_u32 v29, v28, v29, 0x7fff
                                        ; implicit-def: $vgpr28
; %bb.76:                               ;   in Loop: Header=BB418_4 Depth=1
	s_and_not1_saveexec_b32 s19, s19
; %bb.77:                               ;   in Loop: Header=BB418_4 Depth=1
	v_and_b32_e32 v29, 0xffff, v28
	v_or_b32_e32 v32, 0x10000, v28
	s_delay_alu instid0(VALU_DEP_2) | instskip(NEXT) | instid1(VALU_DEP_2)
	v_cmp_eq_u32_e32 vcc_lo, 0, v29
	v_cndmask_b32_e32 v29, v32, v28, vcc_lo
; %bb.78:                               ;   in Loop: Header=BB418_4 Depth=1
	s_or_b32 exec_lo, exec_lo, s19
	s_delay_alu instid0(VALU_DEP_1) | instskip(SKIP_1) | instid1(VALU_DEP_1)
	v_fma_mix_f32_bf16 v24, s2, v24, v29 op_sel:[0,0,1] op_sel_hi:[0,0,1]
	s_mov_b32 s19, exec_lo
                                        ; implicit-def: $vgpr38
	v_and_b32_e32 v28, 0x7f800000, v24
	s_delay_alu instid0(VALU_DEP_1)
	v_cmpx_ne_u32_e32 0x7f800000, v28
	s_xor_b32 s19, exec_lo, s19
; %bb.79:                               ;   in Loop: Header=BB418_4 Depth=1
	v_bfe_u32 v28, v24, 16, 1
	s_delay_alu instid0(VALU_DEP_1)
	v_add3_u32 v38, v24, v28, 0x7fff
                                        ; implicit-def: $vgpr24
; %bb.80:                               ;   in Loop: Header=BB418_4 Depth=1
	s_and_not1_saveexec_b32 s19, s19
; %bb.81:                               ;   in Loop: Header=BB418_4 Depth=1
	v_and_b32_e32 v28, 0xffff, v24
	v_or_b32_e32 v29, 0x10000, v24
	s_delay_alu instid0(VALU_DEP_2) | instskip(NEXT) | instid1(VALU_DEP_2)
	v_cmp_eq_u32_e32 vcc_lo, 0, v28
	v_cndmask_b32_e32 v38, v29, v24, vcc_lo
; %bb.82:                               ;   in Loop: Header=BB418_4 Depth=1
	s_or_b32 exec_lo, exec_lo, s19
	v_lshl_add_u64 v[28:29], v[2:3], 1, s[16:17]
	s_delay_alu instid0(VALU_DEP_1) | instskip(SKIP_4) | instid1(VALU_DEP_1)
	v_lshl_add_u64 v[32:33], v[0:1], 1, v[28:29]
	global_store_d16_hi_b16 v[32:33], v38, off
	global_load_u16 v24, v[30:31], off offset:32
	s_wait_loadcnt 0x0
	v_lshlrev_b32_e32 v24, 16, v24
	v_mul_f32_e32 v24, s30, v24
	s_wait_xcnt 0x1
	s_delay_alu instid0(VALU_DEP_1) | instskip(NEXT) | instid1(VALU_DEP_1)
	v_and_b32_e32 v38, 0x7f800000, v24
	v_cmp_ne_u32_e32 vcc_lo, 0x7f800000, v38
                                        ; implicit-def: $vgpr38
	s_wait_xcnt 0x0
	s_and_saveexec_b32 s16, vcc_lo
	s_delay_alu instid0(SALU_CYCLE_1)
	s_xor_b32 s16, exec_lo, s16
; %bb.83:                               ;   in Loop: Header=BB418_4 Depth=1
	v_bfe_u32 v38, v24, 16, 1
	s_delay_alu instid0(VALU_DEP_1)
	v_add3_u32 v38, v24, v38, 0x7fff
                                        ; implicit-def: $vgpr24
; %bb.84:                               ;   in Loop: Header=BB418_4 Depth=1
	s_and_not1_saveexec_b32 s16, s16
; %bb.85:                               ;   in Loop: Header=BB418_4 Depth=1
	v_and_b32_e32 v38, 0xffff, v24
	v_or_b32_e32 v39, 0x10000, v24
	s_delay_alu instid0(VALU_DEP_2) | instskip(NEXT) | instid1(VALU_DEP_2)
	v_cmp_eq_u32_e32 vcc_lo, 0, v38
	v_cndmask_b32_e32 v38, v39, v24, vcc_lo
; %bb.86:                               ;   in Loop: Header=BB418_4 Depth=1
	s_or_b32 exec_lo, exec_lo, s16
	s_delay_alu instid0(VALU_DEP_1) | instskip(NEXT) | instid1(VALU_DEP_1)
	v_fma_mix_f32_bf16 v24, s2, v25, v38 op_sel:[0,0,1] op_sel_hi:[0,0,1]
	v_and_b32_e32 v25, 0x7f800000, v24
	s_delay_alu instid0(VALU_DEP_1) | instskip(SKIP_1) | instid1(SALU_CYCLE_1)
	v_cmp_ne_u32_e32 vcc_lo, 0x7f800000, v25
                                        ; implicit-def: $vgpr25
	s_and_saveexec_b32 s16, vcc_lo
	s_xor_b32 s16, exec_lo, s16
; %bb.87:                               ;   in Loop: Header=BB418_4 Depth=1
	v_bfe_u32 v25, v24, 16, 1
	s_delay_alu instid0(VALU_DEP_1)
	v_add3_u32 v25, v24, v25, 0x7fff
                                        ; implicit-def: $vgpr24
; %bb.88:                               ;   in Loop: Header=BB418_4 Depth=1
	s_and_not1_saveexec_b32 s16, s16
; %bb.89:                               ;   in Loop: Header=BB418_4 Depth=1
	v_and_b32_e32 v25, 0xffff, v24
	v_or_b32_e32 v38, 0x10000, v24
	s_delay_alu instid0(VALU_DEP_2) | instskip(NEXT) | instid1(VALU_DEP_2)
	v_cmp_eq_u32_e32 vcc_lo, 0, v25
	v_cndmask_b32_e32 v25, v38, v24, vcc_lo
; %bb.90:                               ;   in Loop: Header=BB418_4 Depth=1
	s_or_b32 exec_lo, exec_lo, s16
	global_store_d16_hi_b16 v[32:33], v25, off offset:32
	global_load_u16 v24, v[30:31], off offset:64
	s_wait_loadcnt 0x0
	v_lshlrev_b32_e32 v24, 16, v24
	s_delay_alu instid0(VALU_DEP_1) | instskip(SKIP_1) | instid1(VALU_DEP_1)
	v_mul_f32_e32 v24, s30, v24
	s_wait_xcnt 0x1
	v_and_b32_e32 v25, 0x7f800000, v24
	s_delay_alu instid0(VALU_DEP_1) | instskip(SKIP_2) | instid1(SALU_CYCLE_1)
	v_cmp_ne_u32_e32 vcc_lo, 0x7f800000, v25
                                        ; implicit-def: $vgpr25
	s_wait_xcnt 0x0
	s_and_saveexec_b32 s16, vcc_lo
	s_xor_b32 s16, exec_lo, s16
; %bb.91:                               ;   in Loop: Header=BB418_4 Depth=1
	v_bfe_u32 v25, v24, 16, 1
	s_delay_alu instid0(VALU_DEP_1)
	v_add3_u32 v25, v24, v25, 0x7fff
                                        ; implicit-def: $vgpr24
; %bb.92:                               ;   in Loop: Header=BB418_4 Depth=1
	s_and_not1_saveexec_b32 s16, s16
; %bb.93:                               ;   in Loop: Header=BB418_4 Depth=1
	v_and_b32_e32 v25, 0xffff, v24
	v_or_b32_e32 v38, 0x10000, v24
	s_delay_alu instid0(VALU_DEP_2) | instskip(NEXT) | instid1(VALU_DEP_2)
	v_cmp_eq_u32_e32 vcc_lo, 0, v25
	v_cndmask_b32_e32 v25, v38, v24, vcc_lo
; %bb.94:                               ;   in Loop: Header=BB418_4 Depth=1
	s_or_b32 exec_lo, exec_lo, s16
	s_delay_alu instid0(VALU_DEP_1) | instskip(NEXT) | instid1(VALU_DEP_1)
	v_fma_mix_f32_bf16 v22, s2, v22, v25 op_sel:[0,0,1] op_sel_hi:[0,0,1]
	v_and_b32_e32 v24, 0x7f800000, v22
	s_delay_alu instid0(VALU_DEP_1) | instskip(SKIP_1) | instid1(SALU_CYCLE_1)
	v_cmp_ne_u32_e32 vcc_lo, 0x7f800000, v24
                                        ; implicit-def: $vgpr24
	s_and_saveexec_b32 s16, vcc_lo
	s_xor_b32 s16, exec_lo, s16
; %bb.95:                               ;   in Loop: Header=BB418_4 Depth=1
	v_bfe_u32 v24, v22, 16, 1
	s_delay_alu instid0(VALU_DEP_1)
	v_add3_u32 v24, v22, v24, 0x7fff
                                        ; implicit-def: $vgpr22
; %bb.96:                               ;   in Loop: Header=BB418_4 Depth=1
	s_and_not1_saveexec_b32 s16, s16
; %bb.97:                               ;   in Loop: Header=BB418_4 Depth=1
	v_and_b32_e32 v24, 0xffff, v22
	v_or_b32_e32 v25, 0x10000, v22
	s_delay_alu instid0(VALU_DEP_2) | instskip(NEXT) | instid1(VALU_DEP_2)
	v_cmp_eq_u32_e32 vcc_lo, 0, v24
	v_cndmask_b32_e32 v24, v25, v22, vcc_lo
; %bb.98:                               ;   in Loop: Header=BB418_4 Depth=1
	s_or_b32 exec_lo, exec_lo, s16
	global_store_d16_hi_b16 v[32:33], v24, off offset:64
	global_load_u16 v22, v[30:31], off offset:96
	s_wait_loadcnt 0x0
	v_lshlrev_b32_e32 v22, 16, v22
	s_delay_alu instid0(VALU_DEP_1) | instskip(SKIP_1) | instid1(VALU_DEP_1)
	v_mul_f32_e32 v22, s30, v22
	s_wait_xcnt 0x1
	v_and_b32_e32 v24, 0x7f800000, v22
	s_delay_alu instid0(VALU_DEP_1) | instskip(SKIP_2) | instid1(SALU_CYCLE_1)
	v_cmp_ne_u32_e32 vcc_lo, 0x7f800000, v24
                                        ; implicit-def: $vgpr24
	s_wait_xcnt 0x0
	s_and_saveexec_b32 s16, vcc_lo
	s_xor_b32 s16, exec_lo, s16
; %bb.99:                               ;   in Loop: Header=BB418_4 Depth=1
	v_bfe_u32 v24, v22, 16, 1
	s_delay_alu instid0(VALU_DEP_1)
	v_add3_u32 v24, v22, v24, 0x7fff
                                        ; implicit-def: $vgpr22
; %bb.100:                              ;   in Loop: Header=BB418_4 Depth=1
	s_and_not1_saveexec_b32 s16, s16
; %bb.101:                              ;   in Loop: Header=BB418_4 Depth=1
	v_and_b32_e32 v24, 0xffff, v22
	v_or_b32_e32 v25, 0x10000, v22
	s_delay_alu instid0(VALU_DEP_2) | instskip(NEXT) | instid1(VALU_DEP_2)
	v_cmp_eq_u32_e32 vcc_lo, 0, v24
	v_cndmask_b32_e32 v24, v25, v22, vcc_lo
; %bb.102:                              ;   in Loop: Header=BB418_4 Depth=1
	s_or_b32 exec_lo, exec_lo, s16
	s_delay_alu instid0(VALU_DEP_1) | instskip(SKIP_1) | instid1(VALU_DEP_1)
	v_fma_mix_f32_bf16 v22, s2, v23, v24 op_sel:[0,0,1] op_sel_hi:[0,0,1]
	s_mov_b32 s16, exec_lo
                                        ; implicit-def: $vgpr24
	v_and_b32_e32 v23, 0x7f800000, v22
	s_delay_alu instid0(VALU_DEP_1)
	v_cmpx_ne_u32_e32 0x7f800000, v23
	s_xor_b32 s16, exec_lo, s16
; %bb.103:                              ;   in Loop: Header=BB418_4 Depth=1
	v_bfe_u32 v23, v22, 16, 1
	s_delay_alu instid0(VALU_DEP_1)
	v_add3_u32 v24, v22, v23, 0x7fff
                                        ; implicit-def: $vgpr22
; %bb.104:                              ;   in Loop: Header=BB418_4 Depth=1
	s_and_not1_saveexec_b32 s16, s16
; %bb.105:                              ;   in Loop: Header=BB418_4 Depth=1
	v_and_b32_e32 v23, 0xffff, v22
	v_or_b32_e32 v24, 0x10000, v22
	s_delay_alu instid0(VALU_DEP_2) | instskip(NEXT) | instid1(VALU_DEP_2)
	v_cmp_eq_u32_e32 vcc_lo, 0, v23
	v_cndmask_b32_e32 v24, v24, v22, vcc_lo
; %bb.106:                              ;   in Loop: Header=BB418_4 Depth=1
	s_or_b32 exec_lo, exec_lo, s16
	v_lshl_add_u64 v[22:23], s[6:7], 1, v[26:27]
	global_store_d16_hi_b16 v[32:33], v24, off offset:96
	v_lshl_add_u64 v[26:27], v[0:1], 1, v[22:23]
	global_load_u16 v24, v[26:27], off
	s_wait_loadcnt 0x0
	v_lshlrev_b32_e32 v24, 16, v24
	s_delay_alu instid0(VALU_DEP_1) | instskip(NEXT) | instid1(VALU_DEP_1)
	v_mul_f32_e32 v24, s30, v24
	v_and_b32_e32 v25, 0x7f800000, v24
	s_delay_alu instid0(VALU_DEP_1) | instskip(SKIP_2) | instid1(SALU_CYCLE_1)
	v_cmp_ne_u32_e32 vcc_lo, 0x7f800000, v25
                                        ; implicit-def: $vgpr25
	s_wait_xcnt 0x0
	s_and_saveexec_b32 s16, vcc_lo
	s_xor_b32 s16, exec_lo, s16
; %bb.107:                              ;   in Loop: Header=BB418_4 Depth=1
	v_bfe_u32 v25, v24, 16, 1
	s_delay_alu instid0(VALU_DEP_1)
	v_add3_u32 v25, v24, v25, 0x7fff
                                        ; implicit-def: $vgpr24
; %bb.108:                              ;   in Loop: Header=BB418_4 Depth=1
	s_and_not1_saveexec_b32 s16, s16
; %bb.109:                              ;   in Loop: Header=BB418_4 Depth=1
	v_and_b32_e32 v25, 0xffff, v24
	v_or_b32_e32 v30, 0x10000, v24
	s_delay_alu instid0(VALU_DEP_2) | instskip(NEXT) | instid1(VALU_DEP_2)
	v_cmp_eq_u32_e32 vcc_lo, 0, v25
	v_cndmask_b32_e32 v25, v30, v24, vcc_lo
; %bb.110:                              ;   in Loop: Header=BB418_4 Depth=1
	s_or_b32 exec_lo, exec_lo, s16
	s_delay_alu instid0(VALU_DEP_1) | instskip(SKIP_1) | instid1(VALU_DEP_1)
	v_fma_mix_f32_bf16 v20, s2, v20, v25 op_sel:[0,0,1] op_sel_hi:[0,0,1]
	s_mov_b32 s16, exec_lo
                                        ; implicit-def: $vgpr30
	v_and_b32_e32 v24, 0x7f800000, v20
	s_delay_alu instid0(VALU_DEP_1)
	v_cmpx_ne_u32_e32 0x7f800000, v24
	s_xor_b32 s16, exec_lo, s16
; %bb.111:                              ;   in Loop: Header=BB418_4 Depth=1
	v_bfe_u32 v24, v20, 16, 1
	s_delay_alu instid0(VALU_DEP_1)
	v_add3_u32 v30, v20, v24, 0x7fff
                                        ; implicit-def: $vgpr20
; %bb.112:                              ;   in Loop: Header=BB418_4 Depth=1
	s_and_not1_saveexec_b32 s16, s16
; %bb.113:                              ;   in Loop: Header=BB418_4 Depth=1
	v_and_b32_e32 v24, 0xffff, v20
	v_or_b32_e32 v25, 0x10000, v20
	s_delay_alu instid0(VALU_DEP_2) | instskip(NEXT) | instid1(VALU_DEP_2)
	v_cmp_eq_u32_e32 vcc_lo, 0, v24
	v_cndmask_b32_e32 v30, v25, v20, vcc_lo
; %bb.114:                              ;   in Loop: Header=BB418_4 Depth=1
	s_or_b32 exec_lo, exec_lo, s16
	v_lshl_add_u64 v[24:25], s[20:21], 1, v[28:29]
	s_delay_alu instid0(VALU_DEP_1) | instskip(SKIP_4) | instid1(VALU_DEP_1)
	v_lshl_add_u64 v[28:29], v[0:1], 1, v[24:25]
	global_store_d16_hi_b16 v[28:29], v30, off
	global_load_u16 v20, v[26:27], off offset:32
	s_wait_loadcnt 0x0
	v_lshlrev_b32_e32 v20, 16, v20
	v_mul_f32_e32 v20, s30, v20
	s_wait_xcnt 0x1
	s_delay_alu instid0(VALU_DEP_1) | instskip(NEXT) | instid1(VALU_DEP_1)
	v_and_b32_e32 v30, 0x7f800000, v20
	v_cmp_ne_u32_e32 vcc_lo, 0x7f800000, v30
                                        ; implicit-def: $vgpr30
	s_wait_xcnt 0x0
	s_and_saveexec_b32 s16, vcc_lo
	s_delay_alu instid0(SALU_CYCLE_1)
	s_xor_b32 s16, exec_lo, s16
; %bb.115:                              ;   in Loop: Header=BB418_4 Depth=1
	v_bfe_u32 v30, v20, 16, 1
	s_delay_alu instid0(VALU_DEP_1)
	v_add3_u32 v30, v20, v30, 0x7fff
                                        ; implicit-def: $vgpr20
; %bb.116:                              ;   in Loop: Header=BB418_4 Depth=1
	s_and_not1_saveexec_b32 s16, s16
; %bb.117:                              ;   in Loop: Header=BB418_4 Depth=1
	v_and_b32_e32 v30, 0xffff, v20
	v_or_b32_e32 v31, 0x10000, v20
	s_delay_alu instid0(VALU_DEP_2) | instskip(NEXT) | instid1(VALU_DEP_2)
	v_cmp_eq_u32_e32 vcc_lo, 0, v30
	v_cndmask_b32_e32 v30, v31, v20, vcc_lo
; %bb.118:                              ;   in Loop: Header=BB418_4 Depth=1
	s_or_b32 exec_lo, exec_lo, s16
	s_delay_alu instid0(VALU_DEP_1) | instskip(NEXT) | instid1(VALU_DEP_1)
	v_fma_mix_f32_bf16 v20, s2, v21, v30 op_sel:[0,0,1] op_sel_hi:[0,0,1]
	v_and_b32_e32 v21, 0x7f800000, v20
	s_delay_alu instid0(VALU_DEP_1) | instskip(SKIP_1) | instid1(SALU_CYCLE_1)
	v_cmp_ne_u32_e32 vcc_lo, 0x7f800000, v21
                                        ; implicit-def: $vgpr21
	s_and_saveexec_b32 s16, vcc_lo
	s_xor_b32 s16, exec_lo, s16
; %bb.119:                              ;   in Loop: Header=BB418_4 Depth=1
	v_bfe_u32 v21, v20, 16, 1
	s_delay_alu instid0(VALU_DEP_1)
	v_add3_u32 v21, v20, v21, 0x7fff
                                        ; implicit-def: $vgpr20
; %bb.120:                              ;   in Loop: Header=BB418_4 Depth=1
	s_and_not1_saveexec_b32 s16, s16
; %bb.121:                              ;   in Loop: Header=BB418_4 Depth=1
	v_and_b32_e32 v21, 0xffff, v20
	v_or_b32_e32 v30, 0x10000, v20
	s_delay_alu instid0(VALU_DEP_2) | instskip(NEXT) | instid1(VALU_DEP_2)
	v_cmp_eq_u32_e32 vcc_lo, 0, v21
	v_cndmask_b32_e32 v21, v30, v20, vcc_lo
; %bb.122:                              ;   in Loop: Header=BB418_4 Depth=1
	s_or_b32 exec_lo, exec_lo, s16
	global_store_d16_hi_b16 v[28:29], v21, off offset:32
	global_load_u16 v20, v[26:27], off offset:64
	s_wait_loadcnt 0x0
	v_lshlrev_b32_e32 v20, 16, v20
	s_delay_alu instid0(VALU_DEP_1) | instskip(SKIP_1) | instid1(VALU_DEP_1)
	v_mul_f32_e32 v20, s30, v20
	s_wait_xcnt 0x1
	v_and_b32_e32 v21, 0x7f800000, v20
	s_delay_alu instid0(VALU_DEP_1) | instskip(SKIP_2) | instid1(SALU_CYCLE_1)
	v_cmp_ne_u32_e32 vcc_lo, 0x7f800000, v21
                                        ; implicit-def: $vgpr21
	s_wait_xcnt 0x0
	s_and_saveexec_b32 s16, vcc_lo
	s_xor_b32 s16, exec_lo, s16
; %bb.123:                              ;   in Loop: Header=BB418_4 Depth=1
	v_bfe_u32 v21, v20, 16, 1
	s_delay_alu instid0(VALU_DEP_1)
	v_add3_u32 v21, v20, v21, 0x7fff
                                        ; implicit-def: $vgpr20
; %bb.124:                              ;   in Loop: Header=BB418_4 Depth=1
	s_and_not1_saveexec_b32 s16, s16
; %bb.125:                              ;   in Loop: Header=BB418_4 Depth=1
	v_and_b32_e32 v21, 0xffff, v20
	v_or_b32_e32 v30, 0x10000, v20
	s_delay_alu instid0(VALU_DEP_2) | instskip(NEXT) | instid1(VALU_DEP_2)
	v_cmp_eq_u32_e32 vcc_lo, 0, v21
	v_cndmask_b32_e32 v21, v30, v20, vcc_lo
; %bb.126:                              ;   in Loop: Header=BB418_4 Depth=1
	s_or_b32 exec_lo, exec_lo, s16
	s_delay_alu instid0(VALU_DEP_1) | instskip(NEXT) | instid1(VALU_DEP_1)
	v_fma_mix_f32_bf16 v18, s2, v18, v21 op_sel:[0,0,1] op_sel_hi:[0,0,1]
	v_and_b32_e32 v20, 0x7f800000, v18
	s_delay_alu instid0(VALU_DEP_1) | instskip(SKIP_1) | instid1(SALU_CYCLE_1)
	v_cmp_ne_u32_e32 vcc_lo, 0x7f800000, v20
                                        ; implicit-def: $vgpr20
	s_and_saveexec_b32 s16, vcc_lo
	s_xor_b32 s16, exec_lo, s16
; %bb.127:                              ;   in Loop: Header=BB418_4 Depth=1
	v_bfe_u32 v20, v18, 16, 1
	s_delay_alu instid0(VALU_DEP_1)
	v_add3_u32 v20, v18, v20, 0x7fff
                                        ; implicit-def: $vgpr18
; %bb.128:                              ;   in Loop: Header=BB418_4 Depth=1
	s_and_not1_saveexec_b32 s16, s16
; %bb.129:                              ;   in Loop: Header=BB418_4 Depth=1
	v_and_b32_e32 v20, 0xffff, v18
	v_or_b32_e32 v21, 0x10000, v18
	s_delay_alu instid0(VALU_DEP_2) | instskip(NEXT) | instid1(VALU_DEP_2)
	v_cmp_eq_u32_e32 vcc_lo, 0, v20
	v_cndmask_b32_e32 v20, v21, v18, vcc_lo
; %bb.130:                              ;   in Loop: Header=BB418_4 Depth=1
	s_or_b32 exec_lo, exec_lo, s16
	global_store_d16_hi_b16 v[28:29], v20, off offset:64
	global_load_u16 v18, v[26:27], off offset:96
	s_wait_loadcnt 0x0
	v_lshlrev_b32_e32 v18, 16, v18
	s_delay_alu instid0(VALU_DEP_1) | instskip(SKIP_1) | instid1(VALU_DEP_1)
	v_mul_f32_e32 v18, s30, v18
	s_wait_xcnt 0x1
	v_and_b32_e32 v20, 0x7f800000, v18
	s_delay_alu instid0(VALU_DEP_1) | instskip(SKIP_2) | instid1(SALU_CYCLE_1)
	v_cmp_ne_u32_e32 vcc_lo, 0x7f800000, v20
                                        ; implicit-def: $vgpr20
	s_wait_xcnt 0x0
	s_and_saveexec_b32 s16, vcc_lo
	s_xor_b32 s16, exec_lo, s16
; %bb.131:                              ;   in Loop: Header=BB418_4 Depth=1
	v_bfe_u32 v20, v18, 16, 1
	s_delay_alu instid0(VALU_DEP_1)
	v_add3_u32 v20, v18, v20, 0x7fff
                                        ; implicit-def: $vgpr18
; %bb.132:                              ;   in Loop: Header=BB418_4 Depth=1
	s_and_not1_saveexec_b32 s16, s16
; %bb.133:                              ;   in Loop: Header=BB418_4 Depth=1
	v_and_b32_e32 v20, 0xffff, v18
	v_or_b32_e32 v21, 0x10000, v18
	s_delay_alu instid0(VALU_DEP_2) | instskip(NEXT) | instid1(VALU_DEP_2)
	v_cmp_eq_u32_e32 vcc_lo, 0, v20
	v_cndmask_b32_e32 v20, v21, v18, vcc_lo
; %bb.134:                              ;   in Loop: Header=BB418_4 Depth=1
	s_or_b32 exec_lo, exec_lo, s16
	s_delay_alu instid0(VALU_DEP_1) | instskip(SKIP_1) | instid1(VALU_DEP_1)
	v_fma_mix_f32_bf16 v18, s2, v19, v20 op_sel:[0,0,1] op_sel_hi:[0,0,1]
	s_mov_b32 s16, exec_lo
                                        ; implicit-def: $vgpr20
	v_and_b32_e32 v19, 0x7f800000, v18
	s_delay_alu instid0(VALU_DEP_1)
	v_cmpx_ne_u32_e32 0x7f800000, v19
	s_xor_b32 s16, exec_lo, s16
; %bb.135:                              ;   in Loop: Header=BB418_4 Depth=1
	v_bfe_u32 v19, v18, 16, 1
	s_delay_alu instid0(VALU_DEP_1)
	v_add3_u32 v20, v18, v19, 0x7fff
                                        ; implicit-def: $vgpr18
; %bb.136:                              ;   in Loop: Header=BB418_4 Depth=1
	s_and_not1_saveexec_b32 s16, s16
; %bb.137:                              ;   in Loop: Header=BB418_4 Depth=1
	v_and_b32_e32 v19, 0xffff, v18
	v_or_b32_e32 v20, 0x10000, v18
	s_delay_alu instid0(VALU_DEP_2) | instskip(NEXT) | instid1(VALU_DEP_2)
	v_cmp_eq_u32_e32 vcc_lo, 0, v19
	v_cndmask_b32_e32 v20, v20, v18, vcc_lo
; %bb.138:                              ;   in Loop: Header=BB418_4 Depth=1
	s_or_b32 exec_lo, exec_lo, s16
	v_lshl_add_u64 v[18:19], s[6:7], 1, v[22:23]
	global_store_d16_hi_b16 v[28:29], v20, off offset:96
	v_lshl_add_u64 v[22:23], v[0:1], 1, v[18:19]
	global_load_u16 v20, v[22:23], off
	s_wait_loadcnt 0x0
	v_lshlrev_b32_e32 v20, 16, v20
	s_delay_alu instid0(VALU_DEP_1) | instskip(NEXT) | instid1(VALU_DEP_1)
	v_mul_f32_e32 v20, s30, v20
	v_and_b32_e32 v21, 0x7f800000, v20
	s_delay_alu instid0(VALU_DEP_1) | instskip(SKIP_2) | instid1(SALU_CYCLE_1)
	v_cmp_ne_u32_e32 vcc_lo, 0x7f800000, v21
                                        ; implicit-def: $vgpr21
	s_wait_xcnt 0x0
	s_and_saveexec_b32 s16, vcc_lo
	s_xor_b32 s16, exec_lo, s16
; %bb.139:                              ;   in Loop: Header=BB418_4 Depth=1
	v_bfe_u32 v21, v20, 16, 1
	s_delay_alu instid0(VALU_DEP_1)
	v_add3_u32 v21, v20, v21, 0x7fff
                                        ; implicit-def: $vgpr20
; %bb.140:                              ;   in Loop: Header=BB418_4 Depth=1
	s_and_not1_saveexec_b32 s16, s16
; %bb.141:                              ;   in Loop: Header=BB418_4 Depth=1
	v_and_b32_e32 v21, 0xffff, v20
	v_or_b32_e32 v26, 0x10000, v20
	s_delay_alu instid0(VALU_DEP_2) | instskip(NEXT) | instid1(VALU_DEP_2)
	v_cmp_eq_u32_e32 vcc_lo, 0, v21
	v_cndmask_b32_e32 v21, v26, v20, vcc_lo
; %bb.142:                              ;   in Loop: Header=BB418_4 Depth=1
	s_or_b32 exec_lo, exec_lo, s16
	s_delay_alu instid0(VALU_DEP_1) | instskip(SKIP_1) | instid1(VALU_DEP_1)
	v_fma_mix_f32_bf16 v16, s2, v16, v21 op_sel:[0,0,1] op_sel_hi:[0,0,1]
	s_mov_b32 s16, exec_lo
                                        ; implicit-def: $vgpr26
	v_and_b32_e32 v20, 0x7f800000, v16
	s_delay_alu instid0(VALU_DEP_1)
	v_cmpx_ne_u32_e32 0x7f800000, v20
	s_xor_b32 s16, exec_lo, s16
; %bb.143:                              ;   in Loop: Header=BB418_4 Depth=1
	v_bfe_u32 v20, v16, 16, 1
	s_delay_alu instid0(VALU_DEP_1)
	v_add3_u32 v26, v16, v20, 0x7fff
                                        ; implicit-def: $vgpr16
; %bb.144:                              ;   in Loop: Header=BB418_4 Depth=1
	s_and_not1_saveexec_b32 s16, s16
; %bb.145:                              ;   in Loop: Header=BB418_4 Depth=1
	v_and_b32_e32 v20, 0xffff, v16
	v_or_b32_e32 v21, 0x10000, v16
	s_delay_alu instid0(VALU_DEP_2) | instskip(NEXT) | instid1(VALU_DEP_2)
	v_cmp_eq_u32_e32 vcc_lo, 0, v20
	v_cndmask_b32_e32 v26, v21, v16, vcc_lo
; %bb.146:                              ;   in Loop: Header=BB418_4 Depth=1
	s_or_b32 exec_lo, exec_lo, s16
	v_lshl_add_u64 v[20:21], s[20:21], 1, v[24:25]
	s_delay_alu instid0(VALU_DEP_1) | instskip(SKIP_4) | instid1(VALU_DEP_1)
	v_lshl_add_u64 v[24:25], v[0:1], 1, v[20:21]
	global_store_d16_hi_b16 v[24:25], v26, off
	global_load_u16 v16, v[22:23], off offset:32
	s_wait_loadcnt 0x0
	v_lshlrev_b32_e32 v16, 16, v16
	v_mul_f32_e32 v16, s30, v16
	s_wait_xcnt 0x1
	s_delay_alu instid0(VALU_DEP_1) | instskip(NEXT) | instid1(VALU_DEP_1)
	v_and_b32_e32 v26, 0x7f800000, v16
	v_cmp_ne_u32_e32 vcc_lo, 0x7f800000, v26
                                        ; implicit-def: $vgpr26
	s_wait_xcnt 0x0
	s_and_saveexec_b32 s16, vcc_lo
	s_delay_alu instid0(SALU_CYCLE_1)
	s_xor_b32 s16, exec_lo, s16
; %bb.147:                              ;   in Loop: Header=BB418_4 Depth=1
	v_bfe_u32 v26, v16, 16, 1
	s_delay_alu instid0(VALU_DEP_1)
	v_add3_u32 v26, v16, v26, 0x7fff
                                        ; implicit-def: $vgpr16
; %bb.148:                              ;   in Loop: Header=BB418_4 Depth=1
	s_and_not1_saveexec_b32 s16, s16
; %bb.149:                              ;   in Loop: Header=BB418_4 Depth=1
	v_and_b32_e32 v26, 0xffff, v16
	v_or_b32_e32 v27, 0x10000, v16
	s_delay_alu instid0(VALU_DEP_2) | instskip(NEXT) | instid1(VALU_DEP_2)
	v_cmp_eq_u32_e32 vcc_lo, 0, v26
	v_cndmask_b32_e32 v26, v27, v16, vcc_lo
; %bb.150:                              ;   in Loop: Header=BB418_4 Depth=1
	s_or_b32 exec_lo, exec_lo, s16
	s_delay_alu instid0(VALU_DEP_1) | instskip(NEXT) | instid1(VALU_DEP_1)
	v_fma_mix_f32_bf16 v16, s2, v17, v26 op_sel:[0,0,1] op_sel_hi:[0,0,1]
	v_and_b32_e32 v17, 0x7f800000, v16
	s_delay_alu instid0(VALU_DEP_1) | instskip(SKIP_1) | instid1(SALU_CYCLE_1)
	v_cmp_ne_u32_e32 vcc_lo, 0x7f800000, v17
                                        ; implicit-def: $vgpr17
	s_and_saveexec_b32 s16, vcc_lo
	s_xor_b32 s16, exec_lo, s16
; %bb.151:                              ;   in Loop: Header=BB418_4 Depth=1
	v_bfe_u32 v17, v16, 16, 1
	s_delay_alu instid0(VALU_DEP_1)
	v_add3_u32 v17, v16, v17, 0x7fff
                                        ; implicit-def: $vgpr16
; %bb.152:                              ;   in Loop: Header=BB418_4 Depth=1
	s_and_not1_saveexec_b32 s16, s16
; %bb.153:                              ;   in Loop: Header=BB418_4 Depth=1
	v_and_b32_e32 v17, 0xffff, v16
	v_or_b32_e32 v26, 0x10000, v16
	s_delay_alu instid0(VALU_DEP_2) | instskip(NEXT) | instid1(VALU_DEP_2)
	v_cmp_eq_u32_e32 vcc_lo, 0, v17
	v_cndmask_b32_e32 v17, v26, v16, vcc_lo
; %bb.154:                              ;   in Loop: Header=BB418_4 Depth=1
	s_or_b32 exec_lo, exec_lo, s16
	global_store_d16_hi_b16 v[24:25], v17, off offset:32
	global_load_u16 v16, v[22:23], off offset:64
	s_wait_loadcnt 0x0
	v_lshlrev_b32_e32 v16, 16, v16
	s_delay_alu instid0(VALU_DEP_1) | instskip(SKIP_1) | instid1(VALU_DEP_1)
	v_mul_f32_e32 v16, s30, v16
	s_wait_xcnt 0x1
	v_and_b32_e32 v17, 0x7f800000, v16
	s_delay_alu instid0(VALU_DEP_1) | instskip(SKIP_2) | instid1(SALU_CYCLE_1)
	v_cmp_ne_u32_e32 vcc_lo, 0x7f800000, v17
                                        ; implicit-def: $vgpr17
	s_wait_xcnt 0x0
	s_and_saveexec_b32 s16, vcc_lo
	s_xor_b32 s16, exec_lo, s16
; %bb.155:                              ;   in Loop: Header=BB418_4 Depth=1
	v_bfe_u32 v17, v16, 16, 1
	s_delay_alu instid0(VALU_DEP_1)
	v_add3_u32 v17, v16, v17, 0x7fff
                                        ; implicit-def: $vgpr16
; %bb.156:                              ;   in Loop: Header=BB418_4 Depth=1
	s_and_not1_saveexec_b32 s16, s16
; %bb.157:                              ;   in Loop: Header=BB418_4 Depth=1
	v_and_b32_e32 v17, 0xffff, v16
	v_or_b32_e32 v26, 0x10000, v16
	s_delay_alu instid0(VALU_DEP_2) | instskip(NEXT) | instid1(VALU_DEP_2)
	v_cmp_eq_u32_e32 vcc_lo, 0, v17
	v_cndmask_b32_e32 v17, v26, v16, vcc_lo
; %bb.158:                              ;   in Loop: Header=BB418_4 Depth=1
	s_or_b32 exec_lo, exec_lo, s16
	s_delay_alu instid0(VALU_DEP_1) | instskip(NEXT) | instid1(VALU_DEP_1)
	v_fma_mix_f32_bf16 v14, s2, v14, v17 op_sel:[0,0,1] op_sel_hi:[0,0,1]
	v_and_b32_e32 v16, 0x7f800000, v14
	s_delay_alu instid0(VALU_DEP_1) | instskip(SKIP_1) | instid1(SALU_CYCLE_1)
	v_cmp_ne_u32_e32 vcc_lo, 0x7f800000, v16
                                        ; implicit-def: $vgpr16
	s_and_saveexec_b32 s16, vcc_lo
	s_xor_b32 s16, exec_lo, s16
; %bb.159:                              ;   in Loop: Header=BB418_4 Depth=1
	v_bfe_u32 v16, v14, 16, 1
	s_delay_alu instid0(VALU_DEP_1)
	v_add3_u32 v16, v14, v16, 0x7fff
                                        ; implicit-def: $vgpr14
; %bb.160:                              ;   in Loop: Header=BB418_4 Depth=1
	s_and_not1_saveexec_b32 s16, s16
; %bb.161:                              ;   in Loop: Header=BB418_4 Depth=1
	v_and_b32_e32 v16, 0xffff, v14
	v_or_b32_e32 v17, 0x10000, v14
	s_delay_alu instid0(VALU_DEP_2) | instskip(NEXT) | instid1(VALU_DEP_2)
	v_cmp_eq_u32_e32 vcc_lo, 0, v16
	v_cndmask_b32_e32 v16, v17, v14, vcc_lo
; %bb.162:                              ;   in Loop: Header=BB418_4 Depth=1
	s_or_b32 exec_lo, exec_lo, s16
	global_store_d16_hi_b16 v[24:25], v16, off offset:64
	global_load_u16 v14, v[22:23], off offset:96
	s_wait_loadcnt 0x0
	v_lshlrev_b32_e32 v14, 16, v14
	s_delay_alu instid0(VALU_DEP_1) | instskip(SKIP_1) | instid1(VALU_DEP_1)
	v_mul_f32_e32 v14, s30, v14
	s_wait_xcnt 0x1
	v_and_b32_e32 v16, 0x7f800000, v14
	s_delay_alu instid0(VALU_DEP_1) | instskip(SKIP_2) | instid1(SALU_CYCLE_1)
	v_cmp_ne_u32_e32 vcc_lo, 0x7f800000, v16
                                        ; implicit-def: $vgpr16
	s_wait_xcnt 0x0
	s_and_saveexec_b32 s16, vcc_lo
	s_xor_b32 s16, exec_lo, s16
; %bb.163:                              ;   in Loop: Header=BB418_4 Depth=1
	v_bfe_u32 v16, v14, 16, 1
	s_delay_alu instid0(VALU_DEP_1)
	v_add3_u32 v16, v14, v16, 0x7fff
                                        ; implicit-def: $vgpr14
; %bb.164:                              ;   in Loop: Header=BB418_4 Depth=1
	s_and_not1_saveexec_b32 s16, s16
; %bb.165:                              ;   in Loop: Header=BB418_4 Depth=1
	v_and_b32_e32 v16, 0xffff, v14
	v_or_b32_e32 v17, 0x10000, v14
	s_delay_alu instid0(VALU_DEP_2) | instskip(NEXT) | instid1(VALU_DEP_2)
	v_cmp_eq_u32_e32 vcc_lo, 0, v16
	v_cndmask_b32_e32 v16, v17, v14, vcc_lo
; %bb.166:                              ;   in Loop: Header=BB418_4 Depth=1
	s_or_b32 exec_lo, exec_lo, s16
	s_delay_alu instid0(VALU_DEP_1) | instskip(SKIP_1) | instid1(VALU_DEP_1)
	v_fma_mix_f32_bf16 v14, s2, v15, v16 op_sel:[0,0,1] op_sel_hi:[0,0,1]
	s_mov_b32 s16, exec_lo
                                        ; implicit-def: $vgpr16
	v_and_b32_e32 v15, 0x7f800000, v14
	s_delay_alu instid0(VALU_DEP_1)
	v_cmpx_ne_u32_e32 0x7f800000, v15
	s_xor_b32 s16, exec_lo, s16
; %bb.167:                              ;   in Loop: Header=BB418_4 Depth=1
	v_bfe_u32 v15, v14, 16, 1
	s_delay_alu instid0(VALU_DEP_1)
	v_add3_u32 v16, v14, v15, 0x7fff
                                        ; implicit-def: $vgpr14
; %bb.168:                              ;   in Loop: Header=BB418_4 Depth=1
	s_and_not1_saveexec_b32 s16, s16
; %bb.169:                              ;   in Loop: Header=BB418_4 Depth=1
	v_and_b32_e32 v15, 0xffff, v14
	v_or_b32_e32 v16, 0x10000, v14
	s_delay_alu instid0(VALU_DEP_2) | instskip(NEXT) | instid1(VALU_DEP_2)
	v_cmp_eq_u32_e32 vcc_lo, 0, v15
	v_cndmask_b32_e32 v16, v16, v14, vcc_lo
; %bb.170:                              ;   in Loop: Header=BB418_4 Depth=1
	s_or_b32 exec_lo, exec_lo, s16
	v_lshl_add_u64 v[14:15], s[6:7], 1, v[18:19]
	global_store_d16_hi_b16 v[24:25], v16, off offset:96
	v_lshl_add_u64 v[14:15], v[0:1], 1, v[14:15]
	global_load_u16 v16, v[14:15], off
	s_wait_loadcnt 0x0
	v_lshlrev_b32_e32 v16, 16, v16
	s_delay_alu instid0(VALU_DEP_1) | instskip(NEXT) | instid1(VALU_DEP_1)
	v_mul_f32_e32 v16, s30, v16
	v_and_b32_e32 v17, 0x7f800000, v16
	s_delay_alu instid0(VALU_DEP_1) | instskip(SKIP_2) | instid1(SALU_CYCLE_1)
	v_cmp_ne_u32_e32 vcc_lo, 0x7f800000, v17
                                        ; implicit-def: $vgpr17
	s_wait_xcnt 0x0
	s_and_saveexec_b32 s16, vcc_lo
	s_xor_b32 s16, exec_lo, s16
; %bb.171:                              ;   in Loop: Header=BB418_4 Depth=1
	v_bfe_u32 v17, v16, 16, 1
	s_delay_alu instid0(VALU_DEP_1)
	v_add3_u32 v17, v16, v17, 0x7fff
                                        ; implicit-def: $vgpr16
; %bb.172:                              ;   in Loop: Header=BB418_4 Depth=1
	s_and_not1_saveexec_b32 s16, s16
; %bb.173:                              ;   in Loop: Header=BB418_4 Depth=1
	v_and_b32_e32 v17, 0xffff, v16
	v_or_b32_e32 v18, 0x10000, v16
	s_delay_alu instid0(VALU_DEP_2) | instskip(NEXT) | instid1(VALU_DEP_2)
	v_cmp_eq_u32_e32 vcc_lo, 0, v17
	v_cndmask_b32_e32 v17, v18, v16, vcc_lo
; %bb.174:                              ;   in Loop: Header=BB418_4 Depth=1
	s_or_b32 exec_lo, exec_lo, s16
	s_delay_alu instid0(VALU_DEP_1) | instskip(SKIP_1) | instid1(VALU_DEP_1)
	v_fma_mix_f32_bf16 v12, s2, v12, v17 op_sel:[0,0,1] op_sel_hi:[0,0,1]
	s_mov_b32 s16, exec_lo
                                        ; implicit-def: $vgpr18
	v_and_b32_e32 v16, 0x7f800000, v12
	s_delay_alu instid0(VALU_DEP_1)
	v_cmpx_ne_u32_e32 0x7f800000, v16
	s_xor_b32 s16, exec_lo, s16
; %bb.175:                              ;   in Loop: Header=BB418_4 Depth=1
	v_bfe_u32 v16, v12, 16, 1
	s_delay_alu instid0(VALU_DEP_1)
	v_add3_u32 v18, v12, v16, 0x7fff
                                        ; implicit-def: $vgpr12
; %bb.176:                              ;   in Loop: Header=BB418_4 Depth=1
	s_and_not1_saveexec_b32 s16, s16
; %bb.177:                              ;   in Loop: Header=BB418_4 Depth=1
	v_and_b32_e32 v16, 0xffff, v12
	v_or_b32_e32 v17, 0x10000, v12
	s_delay_alu instid0(VALU_DEP_2) | instskip(NEXT) | instid1(VALU_DEP_2)
	v_cmp_eq_u32_e32 vcc_lo, 0, v16
	v_cndmask_b32_e32 v18, v17, v12, vcc_lo
; %bb.178:                              ;   in Loop: Header=BB418_4 Depth=1
	s_or_b32 exec_lo, exec_lo, s16
	v_lshl_add_u64 v[16:17], s[20:21], 1, v[20:21]
	s_delay_alu instid0(VALU_DEP_1) | instskip(SKIP_4) | instid1(VALU_DEP_1)
	v_lshl_add_u64 v[16:17], v[0:1], 1, v[16:17]
	global_store_d16_hi_b16 v[16:17], v18, off
	global_load_u16 v12, v[14:15], off offset:32
	s_wait_loadcnt 0x0
	v_lshlrev_b32_e32 v12, 16, v12
	v_mul_f32_e32 v12, s30, v12
	s_wait_xcnt 0x1
	s_delay_alu instid0(VALU_DEP_1) | instskip(NEXT) | instid1(VALU_DEP_1)
	v_and_b32_e32 v18, 0x7f800000, v12
	v_cmp_ne_u32_e32 vcc_lo, 0x7f800000, v18
                                        ; implicit-def: $vgpr18
	s_wait_xcnt 0x0
	s_and_saveexec_b32 s16, vcc_lo
	s_delay_alu instid0(SALU_CYCLE_1)
	s_xor_b32 s16, exec_lo, s16
; %bb.179:                              ;   in Loop: Header=BB418_4 Depth=1
	v_bfe_u32 v18, v12, 16, 1
	s_delay_alu instid0(VALU_DEP_1)
	v_add3_u32 v18, v12, v18, 0x7fff
                                        ; implicit-def: $vgpr12
; %bb.180:                              ;   in Loop: Header=BB418_4 Depth=1
	s_and_not1_saveexec_b32 s16, s16
; %bb.181:                              ;   in Loop: Header=BB418_4 Depth=1
	v_and_b32_e32 v18, 0xffff, v12
	v_or_b32_e32 v19, 0x10000, v12
	s_delay_alu instid0(VALU_DEP_2) | instskip(NEXT) | instid1(VALU_DEP_2)
	v_cmp_eq_u32_e32 vcc_lo, 0, v18
	v_cndmask_b32_e32 v18, v19, v12, vcc_lo
; %bb.182:                              ;   in Loop: Header=BB418_4 Depth=1
	s_or_b32 exec_lo, exec_lo, s16
	s_delay_alu instid0(VALU_DEP_1) | instskip(NEXT) | instid1(VALU_DEP_1)
	v_fma_mix_f32_bf16 v12, s2, v13, v18 op_sel:[0,0,1] op_sel_hi:[0,0,1]
	v_and_b32_e32 v13, 0x7f800000, v12
	s_delay_alu instid0(VALU_DEP_1) | instskip(SKIP_1) | instid1(SALU_CYCLE_1)
	v_cmp_ne_u32_e32 vcc_lo, 0x7f800000, v13
                                        ; implicit-def: $vgpr13
	s_and_saveexec_b32 s16, vcc_lo
	s_xor_b32 s16, exec_lo, s16
; %bb.183:                              ;   in Loop: Header=BB418_4 Depth=1
	v_bfe_u32 v13, v12, 16, 1
	s_delay_alu instid0(VALU_DEP_1)
	v_add3_u32 v13, v12, v13, 0x7fff
                                        ; implicit-def: $vgpr12
; %bb.184:                              ;   in Loop: Header=BB418_4 Depth=1
	s_and_not1_saveexec_b32 s16, s16
; %bb.185:                              ;   in Loop: Header=BB418_4 Depth=1
	v_and_b32_e32 v13, 0xffff, v12
	v_or_b32_e32 v18, 0x10000, v12
	s_delay_alu instid0(VALU_DEP_2) | instskip(NEXT) | instid1(VALU_DEP_2)
	v_cmp_eq_u32_e32 vcc_lo, 0, v13
	v_cndmask_b32_e32 v13, v18, v12, vcc_lo
; %bb.186:                              ;   in Loop: Header=BB418_4 Depth=1
	s_or_b32 exec_lo, exec_lo, s16
	global_store_d16_hi_b16 v[16:17], v13, off offset:32
	global_load_u16 v12, v[14:15], off offset:64
	s_wait_loadcnt 0x0
	v_lshlrev_b32_e32 v12, 16, v12
	s_delay_alu instid0(VALU_DEP_1) | instskip(SKIP_1) | instid1(VALU_DEP_1)
	v_mul_f32_e32 v12, s30, v12
	s_wait_xcnt 0x1
	v_and_b32_e32 v13, 0x7f800000, v12
	s_delay_alu instid0(VALU_DEP_1) | instskip(SKIP_2) | instid1(SALU_CYCLE_1)
	v_cmp_ne_u32_e32 vcc_lo, 0x7f800000, v13
                                        ; implicit-def: $vgpr13
	s_wait_xcnt 0x0
	s_and_saveexec_b32 s16, vcc_lo
	s_xor_b32 s16, exec_lo, s16
; %bb.187:                              ;   in Loop: Header=BB418_4 Depth=1
	v_bfe_u32 v13, v12, 16, 1
	s_delay_alu instid0(VALU_DEP_1)
	v_add3_u32 v13, v12, v13, 0x7fff
                                        ; implicit-def: $vgpr12
; %bb.188:                              ;   in Loop: Header=BB418_4 Depth=1
	s_and_not1_saveexec_b32 s16, s16
; %bb.189:                              ;   in Loop: Header=BB418_4 Depth=1
	v_and_b32_e32 v13, 0xffff, v12
	v_or_b32_e32 v18, 0x10000, v12
	s_delay_alu instid0(VALU_DEP_2) | instskip(NEXT) | instid1(VALU_DEP_2)
	v_cmp_eq_u32_e32 vcc_lo, 0, v13
	v_cndmask_b32_e32 v13, v18, v12, vcc_lo
; %bb.190:                              ;   in Loop: Header=BB418_4 Depth=1
	s_or_b32 exec_lo, exec_lo, s16
	s_delay_alu instid0(VALU_DEP_1) | instskip(NEXT) | instid1(VALU_DEP_1)
	v_fma_mix_f32_bf16 v10, s2, v10, v13 op_sel:[0,0,1] op_sel_hi:[0,0,1]
	v_and_b32_e32 v12, 0x7f800000, v10
	s_delay_alu instid0(VALU_DEP_1) | instskip(SKIP_1) | instid1(SALU_CYCLE_1)
	v_cmp_ne_u32_e32 vcc_lo, 0x7f800000, v12
                                        ; implicit-def: $vgpr12
	s_and_saveexec_b32 s16, vcc_lo
	s_xor_b32 s16, exec_lo, s16
; %bb.191:                              ;   in Loop: Header=BB418_4 Depth=1
	v_bfe_u32 v12, v10, 16, 1
	s_delay_alu instid0(VALU_DEP_1)
	v_add3_u32 v12, v10, v12, 0x7fff
                                        ; implicit-def: $vgpr10
; %bb.192:                              ;   in Loop: Header=BB418_4 Depth=1
	s_and_not1_saveexec_b32 s16, s16
; %bb.193:                              ;   in Loop: Header=BB418_4 Depth=1
	v_and_b32_e32 v12, 0xffff, v10
	v_or_b32_e32 v13, 0x10000, v10
	s_delay_alu instid0(VALU_DEP_2) | instskip(NEXT) | instid1(VALU_DEP_2)
	v_cmp_eq_u32_e32 vcc_lo, 0, v12
	v_cndmask_b32_e32 v12, v13, v10, vcc_lo
; %bb.194:                              ;   in Loop: Header=BB418_4 Depth=1
	s_or_b32 exec_lo, exec_lo, s16
	global_store_d16_hi_b16 v[16:17], v12, off offset:64
	global_load_u16 v10, v[14:15], off offset:96
	s_wait_loadcnt 0x0
	v_lshlrev_b32_e32 v10, 16, v10
	s_delay_alu instid0(VALU_DEP_1) | instskip(SKIP_1) | instid1(VALU_DEP_1)
	v_mul_f32_e32 v10, s30, v10
	s_wait_xcnt 0x1
	v_and_b32_e32 v12, 0x7f800000, v10
	s_delay_alu instid0(VALU_DEP_1) | instskip(SKIP_2) | instid1(SALU_CYCLE_1)
	v_cmp_ne_u32_e32 vcc_lo, 0x7f800000, v12
                                        ; implicit-def: $vgpr12
	s_wait_xcnt 0x0
	s_and_saveexec_b32 s16, vcc_lo
	s_xor_b32 s16, exec_lo, s16
; %bb.195:                              ;   in Loop: Header=BB418_4 Depth=1
	v_bfe_u32 v12, v10, 16, 1
	s_delay_alu instid0(VALU_DEP_1)
	v_add3_u32 v12, v10, v12, 0x7fff
                                        ; implicit-def: $vgpr10
; %bb.196:                              ;   in Loop: Header=BB418_4 Depth=1
	s_and_not1_saveexec_b32 s16, s16
; %bb.197:                              ;   in Loop: Header=BB418_4 Depth=1
	v_and_b32_e32 v12, 0xffff, v10
	v_or_b32_e32 v13, 0x10000, v10
	s_delay_alu instid0(VALU_DEP_2) | instskip(NEXT) | instid1(VALU_DEP_2)
	v_cmp_eq_u32_e32 vcc_lo, 0, v12
	v_cndmask_b32_e32 v12, v13, v10, vcc_lo
; %bb.198:                              ;   in Loop: Header=BB418_4 Depth=1
	s_or_b32 exec_lo, exec_lo, s16
	s_delay_alu instid0(VALU_DEP_1) | instskip(NEXT) | instid1(VALU_DEP_1)
	v_fma_mix_f32_bf16 v10, s2, v11, v12 op_sel:[0,0,1] op_sel_hi:[0,0,1]
	v_and_b32_e32 v11, 0x7f800000, v10
	s_delay_alu instid0(VALU_DEP_1) | instskip(SKIP_1) | instid1(SALU_CYCLE_1)
	v_cmp_ne_u32_e32 vcc_lo, 0x7f800000, v11
                                        ; implicit-def: $vgpr11
	s_and_saveexec_b32 s16, vcc_lo
	s_xor_b32 s16, exec_lo, s16
; %bb.199:                              ;   in Loop: Header=BB418_4 Depth=1
	v_bfe_u32 v11, v10, 16, 1
	s_delay_alu instid0(VALU_DEP_1)
	v_add3_u32 v11, v10, v11, 0x7fff
                                        ; implicit-def: $vgpr10
; %bb.200:                              ;   in Loop: Header=BB418_4 Depth=1
	s_and_not1_saveexec_b32 s16, s16
	s_cbranch_execz .LBB418_2
; %bb.201:                              ;   in Loop: Header=BB418_4 Depth=1
	v_and_b32_e32 v11, 0xffff, v10
	v_or_b32_e32 v12, 0x10000, v10
	s_delay_alu instid0(VALU_DEP_2) | instskip(NEXT) | instid1(VALU_DEP_2)
	v_cmp_eq_u32_e32 vcc_lo, 0, v11
	v_cndmask_b32_e32 v11, v12, v10, vcc_lo
	s_branch .LBB418_2
.LBB418_202:
	s_sendmsg sendmsg(MSG_DEALLOC_VGPRS)
	s_endpgm
	.section	.rodata,"a",@progbits
	.p2align	6, 0x0
	.amdhsa_kernel _ZN12_GLOBAL__N_127rocblas_gemm_batched_kernelIfLi16ELi16ELi64ELi64ELi4ELi64ELi4ELi4ELi64ELc78ELc78EK16rocblas_bfloat16S2_S1_EEvlllT_PT11_llS5_llS3_PT12_llPT13_lli
		.amdhsa_group_segment_fixed_size 2048
		.amdhsa_private_segment_fixed_size 0
		.amdhsa_kernarg_size 140
		.amdhsa_user_sgpr_count 2
		.amdhsa_user_sgpr_dispatch_ptr 0
		.amdhsa_user_sgpr_queue_ptr 0
		.amdhsa_user_sgpr_kernarg_segment_ptr 1
		.amdhsa_user_sgpr_dispatch_id 0
		.amdhsa_user_sgpr_kernarg_preload_length 0
		.amdhsa_user_sgpr_kernarg_preload_offset 0
		.amdhsa_user_sgpr_private_segment_size 0
		.amdhsa_wavefront_size32 1
		.amdhsa_uses_dynamic_stack 0
		.amdhsa_enable_private_segment 0
		.amdhsa_system_sgpr_workgroup_id_x 1
		.amdhsa_system_sgpr_workgroup_id_y 1
		.amdhsa_system_sgpr_workgroup_id_z 1
		.amdhsa_system_sgpr_workgroup_info 0
		.amdhsa_system_vgpr_workitem_id 1
		.amdhsa_next_free_vgpr 70
		.amdhsa_next_free_sgpr 36
		.amdhsa_named_barrier_count 0
		.amdhsa_reserve_vcc 1
		.amdhsa_float_round_mode_32 0
		.amdhsa_float_round_mode_16_64 0
		.amdhsa_float_denorm_mode_32 3
		.amdhsa_float_denorm_mode_16_64 3
		.amdhsa_fp16_overflow 0
		.amdhsa_memory_ordered 1
		.amdhsa_forward_progress 1
		.amdhsa_inst_pref_size 55
		.amdhsa_round_robin_scheduling 0
		.amdhsa_exception_fp_ieee_invalid_op 0
		.amdhsa_exception_fp_denorm_src 0
		.amdhsa_exception_fp_ieee_div_zero 0
		.amdhsa_exception_fp_ieee_overflow 0
		.amdhsa_exception_fp_ieee_underflow 0
		.amdhsa_exception_fp_ieee_inexact 0
		.amdhsa_exception_int_div_zero 0
	.end_amdhsa_kernel
	.section	.text._ZN12_GLOBAL__N_127rocblas_gemm_batched_kernelIfLi16ELi16ELi64ELi64ELi4ELi64ELi4ELi4ELi64ELc78ELc78EK16rocblas_bfloat16S2_S1_EEvlllT_PT11_llS5_llS3_PT12_llPT13_lli,"axG",@progbits,_ZN12_GLOBAL__N_127rocblas_gemm_batched_kernelIfLi16ELi16ELi64ELi64ELi4ELi64ELi4ELi4ELi64ELc78ELc78EK16rocblas_bfloat16S2_S1_EEvlllT_PT11_llS5_llS3_PT12_llPT13_lli,comdat
.Lfunc_end418:
	.size	_ZN12_GLOBAL__N_127rocblas_gemm_batched_kernelIfLi16ELi16ELi64ELi64ELi4ELi64ELi4ELi4ELi64ELc78ELc78EK16rocblas_bfloat16S2_S1_EEvlllT_PT11_llS5_llS3_PT12_llPT13_lli, .Lfunc_end418-_ZN12_GLOBAL__N_127rocblas_gemm_batched_kernelIfLi16ELi16ELi64ELi64ELi4ELi64ELi4ELi4ELi64ELc78ELc78EK16rocblas_bfloat16S2_S1_EEvlllT_PT11_llS5_llS3_PT12_llPT13_lli
                                        ; -- End function
	.set _ZN12_GLOBAL__N_127rocblas_gemm_batched_kernelIfLi16ELi16ELi64ELi64ELi4ELi64ELi4ELi4ELi64ELc78ELc78EK16rocblas_bfloat16S2_S1_EEvlllT_PT11_llS5_llS3_PT12_llPT13_lli.num_vgpr, 70
	.set _ZN12_GLOBAL__N_127rocblas_gemm_batched_kernelIfLi16ELi16ELi64ELi64ELi4ELi64ELi4ELi4ELi64ELc78ELc78EK16rocblas_bfloat16S2_S1_EEvlllT_PT11_llS5_llS3_PT12_llPT13_lli.num_agpr, 0
	.set _ZN12_GLOBAL__N_127rocblas_gemm_batched_kernelIfLi16ELi16ELi64ELi64ELi4ELi64ELi4ELi4ELi64ELc78ELc78EK16rocblas_bfloat16S2_S1_EEvlllT_PT11_llS5_llS3_PT12_llPT13_lli.numbered_sgpr, 36
	.set _ZN12_GLOBAL__N_127rocblas_gemm_batched_kernelIfLi16ELi16ELi64ELi64ELi4ELi64ELi4ELi4ELi64ELc78ELc78EK16rocblas_bfloat16S2_S1_EEvlllT_PT11_llS5_llS3_PT12_llPT13_lli.num_named_barrier, 0
	.set _ZN12_GLOBAL__N_127rocblas_gemm_batched_kernelIfLi16ELi16ELi64ELi64ELi4ELi64ELi4ELi4ELi64ELc78ELc78EK16rocblas_bfloat16S2_S1_EEvlllT_PT11_llS5_llS3_PT12_llPT13_lli.private_seg_size, 0
	.set _ZN12_GLOBAL__N_127rocblas_gemm_batched_kernelIfLi16ELi16ELi64ELi64ELi4ELi64ELi4ELi4ELi64ELc78ELc78EK16rocblas_bfloat16S2_S1_EEvlllT_PT11_llS5_llS3_PT12_llPT13_lli.uses_vcc, 1
	.set _ZN12_GLOBAL__N_127rocblas_gemm_batched_kernelIfLi16ELi16ELi64ELi64ELi4ELi64ELi4ELi4ELi64ELc78ELc78EK16rocblas_bfloat16S2_S1_EEvlllT_PT11_llS5_llS3_PT12_llPT13_lli.uses_flat_scratch, 0
	.set _ZN12_GLOBAL__N_127rocblas_gemm_batched_kernelIfLi16ELi16ELi64ELi64ELi4ELi64ELi4ELi4ELi64ELc78ELc78EK16rocblas_bfloat16S2_S1_EEvlllT_PT11_llS5_llS3_PT12_llPT13_lli.has_dyn_sized_stack, 0
	.set _ZN12_GLOBAL__N_127rocblas_gemm_batched_kernelIfLi16ELi16ELi64ELi64ELi4ELi64ELi4ELi4ELi64ELc78ELc78EK16rocblas_bfloat16S2_S1_EEvlllT_PT11_llS5_llS3_PT12_llPT13_lli.has_recursion, 0
	.set _ZN12_GLOBAL__N_127rocblas_gemm_batched_kernelIfLi16ELi16ELi64ELi64ELi4ELi64ELi4ELi4ELi64ELc78ELc78EK16rocblas_bfloat16S2_S1_EEvlllT_PT11_llS5_llS3_PT12_llPT13_lli.has_indirect_call, 0
	.section	.AMDGPU.csdata,"",@progbits
; Kernel info:
; codeLenInByte = 6920
; TotalNumSgprs: 38
; NumVgprs: 70
; ScratchSize: 0
; MemoryBound: 0
; FloatMode: 240
; IeeeMode: 1
; LDSByteSize: 2048 bytes/workgroup (compile time only)
; SGPRBlocks: 0
; VGPRBlocks: 4
; NumSGPRsForWavesPerEU: 38
; NumVGPRsForWavesPerEU: 70
; NamedBarCnt: 0
; Occupancy: 12
; WaveLimiterHint : 0
; COMPUTE_PGM_RSRC2:SCRATCH_EN: 0
; COMPUTE_PGM_RSRC2:USER_SGPR: 2
; COMPUTE_PGM_RSRC2:TRAP_HANDLER: 0
; COMPUTE_PGM_RSRC2:TGID_X_EN: 1
; COMPUTE_PGM_RSRC2:TGID_Y_EN: 1
; COMPUTE_PGM_RSRC2:TGID_Z_EN: 1
; COMPUTE_PGM_RSRC2:TIDIG_COMP_CNT: 1
	.section	.text._ZN12_GLOBAL__N_127rocblas_gemm_batched_kernelIfLi16ELi16ELi64ELi64ELi4ELi64ELi4ELi4ELi64ELc84ELc78EK16rocblas_bfloat16S2_S1_EEvlllT_PT11_llS5_llS3_PT12_llPT13_lli,"axG",@progbits,_ZN12_GLOBAL__N_127rocblas_gemm_batched_kernelIfLi16ELi16ELi64ELi64ELi4ELi64ELi4ELi4ELi64ELc84ELc78EK16rocblas_bfloat16S2_S1_EEvlllT_PT11_llS5_llS3_PT12_llPT13_lli,comdat
	.globl	_ZN12_GLOBAL__N_127rocblas_gemm_batched_kernelIfLi16ELi16ELi64ELi64ELi4ELi64ELi4ELi4ELi64ELc84ELc78EK16rocblas_bfloat16S2_S1_EEvlllT_PT11_llS5_llS3_PT12_llPT13_lli ; -- Begin function _ZN12_GLOBAL__N_127rocblas_gemm_batched_kernelIfLi16ELi16ELi64ELi64ELi4ELi64ELi4ELi4ELi64ELc84ELc78EK16rocblas_bfloat16S2_S1_EEvlllT_PT11_llS5_llS3_PT12_llPT13_lli
	.p2align	8
	.type	_ZN12_GLOBAL__N_127rocblas_gemm_batched_kernelIfLi16ELi16ELi64ELi64ELi4ELi64ELi4ELi4ELi64ELc84ELc78EK16rocblas_bfloat16S2_S1_EEvlllT_PT11_llS5_llS3_PT12_llPT13_lli,@function
_ZN12_GLOBAL__N_127rocblas_gemm_batched_kernelIfLi16ELi16ELi64ELi64ELi4ELi64ELi4ELi4ELi64ELc84ELc78EK16rocblas_bfloat16S2_S1_EEvlllT_PT11_llS5_llS3_PT12_llPT13_lli: ; @_ZN12_GLOBAL__N_127rocblas_gemm_batched_kernelIfLi16ELi16ELi64ELi64ELi4ELi64ELi4ELi4ELi64ELc84ELc78EK16rocblas_bfloat16S2_S1_EEvlllT_PT11_llS5_llS3_PT12_llPT13_lli
; %bb.0:
	s_load_b32 s3, s[0:1], 0x88
	s_bfe_u32 s2, ttmp6, 0x40014
	s_lshr_b32 s4, ttmp7, 16
	s_add_co_i32 s2, s2, 1
	s_bfe_u32 s6, ttmp6, 0x40008
	s_mul_i32 s5, s4, s2
	s_getreg_b32 s2, hwreg(HW_REG_IB_STS2, 6, 4)
	s_add_co_i32 s6, s6, s5
	s_cmp_eq_u32 s2, 0
	s_mov_b32 s29, 0
	s_cselect_b32 s28, s4, s6
	s_wait_kmcnt 0x0
	s_cmp_ge_i32 s28, s3
	s_cbranch_scc1 .LBB419_202
; %bb.1:
	s_bfe_u32 s21, ttmp6, 0x4000c
	s_bfe_u32 s23, ttmp6, 0x40010
	s_and_b32 s22, ttmp7, 0xffff
	s_add_co_i32 s21, s21, 1
	s_add_co_i32 s23, s23, 1
	v_bfe_u32 v4, v0, 10, 10
	s_and_b32 s20, ttmp6, 15
	s_mul_i32 s21, ttmp9, s21
	s_mul_i32 s23, s22, s23
	s_bfe_u32 s30, ttmp6, 0x40004
	s_add_co_i32 s20, s20, s21
	s_add_co_i32 s30, s30, s23
	s_cmp_eq_u32 s2, 0
	v_and_b32_e32 v6, 0x3ff, v0
	v_dual_lshlrev_b32 v1, 4, v4 :: v_dual_mov_b32 v5, 0
	s_cselect_b32 s34, ttmp9, s20
	s_clause 0x2
	s_load_b256 s[12:19], s[0:1], 0x20
	s_load_b128 s[24:27], s[0:1], 0x40
	s_load_b256 s[4:11], s[0:1], 0x58
	s_cselect_b32 s2, s22, s30
	s_ashr_i32 s35, s34, 31
	v_mov_b32_e32 v9, v5
	s_lshl_b64 s[34:35], s[34:35], 6
	v_add_nc_u32_e32 v7, v1, v6
	s_lshl_b32 s36, s2, 6
	s_mov_b32 s37, s29
	s_clause 0x1
	s_load_b32 s30, s[0:1], 0x50
	s_load_b128 s[20:23], s[0:1], 0x78
	v_lshrrev_b32_e32 v8, 2, v7
	v_add_nc_u64_e32 v[12:13], s[36:37], v[4:5]
	s_wait_xcnt 0x0
	s_load_b96 s[0:2], s[0:1], 0x10
	v_add_nc_u32_e32 v37, 0x400, v1
	v_lshlrev_b32_e32 v36, 2, v6
	v_add_nc_u64_e32 v[2:3], s[36:37], v[8:9]
	v_and_b32_e32 v9, 63, v7
	s_wait_kmcnt 0x0
	v_mul_u64_e32 v[16:17], s[6:7], v[12:13]
	s_delay_alu instid0(VALU_DEP_3) | instskip(NEXT) | instid1(VALU_DEP_3)
	v_mul_u64_e32 v[10:11], s[24:25], v[2:3]
	v_dual_mov_b32 v3, s35 :: v_dual_bitop2_b32 v2, s34, v9 bitop3:0x54
	v_dual_lshlrev_b32 v9, 2, v9 :: v_dual_bitop2_b32 v0, 3, v0 bitop3:0x40
	s_cmp_eq_f32 s30, 0
	s_delay_alu instid0(VALU_DEP_2) | instskip(SKIP_1) | instid1(VALU_DEP_3)
	v_mul_u64_e32 v[14:15], s[14:15], v[2:3]
	v_mul_u64_e32 v[2:3], s[20:21], v[12:13]
	v_dual_lshrrev_b32 v13, 6, v7 :: v_dual_lshlrev_b32 v12, 2, v0
	v_dual_mov_b32 v7, v5 :: v_dual_lshlrev_b32 v4, 1, v0
	s_cselect_b32 s24, -1, 0
	s_delay_alu instid0(VALU_DEP_2) | instskip(NEXT) | instid1(VALU_DEP_3)
	v_lshl_or_b32 v34, v13, 8, v9
	v_lshl_or_b32 v0, v8, 4, v12
	s_lshl_b64 s[14:15], s[20:21], 4
	s_delay_alu instid0(VALU_DEP_1) | instskip(SKIP_3) | instid1(VALU_DEP_2)
	v_add_nc_u32_e32 v35, 0x400, v0
	v_add_nc_u64_e32 v[0:1], s[34:35], v[6:7]
	v_lshl_add_u64 v[8:9], v[10:11], 1, v[4:5]
	v_lshlrev_b32_e32 v4, 1, v13
	v_add_nc_u64_e32 v[6:7], s[18:19], v[8:9]
	v_cmp_gt_i64_e64 s18, s[0:1], 0
	s_delay_alu instid0(VALU_DEP_3) | instskip(SKIP_3) | instid1(VALU_DEP_2)
	v_lshl_add_u64 v[10:11], v[14:15], 1, v[4:5]
	v_lshl_add_u64 v[4:5], v[16:17], 1, s[4:5]
	s_lshl_b64 s[4:5], s[6:7], 4
	s_lshl_b64 s[6:7], s[26:27], 1
	v_add_nc_u64_e32 v[8:9], s[12:13], v[10:11]
	s_lshl_b64 s[12:13], s[16:17], 1
	s_branch .LBB419_4
.LBB419_2:                              ;   in Loop: Header=BB419_4 Depth=1
	s_or_b32 exec_lo, exec_lo, s16
	global_store_d16_hi_b16 v[16:17], v11, off offset:96
.LBB419_3:                              ;   in Loop: Header=BB419_4 Depth=1
	s_add_co_i32 s28, s28, 0x10000
	s_delay_alu instid0(SALU_CYCLE_1)
	s_cmp_lt_i32 s28, s3
	s_cbranch_scc0 .LBB419_202
.LBB419_4:                              ; =>This Loop Header: Depth=1
                                        ;     Child Loop BB419_6 Depth 2
	v_dual_mov_b32 v25, 0 :: v_dual_mov_b32 v24, 0
	v_dual_mov_b32 v23, 0 :: v_dual_mov_b32 v22, 0
	;; [unrolled: 1-line block ×4, first 2 shown]
	s_wait_xcnt 0x0
	v_dual_mov_b32 v17, 0 :: v_dual_mov_b32 v16, 0
	v_dual_mov_b32 v15, 0 :: v_dual_mov_b32 v14, 0
	;; [unrolled: 1-line block ×4, first 2 shown]
	s_and_not1_b32 vcc_lo, exec_lo, s18
	s_cbranch_vccnz .LBB419_7
; %bb.5:                                ;   in Loop: Header=BB419_4 Depth=1
	v_mad_nc_u64_u32 v[26:27], s6, s28, v[6:7]
	v_mad_nc_u64_u32 v[28:29], s12, s28, v[8:9]
	v_mov_b32_e32 v10, 0
	s_mov_b64 s[16:17], 0
	s_delay_alu instid0(VALU_DEP_1)
	v_dual_mov_b32 v11, v10 :: v_dual_mov_b32 v12, v10
	v_dual_mov_b32 v13, v10 :: v_dual_mov_b32 v14, v10
	v_mad_u32 v27, s7, s28, v27
	v_mad_u32 v29, s13, s28, v29
	v_dual_mov_b32 v15, v10 :: v_dual_mov_b32 v16, v10
	v_dual_mov_b32 v17, v10 :: v_dual_mov_b32 v18, v10
	;; [unrolled: 1-line block ×5, first 2 shown]
	v_mov_b32_e32 v25, v10
.LBB419_6:                              ;   Parent Loop BB419_4 Depth=1
                                        ; =>  This Inner Loop Header: Depth=2
	global_load_u16 v30, v[28:29], off
	global_load_u16 v31, v[26:27], off
	s_add_nc_u64 s[16:17], s[16:17], 4
	s_wait_xcnt 0x0
	v_add_nc_u64_e32 v[26:27], 8, v[26:27]
	v_cmp_lt_i64_e64 s19, s[16:17], s[0:1]
	v_add_nc_u64_e32 v[28:29], 8, v[28:29]
	s_and_b32 vcc_lo, exec_lo, s19
	s_wait_loadcnt 0x0
	v_dual_lshlrev_b32 v30, 16, v30 :: v_dual_lshlrev_b32 v31, 16, v31
	ds_store_b32 v34, v30
	ds_store_b32 v35, v31
	s_wait_dscnt 0x0
	s_barrier_signal -1
	s_barrier_wait -1
	ds_load_b128 v[30:33], v37
	ds_load_2addr_b32 v[50:51], v36 offset1:16
	ds_load_2addr_b32 v[52:53], v36 offset0:32 offset1:48
	ds_load_b128 v[38:41], v37 offset:256
	ds_load_b128 v[42:45], v37 offset:512
	;; [unrolled: 1-line block ×3, first 2 shown]
	ds_load_2addr_b32 v[54:55], v36 offset0:64 offset1:80
	ds_load_2addr_b32 v[56:57], v36 offset0:96 offset1:112
	;; [unrolled: 1-line block ×6, first 2 shown]
	s_wait_dscnt 0x0
	s_barrier_signal -1
	s_barrier_wait -1
	v_mov_b32_e32 v66, v33
	v_pk_fma_f32 v[24:25], v[50:51], v[30:31], v[24:25] op_sel_hi:[1,0,1]
	v_pk_fma_f32 v[22:23], v[52:53], v[30:31], v[22:23] op_sel_hi:[1,0,1]
	v_pk_fma_f32 v[20:21], v[50:51], v[38:39], v[20:21] op_sel_hi:[1,0,1]
	v_pk_fma_f32 v[16:17], v[50:51], v[42:43], v[16:17] op_sel_hi:[1,0,1]
	v_pk_fma_f32 v[12:13], v[50:51], v[46:47], v[12:13] op_sel_hi:[1,0,1]
	v_pk_fma_f32 v[18:19], v[52:53], v[38:39], v[18:19] op_sel_hi:[1,0,1]
	v_pk_fma_f32 v[14:15], v[52:53], v[42:43], v[14:15] op_sel_hi:[1,0,1]
	v_pk_fma_f32 v[10:11], v[52:53], v[46:47], v[10:11] op_sel_hi:[1,0,1]
	v_pk_fma_f32 v[24:25], v[54:55], v[30:31], v[24:25] op_sel:[0,1,0]
	v_pk_fma_f32 v[22:23], v[56:57], v[30:31], v[22:23] op_sel:[0,1,0]
	;; [unrolled: 1-line block ×8, first 2 shown]
	v_dual_mov_b32 v50, v41 :: v_dual_mov_b32 v52, v45
	v_mov_b32_e32 v68, v49
	v_pk_fma_f32 v[24:25], v[58:59], v[32:33], v[24:25] op_sel_hi:[1,0,1]
	v_pk_fma_f32 v[22:23], v[60:61], v[32:33], v[22:23] op_sel_hi:[1,0,1]
	;; [unrolled: 1-line block ×16, first 2 shown]
	s_cbranch_vccnz .LBB419_6
.LBB419_7:                              ;   in Loop: Header=BB419_4 Depth=1
	s_mul_u64 s[16:17], s[22:23], s[28:29]
	s_and_not1_b32 vcc_lo, exec_lo, s24
	s_lshl_b64 s[16:17], s[16:17], 1
	s_delay_alu instid0(SALU_CYCLE_1)
	s_add_nc_u64 s[16:17], s[10:11], s[16:17]
	s_cbranch_vccnz .LBB419_73
; %bb.8:                                ;   in Loop: Header=BB419_4 Depth=1
	v_mul_f32_e32 v26, s2, v24
	s_mov_b32 s19, exec_lo
                                        ; implicit-def: $vgpr30
	s_delay_alu instid0(VALU_DEP_1) | instskip(NEXT) | instid1(VALU_DEP_1)
	v_and_b32_e32 v27, 0x7f800000, v26
	v_cmpx_ne_u32_e32 0x7f800000, v27
	s_xor_b32 s19, exec_lo, s19
; %bb.9:                                ;   in Loop: Header=BB419_4 Depth=1
	v_bfe_u32 v27, v26, 16, 1
	s_delay_alu instid0(VALU_DEP_1)
	v_add3_u32 v30, v26, v27, 0x7fff
                                        ; implicit-def: $vgpr26
; %bb.10:                               ;   in Loop: Header=BB419_4 Depth=1
	s_and_not1_saveexec_b32 s19, s19
; %bb.11:                               ;   in Loop: Header=BB419_4 Depth=1
	v_and_b32_e32 v27, 0xffff, v26
	v_or_b32_e32 v28, 0x10000, v26
	s_delay_alu instid0(VALU_DEP_2) | instskip(NEXT) | instid1(VALU_DEP_2)
	v_cmp_eq_u32_e32 vcc_lo, 0, v27
	v_cndmask_b32_e32 v30, v28, v26, vcc_lo
; %bb.12:                               ;   in Loop: Header=BB419_4 Depth=1
	s_or_b32 exec_lo, exec_lo, s19
	v_mul_f32_e32 v31, s2, v25
	v_lshl_add_u64 v[26:27], v[2:3], 1, s[16:17]
	s_delay_alu instid0(VALU_DEP_2) | instskip(NEXT) | instid1(VALU_DEP_2)
	v_and_b32_e32 v32, 0x7f800000, v31
	v_lshl_add_u64 v[28:29], v[0:1], 1, v[26:27]
	s_delay_alu instid0(VALU_DEP_2) | instskip(SKIP_3) | instid1(SALU_CYCLE_1)
	v_cmp_ne_u32_e32 vcc_lo, 0x7f800000, v32
	global_store_d16_hi_b16 v[28:29], v30, off
                                        ; implicit-def: $vgpr32
	s_wait_xcnt 0x0
	s_and_saveexec_b32 s19, vcc_lo
	s_xor_b32 s19, exec_lo, s19
; %bb.13:                               ;   in Loop: Header=BB419_4 Depth=1
	v_bfe_u32 v30, v31, 16, 1
	s_delay_alu instid0(VALU_DEP_1)
	v_add3_u32 v32, v31, v30, 0x7fff
                                        ; implicit-def: $vgpr31
; %bb.14:                               ;   in Loop: Header=BB419_4 Depth=1
	s_and_not1_saveexec_b32 s19, s19
; %bb.15:                               ;   in Loop: Header=BB419_4 Depth=1
	v_and_b32_e32 v30, 0xffff, v31
	v_or_b32_e32 v32, 0x10000, v31
	s_delay_alu instid0(VALU_DEP_2) | instskip(NEXT) | instid1(VALU_DEP_2)
	v_cmp_eq_u32_e32 vcc_lo, 0, v30
	v_cndmask_b32_e32 v32, v32, v31, vcc_lo
; %bb.16:                               ;   in Loop: Header=BB419_4 Depth=1
	s_or_b32 exec_lo, exec_lo, s19
	v_mul_f32_e32 v30, s2, v22
	global_store_d16_hi_b16 v[28:29], v32, off offset:32
	v_and_b32_e32 v31, 0x7f800000, v30
	s_delay_alu instid0(VALU_DEP_1) | instskip(SKIP_2) | instid1(SALU_CYCLE_1)
	v_cmp_ne_u32_e32 vcc_lo, 0x7f800000, v31
                                        ; implicit-def: $vgpr31
	s_wait_xcnt 0x0
	s_and_saveexec_b32 s19, vcc_lo
	s_xor_b32 s19, exec_lo, s19
; %bb.17:                               ;   in Loop: Header=BB419_4 Depth=1
	v_bfe_u32 v31, v30, 16, 1
	s_delay_alu instid0(VALU_DEP_1)
	v_add3_u32 v31, v30, v31, 0x7fff
                                        ; implicit-def: $vgpr30
; %bb.18:                               ;   in Loop: Header=BB419_4 Depth=1
	s_and_not1_saveexec_b32 s19, s19
; %bb.19:                               ;   in Loop: Header=BB419_4 Depth=1
	v_and_b32_e32 v31, 0xffff, v30
	v_or_b32_e32 v32, 0x10000, v30
	s_delay_alu instid0(VALU_DEP_2) | instskip(NEXT) | instid1(VALU_DEP_2)
	v_cmp_eq_u32_e32 vcc_lo, 0, v31
	v_cndmask_b32_e32 v31, v32, v30, vcc_lo
; %bb.20:                               ;   in Loop: Header=BB419_4 Depth=1
	s_or_b32 exec_lo, exec_lo, s19
	v_mul_f32_e32 v30, s2, v23
	global_store_d16_hi_b16 v[28:29], v31, off offset:64
	v_and_b32_e32 v32, 0x7f800000, v30
	s_delay_alu instid0(VALU_DEP_1) | instskip(SKIP_2) | instid1(SALU_CYCLE_1)
	v_cmp_ne_u32_e32 vcc_lo, 0x7f800000, v32
                                        ; implicit-def: $vgpr32
	s_wait_xcnt 0x0
	s_and_saveexec_b32 s19, vcc_lo
	s_xor_b32 s19, exec_lo, s19
; %bb.21:                               ;   in Loop: Header=BB419_4 Depth=1
	v_bfe_u32 v31, v30, 16, 1
	s_delay_alu instid0(VALU_DEP_1)
	v_add3_u32 v32, v30, v31, 0x7fff
                                        ; implicit-def: $vgpr30
; %bb.22:                               ;   in Loop: Header=BB419_4 Depth=1
	s_and_not1_saveexec_b32 s19, s19
; %bb.23:                               ;   in Loop: Header=BB419_4 Depth=1
	v_and_b32_e32 v31, 0xffff, v30
	v_or_b32_e32 v32, 0x10000, v30
	s_delay_alu instid0(VALU_DEP_2) | instskip(NEXT) | instid1(VALU_DEP_2)
	v_cmp_eq_u32_e32 vcc_lo, 0, v31
	v_cndmask_b32_e32 v32, v32, v30, vcc_lo
; %bb.24:                               ;   in Loop: Header=BB419_4 Depth=1
	s_or_b32 exec_lo, exec_lo, s19
	v_mul_f32_e32 v31, s2, v20
	global_store_d16_hi_b16 v[28:29], v32, off offset:96
	v_and_b32_e32 v30, 0x7f800000, v31
	s_delay_alu instid0(VALU_DEP_1) | instskip(SKIP_2) | instid1(SALU_CYCLE_1)
	v_cmp_ne_u32_e32 vcc_lo, 0x7f800000, v30
                                        ; implicit-def: $vgpr30
	s_wait_xcnt 0x0
	s_and_saveexec_b32 s19, vcc_lo
	s_xor_b32 s19, exec_lo, s19
; %bb.25:                               ;   in Loop: Header=BB419_4 Depth=1
	v_bfe_u32 v28, v31, 16, 1
	s_delay_alu instid0(VALU_DEP_1)
	v_add3_u32 v30, v31, v28, 0x7fff
                                        ; implicit-def: $vgpr31
; %bb.26:                               ;   in Loop: Header=BB419_4 Depth=1
	s_and_not1_saveexec_b32 s19, s19
; %bb.27:                               ;   in Loop: Header=BB419_4 Depth=1
	v_and_b32_e32 v28, 0xffff, v31
	v_or_b32_e32 v29, 0x10000, v31
	s_delay_alu instid0(VALU_DEP_2) | instskip(NEXT) | instid1(VALU_DEP_2)
	v_cmp_eq_u32_e32 vcc_lo, 0, v28
	v_cndmask_b32_e32 v30, v29, v31, vcc_lo
; %bb.28:                               ;   in Loop: Header=BB419_4 Depth=1
	s_or_b32 exec_lo, exec_lo, s19
	v_mul_f32_e32 v31, s2, v21
	v_lshl_add_u64 v[26:27], s[14:15], 1, v[26:27]
	s_delay_alu instid0(VALU_DEP_2) | instskip(NEXT) | instid1(VALU_DEP_2)
	v_and_b32_e32 v32, 0x7f800000, v31
	v_lshl_add_u64 v[28:29], v[0:1], 1, v[26:27]
	s_delay_alu instid0(VALU_DEP_2) | instskip(SKIP_3) | instid1(SALU_CYCLE_1)
	v_cmp_ne_u32_e32 vcc_lo, 0x7f800000, v32
	global_store_d16_hi_b16 v[28:29], v30, off
                                        ; implicit-def: $vgpr32
	s_wait_xcnt 0x0
	s_and_saveexec_b32 s19, vcc_lo
	s_xor_b32 s19, exec_lo, s19
; %bb.29:                               ;   in Loop: Header=BB419_4 Depth=1
	v_bfe_u32 v30, v31, 16, 1
	s_delay_alu instid0(VALU_DEP_1)
	v_add3_u32 v32, v31, v30, 0x7fff
                                        ; implicit-def: $vgpr31
; %bb.30:                               ;   in Loop: Header=BB419_4 Depth=1
	s_and_not1_saveexec_b32 s19, s19
; %bb.31:                               ;   in Loop: Header=BB419_4 Depth=1
	v_and_b32_e32 v30, 0xffff, v31
	v_or_b32_e32 v32, 0x10000, v31
	s_delay_alu instid0(VALU_DEP_2) | instskip(NEXT) | instid1(VALU_DEP_2)
	v_cmp_eq_u32_e32 vcc_lo, 0, v30
	v_cndmask_b32_e32 v32, v32, v31, vcc_lo
; %bb.32:                               ;   in Loop: Header=BB419_4 Depth=1
	s_or_b32 exec_lo, exec_lo, s19
	v_mul_f32_e32 v30, s2, v18
	global_store_d16_hi_b16 v[28:29], v32, off offset:32
	v_and_b32_e32 v31, 0x7f800000, v30
	s_delay_alu instid0(VALU_DEP_1) | instskip(SKIP_2) | instid1(SALU_CYCLE_1)
	v_cmp_ne_u32_e32 vcc_lo, 0x7f800000, v31
                                        ; implicit-def: $vgpr31
	s_wait_xcnt 0x0
	s_and_saveexec_b32 s19, vcc_lo
	s_xor_b32 s19, exec_lo, s19
; %bb.33:                               ;   in Loop: Header=BB419_4 Depth=1
	v_bfe_u32 v31, v30, 16, 1
	s_delay_alu instid0(VALU_DEP_1)
	v_add3_u32 v31, v30, v31, 0x7fff
                                        ; implicit-def: $vgpr30
; %bb.34:                               ;   in Loop: Header=BB419_4 Depth=1
	s_and_not1_saveexec_b32 s19, s19
; %bb.35:                               ;   in Loop: Header=BB419_4 Depth=1
	v_and_b32_e32 v31, 0xffff, v30
	v_or_b32_e32 v32, 0x10000, v30
	s_delay_alu instid0(VALU_DEP_2) | instskip(NEXT) | instid1(VALU_DEP_2)
	v_cmp_eq_u32_e32 vcc_lo, 0, v31
	v_cndmask_b32_e32 v31, v32, v30, vcc_lo
; %bb.36:                               ;   in Loop: Header=BB419_4 Depth=1
	s_or_b32 exec_lo, exec_lo, s19
	v_mul_f32_e32 v30, s2, v19
	global_store_d16_hi_b16 v[28:29], v31, off offset:64
	v_and_b32_e32 v32, 0x7f800000, v30
	s_delay_alu instid0(VALU_DEP_1) | instskip(SKIP_2) | instid1(SALU_CYCLE_1)
	v_cmp_ne_u32_e32 vcc_lo, 0x7f800000, v32
                                        ; implicit-def: $vgpr32
	s_wait_xcnt 0x0
	s_and_saveexec_b32 s19, vcc_lo
	s_xor_b32 s19, exec_lo, s19
; %bb.37:                               ;   in Loop: Header=BB419_4 Depth=1
	v_bfe_u32 v31, v30, 16, 1
	s_delay_alu instid0(VALU_DEP_1)
	v_add3_u32 v32, v30, v31, 0x7fff
                                        ; implicit-def: $vgpr30
; %bb.38:                               ;   in Loop: Header=BB419_4 Depth=1
	s_and_not1_saveexec_b32 s19, s19
; %bb.39:                               ;   in Loop: Header=BB419_4 Depth=1
	v_and_b32_e32 v31, 0xffff, v30
	v_or_b32_e32 v32, 0x10000, v30
	s_delay_alu instid0(VALU_DEP_2) | instskip(NEXT) | instid1(VALU_DEP_2)
	v_cmp_eq_u32_e32 vcc_lo, 0, v31
	v_cndmask_b32_e32 v32, v32, v30, vcc_lo
; %bb.40:                               ;   in Loop: Header=BB419_4 Depth=1
	s_or_b32 exec_lo, exec_lo, s19
	v_mul_f32_e32 v31, s2, v16
	global_store_d16_hi_b16 v[28:29], v32, off offset:96
	v_and_b32_e32 v30, 0x7f800000, v31
	s_delay_alu instid0(VALU_DEP_1) | instskip(SKIP_2) | instid1(SALU_CYCLE_1)
	v_cmp_ne_u32_e32 vcc_lo, 0x7f800000, v30
                                        ; implicit-def: $vgpr30
	s_wait_xcnt 0x0
	s_and_saveexec_b32 s19, vcc_lo
	s_xor_b32 s19, exec_lo, s19
; %bb.41:                               ;   in Loop: Header=BB419_4 Depth=1
	v_bfe_u32 v28, v31, 16, 1
	s_delay_alu instid0(VALU_DEP_1)
	v_add3_u32 v30, v31, v28, 0x7fff
                                        ; implicit-def: $vgpr31
; %bb.42:                               ;   in Loop: Header=BB419_4 Depth=1
	s_and_not1_saveexec_b32 s19, s19
; %bb.43:                               ;   in Loop: Header=BB419_4 Depth=1
	v_and_b32_e32 v28, 0xffff, v31
	v_or_b32_e32 v29, 0x10000, v31
	s_delay_alu instid0(VALU_DEP_2) | instskip(NEXT) | instid1(VALU_DEP_2)
	v_cmp_eq_u32_e32 vcc_lo, 0, v28
	v_cndmask_b32_e32 v30, v29, v31, vcc_lo
; %bb.44:                               ;   in Loop: Header=BB419_4 Depth=1
	s_or_b32 exec_lo, exec_lo, s19
	v_mul_f32_e32 v31, s2, v17
	v_lshl_add_u64 v[26:27], s[14:15], 1, v[26:27]
	s_delay_alu instid0(VALU_DEP_2) | instskip(NEXT) | instid1(VALU_DEP_2)
	v_and_b32_e32 v32, 0x7f800000, v31
	v_lshl_add_u64 v[28:29], v[0:1], 1, v[26:27]
	s_delay_alu instid0(VALU_DEP_2) | instskip(SKIP_3) | instid1(SALU_CYCLE_1)
	v_cmp_ne_u32_e32 vcc_lo, 0x7f800000, v32
	global_store_d16_hi_b16 v[28:29], v30, off
                                        ; implicit-def: $vgpr32
	s_wait_xcnt 0x0
	s_and_saveexec_b32 s19, vcc_lo
	s_xor_b32 s19, exec_lo, s19
; %bb.45:                               ;   in Loop: Header=BB419_4 Depth=1
	v_bfe_u32 v30, v31, 16, 1
	s_delay_alu instid0(VALU_DEP_1)
	v_add3_u32 v32, v31, v30, 0x7fff
                                        ; implicit-def: $vgpr31
; %bb.46:                               ;   in Loop: Header=BB419_4 Depth=1
	s_and_not1_saveexec_b32 s19, s19
; %bb.47:                               ;   in Loop: Header=BB419_4 Depth=1
	v_and_b32_e32 v30, 0xffff, v31
	v_or_b32_e32 v32, 0x10000, v31
	s_delay_alu instid0(VALU_DEP_2) | instskip(NEXT) | instid1(VALU_DEP_2)
	v_cmp_eq_u32_e32 vcc_lo, 0, v30
	v_cndmask_b32_e32 v32, v32, v31, vcc_lo
; %bb.48:                               ;   in Loop: Header=BB419_4 Depth=1
	s_or_b32 exec_lo, exec_lo, s19
	v_mul_f32_e32 v30, s2, v14
	global_store_d16_hi_b16 v[28:29], v32, off offset:32
	v_and_b32_e32 v31, 0x7f800000, v30
	s_delay_alu instid0(VALU_DEP_1) | instskip(SKIP_2) | instid1(SALU_CYCLE_1)
	v_cmp_ne_u32_e32 vcc_lo, 0x7f800000, v31
                                        ; implicit-def: $vgpr31
	s_wait_xcnt 0x0
	s_and_saveexec_b32 s19, vcc_lo
	s_xor_b32 s19, exec_lo, s19
; %bb.49:                               ;   in Loop: Header=BB419_4 Depth=1
	v_bfe_u32 v31, v30, 16, 1
	s_delay_alu instid0(VALU_DEP_1)
	v_add3_u32 v31, v30, v31, 0x7fff
                                        ; implicit-def: $vgpr30
; %bb.50:                               ;   in Loop: Header=BB419_4 Depth=1
	s_and_not1_saveexec_b32 s19, s19
; %bb.51:                               ;   in Loop: Header=BB419_4 Depth=1
	v_and_b32_e32 v31, 0xffff, v30
	v_or_b32_e32 v32, 0x10000, v30
	s_delay_alu instid0(VALU_DEP_2) | instskip(NEXT) | instid1(VALU_DEP_2)
	v_cmp_eq_u32_e32 vcc_lo, 0, v31
	v_cndmask_b32_e32 v31, v32, v30, vcc_lo
; %bb.52:                               ;   in Loop: Header=BB419_4 Depth=1
	s_or_b32 exec_lo, exec_lo, s19
	v_mul_f32_e32 v30, s2, v15
	s_mov_b32 s19, exec_lo
	global_store_d16_hi_b16 v[28:29], v31, off offset:64
                                        ; implicit-def: $vgpr31
	v_and_b32_e32 v32, 0x7f800000, v30
	s_wait_xcnt 0x0
	s_delay_alu instid0(VALU_DEP_1)
	v_cmpx_ne_u32_e32 0x7f800000, v32
	s_xor_b32 s19, exec_lo, s19
; %bb.53:                               ;   in Loop: Header=BB419_4 Depth=1
	v_bfe_u32 v31, v30, 16, 1
	s_delay_alu instid0(VALU_DEP_1)
	v_add3_u32 v31, v30, v31, 0x7fff
                                        ; implicit-def: $vgpr30
; %bb.54:                               ;   in Loop: Header=BB419_4 Depth=1
	s_and_not1_saveexec_b32 s19, s19
; %bb.55:                               ;   in Loop: Header=BB419_4 Depth=1
	v_and_b32_e32 v31, 0xffff, v30
	v_or_b32_e32 v32, 0x10000, v30
	s_delay_alu instid0(VALU_DEP_2) | instskip(NEXT) | instid1(VALU_DEP_2)
	v_cmp_eq_u32_e32 vcc_lo, 0, v31
	v_cndmask_b32_e32 v31, v32, v30, vcc_lo
; %bb.56:                               ;   in Loop: Header=BB419_4 Depth=1
	s_or_b32 exec_lo, exec_lo, s19
	v_mul_f32_e32 v30, s2, v12
	s_mov_b32 s19, exec_lo
	global_store_d16_hi_b16 v[28:29], v31, off offset:96
                                        ; implicit-def: $vgpr28
	v_and_b32_e32 v32, 0x7f800000, v30
	s_wait_xcnt 0x0
	s_delay_alu instid0(VALU_DEP_1)
	v_cmpx_ne_u32_e32 0x7f800000, v32
	s_xor_b32 s19, exec_lo, s19
; %bb.57:                               ;   in Loop: Header=BB419_4 Depth=1
	v_bfe_u32 v28, v30, 16, 1
	s_delay_alu instid0(VALU_DEP_1)
	v_add3_u32 v28, v30, v28, 0x7fff
                                        ; implicit-def: $vgpr30
; %bb.58:                               ;   in Loop: Header=BB419_4 Depth=1
	s_and_not1_saveexec_b32 s19, s19
; %bb.59:                               ;   in Loop: Header=BB419_4 Depth=1
	v_and_b32_e32 v28, 0xffff, v30
	v_or_b32_e32 v29, 0x10000, v30
	s_delay_alu instid0(VALU_DEP_2) | instskip(NEXT) | instid1(VALU_DEP_2)
	v_cmp_eq_u32_e32 vcc_lo, 0, v28
	v_cndmask_b32_e32 v28, v29, v30, vcc_lo
; %bb.60:                               ;   in Loop: Header=BB419_4 Depth=1
	s_or_b32 exec_lo, exec_lo, s19
	v_mul_f32_e32 v29, s2, v13
	v_lshl_add_u64 v[26:27], s[14:15], 1, v[26:27]
	s_delay_alu instid0(VALU_DEP_2) | instskip(NEXT) | instid1(VALU_DEP_2)
	v_and_b32_e32 v30, 0x7f800000, v29
	v_lshl_add_u64 v[26:27], v[0:1], 1, v[26:27]
	s_delay_alu instid0(VALU_DEP_2) | instskip(SKIP_3) | instid1(SALU_CYCLE_1)
	v_cmp_ne_u32_e32 vcc_lo, 0x7f800000, v30
	global_store_d16_hi_b16 v[26:27], v28, off
                                        ; implicit-def: $vgpr30
	s_wait_xcnt 0x0
	s_and_saveexec_b32 s19, vcc_lo
	s_xor_b32 s19, exec_lo, s19
; %bb.61:                               ;   in Loop: Header=BB419_4 Depth=1
	v_bfe_u32 v28, v29, 16, 1
	s_delay_alu instid0(VALU_DEP_1)
	v_add3_u32 v30, v29, v28, 0x7fff
                                        ; implicit-def: $vgpr29
; %bb.62:                               ;   in Loop: Header=BB419_4 Depth=1
	s_and_not1_saveexec_b32 s19, s19
; %bb.63:                               ;   in Loop: Header=BB419_4 Depth=1
	v_and_b32_e32 v28, 0xffff, v29
	v_or_b32_e32 v30, 0x10000, v29
	s_delay_alu instid0(VALU_DEP_2) | instskip(NEXT) | instid1(VALU_DEP_2)
	v_cmp_eq_u32_e32 vcc_lo, 0, v28
	v_cndmask_b32_e32 v30, v30, v29, vcc_lo
; %bb.64:                               ;   in Loop: Header=BB419_4 Depth=1
	s_or_b32 exec_lo, exec_lo, s19
	v_mul_f32_e32 v28, s2, v10
	global_store_d16_hi_b16 v[26:27], v30, off offset:32
	v_and_b32_e32 v29, 0x7f800000, v28
	s_delay_alu instid0(VALU_DEP_1) | instskip(SKIP_2) | instid1(SALU_CYCLE_1)
	v_cmp_ne_u32_e32 vcc_lo, 0x7f800000, v29
                                        ; implicit-def: $vgpr29
	s_wait_xcnt 0x0
	s_and_saveexec_b32 s19, vcc_lo
	s_xor_b32 s19, exec_lo, s19
; %bb.65:                               ;   in Loop: Header=BB419_4 Depth=1
	v_bfe_u32 v29, v28, 16, 1
	s_delay_alu instid0(VALU_DEP_1)
	v_add3_u32 v29, v28, v29, 0x7fff
                                        ; implicit-def: $vgpr28
; %bb.66:                               ;   in Loop: Header=BB419_4 Depth=1
	s_and_not1_saveexec_b32 s19, s19
; %bb.67:                               ;   in Loop: Header=BB419_4 Depth=1
	v_and_b32_e32 v29, 0xffff, v28
	v_or_b32_e32 v30, 0x10000, v28
	s_delay_alu instid0(VALU_DEP_2) | instskip(NEXT) | instid1(VALU_DEP_2)
	v_cmp_eq_u32_e32 vcc_lo, 0, v29
	v_cndmask_b32_e32 v29, v30, v28, vcc_lo
; %bb.68:                               ;   in Loop: Header=BB419_4 Depth=1
	s_or_b32 exec_lo, exec_lo, s19
	v_mul_f32_e32 v28, s2, v11
	s_mov_b32 s19, exec_lo
	global_store_d16_hi_b16 v[26:27], v29, off offset:64
                                        ; implicit-def: $vgpr29
	v_and_b32_e32 v30, 0x7f800000, v28
	s_wait_xcnt 0x0
	s_delay_alu instid0(VALU_DEP_1)
	v_cmpx_ne_u32_e32 0x7f800000, v30
	s_xor_b32 s19, exec_lo, s19
; %bb.69:                               ;   in Loop: Header=BB419_4 Depth=1
	v_bfe_u32 v29, v28, 16, 1
	s_delay_alu instid0(VALU_DEP_1)
	v_add3_u32 v29, v28, v29, 0x7fff
                                        ; implicit-def: $vgpr28
; %bb.70:                               ;   in Loop: Header=BB419_4 Depth=1
	s_and_not1_saveexec_b32 s19, s19
; %bb.71:                               ;   in Loop: Header=BB419_4 Depth=1
	v_and_b32_e32 v29, 0xffff, v28
	v_or_b32_e32 v30, 0x10000, v28
	s_delay_alu instid0(VALU_DEP_2) | instskip(NEXT) | instid1(VALU_DEP_2)
	v_cmp_eq_u32_e32 vcc_lo, 0, v29
	v_cndmask_b32_e32 v29, v30, v28, vcc_lo
; %bb.72:                               ;   in Loop: Header=BB419_4 Depth=1
	s_or_b32 exec_lo, exec_lo, s19
	global_store_d16_hi_b16 v[26:27], v29, off offset:96
	s_branch .LBB419_3
.LBB419_73:                             ;   in Loop: Header=BB419_4 Depth=1
	s_cbranch_execz .LBB419_3
; %bb.74:                               ;   in Loop: Header=BB419_4 Depth=1
	s_mul_u64 s[20:21], s[8:9], s[28:29]
	s_wait_xcnt 0x0
	v_lshl_add_u64 v[26:27], s[20:21], 1, v[4:5]
	s_delay_alu instid0(VALU_DEP_1) | instskip(SKIP_3) | instid1(VALU_DEP_1)
	v_lshl_add_u64 v[30:31], v[0:1], 1, v[26:27]
	global_load_u16 v28, v[30:31], off
	s_wait_loadcnt 0x0
	v_lshlrev_b32_e32 v28, 16, v28
	v_mul_f32_e32 v28, s30, v28
	s_delay_alu instid0(VALU_DEP_1) | instskip(NEXT) | instid1(VALU_DEP_1)
	v_and_b32_e32 v29, 0x7f800000, v28
	v_cmp_ne_u32_e32 vcc_lo, 0x7f800000, v29
                                        ; implicit-def: $vgpr29
	s_wait_xcnt 0x0
	s_and_saveexec_b32 s19, vcc_lo
	s_delay_alu instid0(SALU_CYCLE_1)
	s_xor_b32 s19, exec_lo, s19
; %bb.75:                               ;   in Loop: Header=BB419_4 Depth=1
	v_bfe_u32 v29, v28, 16, 1
	s_delay_alu instid0(VALU_DEP_1)
	v_add3_u32 v29, v28, v29, 0x7fff
                                        ; implicit-def: $vgpr28
; %bb.76:                               ;   in Loop: Header=BB419_4 Depth=1
	s_and_not1_saveexec_b32 s19, s19
; %bb.77:                               ;   in Loop: Header=BB419_4 Depth=1
	v_and_b32_e32 v29, 0xffff, v28
	v_or_b32_e32 v32, 0x10000, v28
	s_delay_alu instid0(VALU_DEP_2) | instskip(NEXT) | instid1(VALU_DEP_2)
	v_cmp_eq_u32_e32 vcc_lo, 0, v29
	v_cndmask_b32_e32 v29, v32, v28, vcc_lo
; %bb.78:                               ;   in Loop: Header=BB419_4 Depth=1
	s_or_b32 exec_lo, exec_lo, s19
	s_delay_alu instid0(VALU_DEP_1) | instskip(SKIP_1) | instid1(VALU_DEP_1)
	v_fma_mix_f32_bf16 v24, s2, v24, v29 op_sel:[0,0,1] op_sel_hi:[0,0,1]
	s_mov_b32 s19, exec_lo
                                        ; implicit-def: $vgpr38
	v_and_b32_e32 v28, 0x7f800000, v24
	s_delay_alu instid0(VALU_DEP_1)
	v_cmpx_ne_u32_e32 0x7f800000, v28
	s_xor_b32 s19, exec_lo, s19
; %bb.79:                               ;   in Loop: Header=BB419_4 Depth=1
	v_bfe_u32 v28, v24, 16, 1
	s_delay_alu instid0(VALU_DEP_1)
	v_add3_u32 v38, v24, v28, 0x7fff
                                        ; implicit-def: $vgpr24
; %bb.80:                               ;   in Loop: Header=BB419_4 Depth=1
	s_and_not1_saveexec_b32 s19, s19
; %bb.81:                               ;   in Loop: Header=BB419_4 Depth=1
	v_and_b32_e32 v28, 0xffff, v24
	v_or_b32_e32 v29, 0x10000, v24
	s_delay_alu instid0(VALU_DEP_2) | instskip(NEXT) | instid1(VALU_DEP_2)
	v_cmp_eq_u32_e32 vcc_lo, 0, v28
	v_cndmask_b32_e32 v38, v29, v24, vcc_lo
; %bb.82:                               ;   in Loop: Header=BB419_4 Depth=1
	s_or_b32 exec_lo, exec_lo, s19
	v_lshl_add_u64 v[28:29], v[2:3], 1, s[16:17]
	s_delay_alu instid0(VALU_DEP_1) | instskip(SKIP_4) | instid1(VALU_DEP_1)
	v_lshl_add_u64 v[32:33], v[0:1], 1, v[28:29]
	global_store_d16_hi_b16 v[32:33], v38, off
	global_load_u16 v24, v[30:31], off offset:32
	s_wait_loadcnt 0x0
	v_lshlrev_b32_e32 v24, 16, v24
	v_mul_f32_e32 v24, s30, v24
	s_wait_xcnt 0x1
	s_delay_alu instid0(VALU_DEP_1) | instskip(NEXT) | instid1(VALU_DEP_1)
	v_and_b32_e32 v38, 0x7f800000, v24
	v_cmp_ne_u32_e32 vcc_lo, 0x7f800000, v38
                                        ; implicit-def: $vgpr38
	s_wait_xcnt 0x0
	s_and_saveexec_b32 s16, vcc_lo
	s_delay_alu instid0(SALU_CYCLE_1)
	s_xor_b32 s16, exec_lo, s16
; %bb.83:                               ;   in Loop: Header=BB419_4 Depth=1
	v_bfe_u32 v38, v24, 16, 1
	s_delay_alu instid0(VALU_DEP_1)
	v_add3_u32 v38, v24, v38, 0x7fff
                                        ; implicit-def: $vgpr24
; %bb.84:                               ;   in Loop: Header=BB419_4 Depth=1
	s_and_not1_saveexec_b32 s16, s16
; %bb.85:                               ;   in Loop: Header=BB419_4 Depth=1
	v_and_b32_e32 v38, 0xffff, v24
	v_or_b32_e32 v39, 0x10000, v24
	s_delay_alu instid0(VALU_DEP_2) | instskip(NEXT) | instid1(VALU_DEP_2)
	v_cmp_eq_u32_e32 vcc_lo, 0, v38
	v_cndmask_b32_e32 v38, v39, v24, vcc_lo
; %bb.86:                               ;   in Loop: Header=BB419_4 Depth=1
	s_or_b32 exec_lo, exec_lo, s16
	s_delay_alu instid0(VALU_DEP_1) | instskip(NEXT) | instid1(VALU_DEP_1)
	v_fma_mix_f32_bf16 v24, s2, v25, v38 op_sel:[0,0,1] op_sel_hi:[0,0,1]
	v_and_b32_e32 v25, 0x7f800000, v24
	s_delay_alu instid0(VALU_DEP_1) | instskip(SKIP_1) | instid1(SALU_CYCLE_1)
	v_cmp_ne_u32_e32 vcc_lo, 0x7f800000, v25
                                        ; implicit-def: $vgpr25
	s_and_saveexec_b32 s16, vcc_lo
	s_xor_b32 s16, exec_lo, s16
; %bb.87:                               ;   in Loop: Header=BB419_4 Depth=1
	v_bfe_u32 v25, v24, 16, 1
	s_delay_alu instid0(VALU_DEP_1)
	v_add3_u32 v25, v24, v25, 0x7fff
                                        ; implicit-def: $vgpr24
; %bb.88:                               ;   in Loop: Header=BB419_4 Depth=1
	s_and_not1_saveexec_b32 s16, s16
; %bb.89:                               ;   in Loop: Header=BB419_4 Depth=1
	v_and_b32_e32 v25, 0xffff, v24
	v_or_b32_e32 v38, 0x10000, v24
	s_delay_alu instid0(VALU_DEP_2) | instskip(NEXT) | instid1(VALU_DEP_2)
	v_cmp_eq_u32_e32 vcc_lo, 0, v25
	v_cndmask_b32_e32 v25, v38, v24, vcc_lo
; %bb.90:                               ;   in Loop: Header=BB419_4 Depth=1
	s_or_b32 exec_lo, exec_lo, s16
	global_store_d16_hi_b16 v[32:33], v25, off offset:32
	global_load_u16 v24, v[30:31], off offset:64
	s_wait_loadcnt 0x0
	v_lshlrev_b32_e32 v24, 16, v24
	s_delay_alu instid0(VALU_DEP_1) | instskip(SKIP_1) | instid1(VALU_DEP_1)
	v_mul_f32_e32 v24, s30, v24
	s_wait_xcnt 0x1
	v_and_b32_e32 v25, 0x7f800000, v24
	s_delay_alu instid0(VALU_DEP_1) | instskip(SKIP_2) | instid1(SALU_CYCLE_1)
	v_cmp_ne_u32_e32 vcc_lo, 0x7f800000, v25
                                        ; implicit-def: $vgpr25
	s_wait_xcnt 0x0
	s_and_saveexec_b32 s16, vcc_lo
	s_xor_b32 s16, exec_lo, s16
; %bb.91:                               ;   in Loop: Header=BB419_4 Depth=1
	v_bfe_u32 v25, v24, 16, 1
	s_delay_alu instid0(VALU_DEP_1)
	v_add3_u32 v25, v24, v25, 0x7fff
                                        ; implicit-def: $vgpr24
; %bb.92:                               ;   in Loop: Header=BB419_4 Depth=1
	s_and_not1_saveexec_b32 s16, s16
; %bb.93:                               ;   in Loop: Header=BB419_4 Depth=1
	v_and_b32_e32 v25, 0xffff, v24
	v_or_b32_e32 v38, 0x10000, v24
	s_delay_alu instid0(VALU_DEP_2) | instskip(NEXT) | instid1(VALU_DEP_2)
	v_cmp_eq_u32_e32 vcc_lo, 0, v25
	v_cndmask_b32_e32 v25, v38, v24, vcc_lo
; %bb.94:                               ;   in Loop: Header=BB419_4 Depth=1
	s_or_b32 exec_lo, exec_lo, s16
	s_delay_alu instid0(VALU_DEP_1) | instskip(NEXT) | instid1(VALU_DEP_1)
	v_fma_mix_f32_bf16 v22, s2, v22, v25 op_sel:[0,0,1] op_sel_hi:[0,0,1]
	v_and_b32_e32 v24, 0x7f800000, v22
	s_delay_alu instid0(VALU_DEP_1) | instskip(SKIP_1) | instid1(SALU_CYCLE_1)
	v_cmp_ne_u32_e32 vcc_lo, 0x7f800000, v24
                                        ; implicit-def: $vgpr24
	s_and_saveexec_b32 s16, vcc_lo
	s_xor_b32 s16, exec_lo, s16
; %bb.95:                               ;   in Loop: Header=BB419_4 Depth=1
	v_bfe_u32 v24, v22, 16, 1
	s_delay_alu instid0(VALU_DEP_1)
	v_add3_u32 v24, v22, v24, 0x7fff
                                        ; implicit-def: $vgpr22
; %bb.96:                               ;   in Loop: Header=BB419_4 Depth=1
	s_and_not1_saveexec_b32 s16, s16
; %bb.97:                               ;   in Loop: Header=BB419_4 Depth=1
	v_and_b32_e32 v24, 0xffff, v22
	v_or_b32_e32 v25, 0x10000, v22
	s_delay_alu instid0(VALU_DEP_2) | instskip(NEXT) | instid1(VALU_DEP_2)
	v_cmp_eq_u32_e32 vcc_lo, 0, v24
	v_cndmask_b32_e32 v24, v25, v22, vcc_lo
; %bb.98:                               ;   in Loop: Header=BB419_4 Depth=1
	s_or_b32 exec_lo, exec_lo, s16
	global_store_d16_hi_b16 v[32:33], v24, off offset:64
	global_load_u16 v22, v[30:31], off offset:96
	s_wait_loadcnt 0x0
	v_lshlrev_b32_e32 v22, 16, v22
	s_delay_alu instid0(VALU_DEP_1) | instskip(SKIP_1) | instid1(VALU_DEP_1)
	v_mul_f32_e32 v22, s30, v22
	s_wait_xcnt 0x1
	v_and_b32_e32 v24, 0x7f800000, v22
	s_delay_alu instid0(VALU_DEP_1) | instskip(SKIP_2) | instid1(SALU_CYCLE_1)
	v_cmp_ne_u32_e32 vcc_lo, 0x7f800000, v24
                                        ; implicit-def: $vgpr24
	s_wait_xcnt 0x0
	s_and_saveexec_b32 s16, vcc_lo
	s_xor_b32 s16, exec_lo, s16
; %bb.99:                               ;   in Loop: Header=BB419_4 Depth=1
	v_bfe_u32 v24, v22, 16, 1
	s_delay_alu instid0(VALU_DEP_1)
	v_add3_u32 v24, v22, v24, 0x7fff
                                        ; implicit-def: $vgpr22
; %bb.100:                              ;   in Loop: Header=BB419_4 Depth=1
	s_and_not1_saveexec_b32 s16, s16
; %bb.101:                              ;   in Loop: Header=BB419_4 Depth=1
	v_and_b32_e32 v24, 0xffff, v22
	v_or_b32_e32 v25, 0x10000, v22
	s_delay_alu instid0(VALU_DEP_2) | instskip(NEXT) | instid1(VALU_DEP_2)
	v_cmp_eq_u32_e32 vcc_lo, 0, v24
	v_cndmask_b32_e32 v24, v25, v22, vcc_lo
; %bb.102:                              ;   in Loop: Header=BB419_4 Depth=1
	s_or_b32 exec_lo, exec_lo, s16
	s_delay_alu instid0(VALU_DEP_1) | instskip(SKIP_1) | instid1(VALU_DEP_1)
	v_fma_mix_f32_bf16 v22, s2, v23, v24 op_sel:[0,0,1] op_sel_hi:[0,0,1]
	s_mov_b32 s16, exec_lo
                                        ; implicit-def: $vgpr24
	v_and_b32_e32 v23, 0x7f800000, v22
	s_delay_alu instid0(VALU_DEP_1)
	v_cmpx_ne_u32_e32 0x7f800000, v23
	s_xor_b32 s16, exec_lo, s16
; %bb.103:                              ;   in Loop: Header=BB419_4 Depth=1
	v_bfe_u32 v23, v22, 16, 1
	s_delay_alu instid0(VALU_DEP_1)
	v_add3_u32 v24, v22, v23, 0x7fff
                                        ; implicit-def: $vgpr22
; %bb.104:                              ;   in Loop: Header=BB419_4 Depth=1
	s_and_not1_saveexec_b32 s16, s16
; %bb.105:                              ;   in Loop: Header=BB419_4 Depth=1
	v_and_b32_e32 v23, 0xffff, v22
	v_or_b32_e32 v24, 0x10000, v22
	s_delay_alu instid0(VALU_DEP_2) | instskip(NEXT) | instid1(VALU_DEP_2)
	v_cmp_eq_u32_e32 vcc_lo, 0, v23
	v_cndmask_b32_e32 v24, v24, v22, vcc_lo
; %bb.106:                              ;   in Loop: Header=BB419_4 Depth=1
	s_or_b32 exec_lo, exec_lo, s16
	v_lshl_add_u64 v[22:23], s[4:5], 1, v[26:27]
	global_store_d16_hi_b16 v[32:33], v24, off offset:96
	v_lshl_add_u64 v[26:27], v[0:1], 1, v[22:23]
	global_load_u16 v24, v[26:27], off
	s_wait_loadcnt 0x0
	v_lshlrev_b32_e32 v24, 16, v24
	s_delay_alu instid0(VALU_DEP_1) | instskip(NEXT) | instid1(VALU_DEP_1)
	v_mul_f32_e32 v24, s30, v24
	v_and_b32_e32 v25, 0x7f800000, v24
	s_delay_alu instid0(VALU_DEP_1) | instskip(SKIP_2) | instid1(SALU_CYCLE_1)
	v_cmp_ne_u32_e32 vcc_lo, 0x7f800000, v25
                                        ; implicit-def: $vgpr25
	s_wait_xcnt 0x0
	s_and_saveexec_b32 s16, vcc_lo
	s_xor_b32 s16, exec_lo, s16
; %bb.107:                              ;   in Loop: Header=BB419_4 Depth=1
	v_bfe_u32 v25, v24, 16, 1
	s_delay_alu instid0(VALU_DEP_1)
	v_add3_u32 v25, v24, v25, 0x7fff
                                        ; implicit-def: $vgpr24
; %bb.108:                              ;   in Loop: Header=BB419_4 Depth=1
	s_and_not1_saveexec_b32 s16, s16
; %bb.109:                              ;   in Loop: Header=BB419_4 Depth=1
	v_and_b32_e32 v25, 0xffff, v24
	v_or_b32_e32 v30, 0x10000, v24
	s_delay_alu instid0(VALU_DEP_2) | instskip(NEXT) | instid1(VALU_DEP_2)
	v_cmp_eq_u32_e32 vcc_lo, 0, v25
	v_cndmask_b32_e32 v25, v30, v24, vcc_lo
; %bb.110:                              ;   in Loop: Header=BB419_4 Depth=1
	s_or_b32 exec_lo, exec_lo, s16
	s_delay_alu instid0(VALU_DEP_1) | instskip(SKIP_1) | instid1(VALU_DEP_1)
	v_fma_mix_f32_bf16 v20, s2, v20, v25 op_sel:[0,0,1] op_sel_hi:[0,0,1]
	s_mov_b32 s16, exec_lo
                                        ; implicit-def: $vgpr30
	v_and_b32_e32 v24, 0x7f800000, v20
	s_delay_alu instid0(VALU_DEP_1)
	v_cmpx_ne_u32_e32 0x7f800000, v24
	s_xor_b32 s16, exec_lo, s16
; %bb.111:                              ;   in Loop: Header=BB419_4 Depth=1
	v_bfe_u32 v24, v20, 16, 1
	s_delay_alu instid0(VALU_DEP_1)
	v_add3_u32 v30, v20, v24, 0x7fff
                                        ; implicit-def: $vgpr20
; %bb.112:                              ;   in Loop: Header=BB419_4 Depth=1
	s_and_not1_saveexec_b32 s16, s16
; %bb.113:                              ;   in Loop: Header=BB419_4 Depth=1
	v_and_b32_e32 v24, 0xffff, v20
	v_or_b32_e32 v25, 0x10000, v20
	s_delay_alu instid0(VALU_DEP_2) | instskip(NEXT) | instid1(VALU_DEP_2)
	v_cmp_eq_u32_e32 vcc_lo, 0, v24
	v_cndmask_b32_e32 v30, v25, v20, vcc_lo
; %bb.114:                              ;   in Loop: Header=BB419_4 Depth=1
	s_or_b32 exec_lo, exec_lo, s16
	v_lshl_add_u64 v[24:25], s[14:15], 1, v[28:29]
	s_delay_alu instid0(VALU_DEP_1) | instskip(SKIP_4) | instid1(VALU_DEP_1)
	v_lshl_add_u64 v[28:29], v[0:1], 1, v[24:25]
	global_store_d16_hi_b16 v[28:29], v30, off
	global_load_u16 v20, v[26:27], off offset:32
	s_wait_loadcnt 0x0
	v_lshlrev_b32_e32 v20, 16, v20
	v_mul_f32_e32 v20, s30, v20
	s_wait_xcnt 0x1
	s_delay_alu instid0(VALU_DEP_1) | instskip(NEXT) | instid1(VALU_DEP_1)
	v_and_b32_e32 v30, 0x7f800000, v20
	v_cmp_ne_u32_e32 vcc_lo, 0x7f800000, v30
                                        ; implicit-def: $vgpr30
	s_wait_xcnt 0x0
	s_and_saveexec_b32 s16, vcc_lo
	s_delay_alu instid0(SALU_CYCLE_1)
	s_xor_b32 s16, exec_lo, s16
; %bb.115:                              ;   in Loop: Header=BB419_4 Depth=1
	v_bfe_u32 v30, v20, 16, 1
	s_delay_alu instid0(VALU_DEP_1)
	v_add3_u32 v30, v20, v30, 0x7fff
                                        ; implicit-def: $vgpr20
; %bb.116:                              ;   in Loop: Header=BB419_4 Depth=1
	s_and_not1_saveexec_b32 s16, s16
; %bb.117:                              ;   in Loop: Header=BB419_4 Depth=1
	v_and_b32_e32 v30, 0xffff, v20
	v_or_b32_e32 v31, 0x10000, v20
	s_delay_alu instid0(VALU_DEP_2) | instskip(NEXT) | instid1(VALU_DEP_2)
	v_cmp_eq_u32_e32 vcc_lo, 0, v30
	v_cndmask_b32_e32 v30, v31, v20, vcc_lo
; %bb.118:                              ;   in Loop: Header=BB419_4 Depth=1
	s_or_b32 exec_lo, exec_lo, s16
	s_delay_alu instid0(VALU_DEP_1) | instskip(NEXT) | instid1(VALU_DEP_1)
	v_fma_mix_f32_bf16 v20, s2, v21, v30 op_sel:[0,0,1] op_sel_hi:[0,0,1]
	v_and_b32_e32 v21, 0x7f800000, v20
	s_delay_alu instid0(VALU_DEP_1) | instskip(SKIP_1) | instid1(SALU_CYCLE_1)
	v_cmp_ne_u32_e32 vcc_lo, 0x7f800000, v21
                                        ; implicit-def: $vgpr21
	s_and_saveexec_b32 s16, vcc_lo
	s_xor_b32 s16, exec_lo, s16
; %bb.119:                              ;   in Loop: Header=BB419_4 Depth=1
	v_bfe_u32 v21, v20, 16, 1
	s_delay_alu instid0(VALU_DEP_1)
	v_add3_u32 v21, v20, v21, 0x7fff
                                        ; implicit-def: $vgpr20
; %bb.120:                              ;   in Loop: Header=BB419_4 Depth=1
	s_and_not1_saveexec_b32 s16, s16
; %bb.121:                              ;   in Loop: Header=BB419_4 Depth=1
	v_and_b32_e32 v21, 0xffff, v20
	v_or_b32_e32 v30, 0x10000, v20
	s_delay_alu instid0(VALU_DEP_2) | instskip(NEXT) | instid1(VALU_DEP_2)
	v_cmp_eq_u32_e32 vcc_lo, 0, v21
	v_cndmask_b32_e32 v21, v30, v20, vcc_lo
; %bb.122:                              ;   in Loop: Header=BB419_4 Depth=1
	s_or_b32 exec_lo, exec_lo, s16
	global_store_d16_hi_b16 v[28:29], v21, off offset:32
	global_load_u16 v20, v[26:27], off offset:64
	s_wait_loadcnt 0x0
	v_lshlrev_b32_e32 v20, 16, v20
	s_delay_alu instid0(VALU_DEP_1) | instskip(SKIP_1) | instid1(VALU_DEP_1)
	v_mul_f32_e32 v20, s30, v20
	s_wait_xcnt 0x1
	v_and_b32_e32 v21, 0x7f800000, v20
	s_delay_alu instid0(VALU_DEP_1) | instskip(SKIP_2) | instid1(SALU_CYCLE_1)
	v_cmp_ne_u32_e32 vcc_lo, 0x7f800000, v21
                                        ; implicit-def: $vgpr21
	s_wait_xcnt 0x0
	s_and_saveexec_b32 s16, vcc_lo
	s_xor_b32 s16, exec_lo, s16
; %bb.123:                              ;   in Loop: Header=BB419_4 Depth=1
	v_bfe_u32 v21, v20, 16, 1
	s_delay_alu instid0(VALU_DEP_1)
	v_add3_u32 v21, v20, v21, 0x7fff
                                        ; implicit-def: $vgpr20
; %bb.124:                              ;   in Loop: Header=BB419_4 Depth=1
	s_and_not1_saveexec_b32 s16, s16
; %bb.125:                              ;   in Loop: Header=BB419_4 Depth=1
	v_and_b32_e32 v21, 0xffff, v20
	v_or_b32_e32 v30, 0x10000, v20
	s_delay_alu instid0(VALU_DEP_2) | instskip(NEXT) | instid1(VALU_DEP_2)
	v_cmp_eq_u32_e32 vcc_lo, 0, v21
	v_cndmask_b32_e32 v21, v30, v20, vcc_lo
; %bb.126:                              ;   in Loop: Header=BB419_4 Depth=1
	s_or_b32 exec_lo, exec_lo, s16
	s_delay_alu instid0(VALU_DEP_1) | instskip(NEXT) | instid1(VALU_DEP_1)
	v_fma_mix_f32_bf16 v18, s2, v18, v21 op_sel:[0,0,1] op_sel_hi:[0,0,1]
	v_and_b32_e32 v20, 0x7f800000, v18
	s_delay_alu instid0(VALU_DEP_1) | instskip(SKIP_1) | instid1(SALU_CYCLE_1)
	v_cmp_ne_u32_e32 vcc_lo, 0x7f800000, v20
                                        ; implicit-def: $vgpr20
	s_and_saveexec_b32 s16, vcc_lo
	s_xor_b32 s16, exec_lo, s16
; %bb.127:                              ;   in Loop: Header=BB419_4 Depth=1
	v_bfe_u32 v20, v18, 16, 1
	s_delay_alu instid0(VALU_DEP_1)
	v_add3_u32 v20, v18, v20, 0x7fff
                                        ; implicit-def: $vgpr18
; %bb.128:                              ;   in Loop: Header=BB419_4 Depth=1
	s_and_not1_saveexec_b32 s16, s16
; %bb.129:                              ;   in Loop: Header=BB419_4 Depth=1
	v_and_b32_e32 v20, 0xffff, v18
	v_or_b32_e32 v21, 0x10000, v18
	s_delay_alu instid0(VALU_DEP_2) | instskip(NEXT) | instid1(VALU_DEP_2)
	v_cmp_eq_u32_e32 vcc_lo, 0, v20
	v_cndmask_b32_e32 v20, v21, v18, vcc_lo
; %bb.130:                              ;   in Loop: Header=BB419_4 Depth=1
	s_or_b32 exec_lo, exec_lo, s16
	global_store_d16_hi_b16 v[28:29], v20, off offset:64
	global_load_u16 v18, v[26:27], off offset:96
	s_wait_loadcnt 0x0
	v_lshlrev_b32_e32 v18, 16, v18
	s_delay_alu instid0(VALU_DEP_1) | instskip(SKIP_1) | instid1(VALU_DEP_1)
	v_mul_f32_e32 v18, s30, v18
	s_wait_xcnt 0x1
	v_and_b32_e32 v20, 0x7f800000, v18
	s_delay_alu instid0(VALU_DEP_1) | instskip(SKIP_2) | instid1(SALU_CYCLE_1)
	v_cmp_ne_u32_e32 vcc_lo, 0x7f800000, v20
                                        ; implicit-def: $vgpr20
	s_wait_xcnt 0x0
	s_and_saveexec_b32 s16, vcc_lo
	s_xor_b32 s16, exec_lo, s16
; %bb.131:                              ;   in Loop: Header=BB419_4 Depth=1
	v_bfe_u32 v20, v18, 16, 1
	s_delay_alu instid0(VALU_DEP_1)
	v_add3_u32 v20, v18, v20, 0x7fff
                                        ; implicit-def: $vgpr18
; %bb.132:                              ;   in Loop: Header=BB419_4 Depth=1
	s_and_not1_saveexec_b32 s16, s16
; %bb.133:                              ;   in Loop: Header=BB419_4 Depth=1
	v_and_b32_e32 v20, 0xffff, v18
	v_or_b32_e32 v21, 0x10000, v18
	s_delay_alu instid0(VALU_DEP_2) | instskip(NEXT) | instid1(VALU_DEP_2)
	v_cmp_eq_u32_e32 vcc_lo, 0, v20
	v_cndmask_b32_e32 v20, v21, v18, vcc_lo
; %bb.134:                              ;   in Loop: Header=BB419_4 Depth=1
	s_or_b32 exec_lo, exec_lo, s16
	s_delay_alu instid0(VALU_DEP_1) | instskip(SKIP_1) | instid1(VALU_DEP_1)
	v_fma_mix_f32_bf16 v18, s2, v19, v20 op_sel:[0,0,1] op_sel_hi:[0,0,1]
	s_mov_b32 s16, exec_lo
                                        ; implicit-def: $vgpr20
	v_and_b32_e32 v19, 0x7f800000, v18
	s_delay_alu instid0(VALU_DEP_1)
	v_cmpx_ne_u32_e32 0x7f800000, v19
	s_xor_b32 s16, exec_lo, s16
; %bb.135:                              ;   in Loop: Header=BB419_4 Depth=1
	v_bfe_u32 v19, v18, 16, 1
	s_delay_alu instid0(VALU_DEP_1)
	v_add3_u32 v20, v18, v19, 0x7fff
                                        ; implicit-def: $vgpr18
; %bb.136:                              ;   in Loop: Header=BB419_4 Depth=1
	s_and_not1_saveexec_b32 s16, s16
; %bb.137:                              ;   in Loop: Header=BB419_4 Depth=1
	v_and_b32_e32 v19, 0xffff, v18
	v_or_b32_e32 v20, 0x10000, v18
	s_delay_alu instid0(VALU_DEP_2) | instskip(NEXT) | instid1(VALU_DEP_2)
	v_cmp_eq_u32_e32 vcc_lo, 0, v19
	v_cndmask_b32_e32 v20, v20, v18, vcc_lo
; %bb.138:                              ;   in Loop: Header=BB419_4 Depth=1
	s_or_b32 exec_lo, exec_lo, s16
	v_lshl_add_u64 v[18:19], s[4:5], 1, v[22:23]
	global_store_d16_hi_b16 v[28:29], v20, off offset:96
	v_lshl_add_u64 v[22:23], v[0:1], 1, v[18:19]
	global_load_u16 v20, v[22:23], off
	s_wait_loadcnt 0x0
	v_lshlrev_b32_e32 v20, 16, v20
	s_delay_alu instid0(VALU_DEP_1) | instskip(NEXT) | instid1(VALU_DEP_1)
	v_mul_f32_e32 v20, s30, v20
	v_and_b32_e32 v21, 0x7f800000, v20
	s_delay_alu instid0(VALU_DEP_1) | instskip(SKIP_2) | instid1(SALU_CYCLE_1)
	v_cmp_ne_u32_e32 vcc_lo, 0x7f800000, v21
                                        ; implicit-def: $vgpr21
	s_wait_xcnt 0x0
	s_and_saveexec_b32 s16, vcc_lo
	s_xor_b32 s16, exec_lo, s16
; %bb.139:                              ;   in Loop: Header=BB419_4 Depth=1
	v_bfe_u32 v21, v20, 16, 1
	s_delay_alu instid0(VALU_DEP_1)
	v_add3_u32 v21, v20, v21, 0x7fff
                                        ; implicit-def: $vgpr20
; %bb.140:                              ;   in Loop: Header=BB419_4 Depth=1
	s_and_not1_saveexec_b32 s16, s16
; %bb.141:                              ;   in Loop: Header=BB419_4 Depth=1
	v_and_b32_e32 v21, 0xffff, v20
	v_or_b32_e32 v26, 0x10000, v20
	s_delay_alu instid0(VALU_DEP_2) | instskip(NEXT) | instid1(VALU_DEP_2)
	v_cmp_eq_u32_e32 vcc_lo, 0, v21
	v_cndmask_b32_e32 v21, v26, v20, vcc_lo
; %bb.142:                              ;   in Loop: Header=BB419_4 Depth=1
	s_or_b32 exec_lo, exec_lo, s16
	s_delay_alu instid0(VALU_DEP_1) | instskip(SKIP_1) | instid1(VALU_DEP_1)
	v_fma_mix_f32_bf16 v16, s2, v16, v21 op_sel:[0,0,1] op_sel_hi:[0,0,1]
	s_mov_b32 s16, exec_lo
                                        ; implicit-def: $vgpr26
	v_and_b32_e32 v20, 0x7f800000, v16
	s_delay_alu instid0(VALU_DEP_1)
	v_cmpx_ne_u32_e32 0x7f800000, v20
	s_xor_b32 s16, exec_lo, s16
; %bb.143:                              ;   in Loop: Header=BB419_4 Depth=1
	v_bfe_u32 v20, v16, 16, 1
	s_delay_alu instid0(VALU_DEP_1)
	v_add3_u32 v26, v16, v20, 0x7fff
                                        ; implicit-def: $vgpr16
; %bb.144:                              ;   in Loop: Header=BB419_4 Depth=1
	s_and_not1_saveexec_b32 s16, s16
; %bb.145:                              ;   in Loop: Header=BB419_4 Depth=1
	v_and_b32_e32 v20, 0xffff, v16
	v_or_b32_e32 v21, 0x10000, v16
	s_delay_alu instid0(VALU_DEP_2) | instskip(NEXT) | instid1(VALU_DEP_2)
	v_cmp_eq_u32_e32 vcc_lo, 0, v20
	v_cndmask_b32_e32 v26, v21, v16, vcc_lo
; %bb.146:                              ;   in Loop: Header=BB419_4 Depth=1
	s_or_b32 exec_lo, exec_lo, s16
	v_lshl_add_u64 v[20:21], s[14:15], 1, v[24:25]
	s_delay_alu instid0(VALU_DEP_1) | instskip(SKIP_4) | instid1(VALU_DEP_1)
	v_lshl_add_u64 v[24:25], v[0:1], 1, v[20:21]
	global_store_d16_hi_b16 v[24:25], v26, off
	global_load_u16 v16, v[22:23], off offset:32
	s_wait_loadcnt 0x0
	v_lshlrev_b32_e32 v16, 16, v16
	v_mul_f32_e32 v16, s30, v16
	s_wait_xcnt 0x1
	s_delay_alu instid0(VALU_DEP_1) | instskip(NEXT) | instid1(VALU_DEP_1)
	v_and_b32_e32 v26, 0x7f800000, v16
	v_cmp_ne_u32_e32 vcc_lo, 0x7f800000, v26
                                        ; implicit-def: $vgpr26
	s_wait_xcnt 0x0
	s_and_saveexec_b32 s16, vcc_lo
	s_delay_alu instid0(SALU_CYCLE_1)
	s_xor_b32 s16, exec_lo, s16
; %bb.147:                              ;   in Loop: Header=BB419_4 Depth=1
	v_bfe_u32 v26, v16, 16, 1
	s_delay_alu instid0(VALU_DEP_1)
	v_add3_u32 v26, v16, v26, 0x7fff
                                        ; implicit-def: $vgpr16
; %bb.148:                              ;   in Loop: Header=BB419_4 Depth=1
	s_and_not1_saveexec_b32 s16, s16
; %bb.149:                              ;   in Loop: Header=BB419_4 Depth=1
	v_and_b32_e32 v26, 0xffff, v16
	v_or_b32_e32 v27, 0x10000, v16
	s_delay_alu instid0(VALU_DEP_2) | instskip(NEXT) | instid1(VALU_DEP_2)
	v_cmp_eq_u32_e32 vcc_lo, 0, v26
	v_cndmask_b32_e32 v26, v27, v16, vcc_lo
; %bb.150:                              ;   in Loop: Header=BB419_4 Depth=1
	s_or_b32 exec_lo, exec_lo, s16
	s_delay_alu instid0(VALU_DEP_1) | instskip(NEXT) | instid1(VALU_DEP_1)
	v_fma_mix_f32_bf16 v16, s2, v17, v26 op_sel:[0,0,1] op_sel_hi:[0,0,1]
	v_and_b32_e32 v17, 0x7f800000, v16
	s_delay_alu instid0(VALU_DEP_1) | instskip(SKIP_1) | instid1(SALU_CYCLE_1)
	v_cmp_ne_u32_e32 vcc_lo, 0x7f800000, v17
                                        ; implicit-def: $vgpr17
	s_and_saveexec_b32 s16, vcc_lo
	s_xor_b32 s16, exec_lo, s16
; %bb.151:                              ;   in Loop: Header=BB419_4 Depth=1
	v_bfe_u32 v17, v16, 16, 1
	s_delay_alu instid0(VALU_DEP_1)
	v_add3_u32 v17, v16, v17, 0x7fff
                                        ; implicit-def: $vgpr16
; %bb.152:                              ;   in Loop: Header=BB419_4 Depth=1
	s_and_not1_saveexec_b32 s16, s16
; %bb.153:                              ;   in Loop: Header=BB419_4 Depth=1
	v_and_b32_e32 v17, 0xffff, v16
	v_or_b32_e32 v26, 0x10000, v16
	s_delay_alu instid0(VALU_DEP_2) | instskip(NEXT) | instid1(VALU_DEP_2)
	v_cmp_eq_u32_e32 vcc_lo, 0, v17
	v_cndmask_b32_e32 v17, v26, v16, vcc_lo
; %bb.154:                              ;   in Loop: Header=BB419_4 Depth=1
	s_or_b32 exec_lo, exec_lo, s16
	global_store_d16_hi_b16 v[24:25], v17, off offset:32
	global_load_u16 v16, v[22:23], off offset:64
	s_wait_loadcnt 0x0
	v_lshlrev_b32_e32 v16, 16, v16
	s_delay_alu instid0(VALU_DEP_1) | instskip(SKIP_1) | instid1(VALU_DEP_1)
	v_mul_f32_e32 v16, s30, v16
	s_wait_xcnt 0x1
	v_and_b32_e32 v17, 0x7f800000, v16
	s_delay_alu instid0(VALU_DEP_1) | instskip(SKIP_2) | instid1(SALU_CYCLE_1)
	v_cmp_ne_u32_e32 vcc_lo, 0x7f800000, v17
                                        ; implicit-def: $vgpr17
	s_wait_xcnt 0x0
	s_and_saveexec_b32 s16, vcc_lo
	s_xor_b32 s16, exec_lo, s16
; %bb.155:                              ;   in Loop: Header=BB419_4 Depth=1
	v_bfe_u32 v17, v16, 16, 1
	s_delay_alu instid0(VALU_DEP_1)
	v_add3_u32 v17, v16, v17, 0x7fff
                                        ; implicit-def: $vgpr16
; %bb.156:                              ;   in Loop: Header=BB419_4 Depth=1
	s_and_not1_saveexec_b32 s16, s16
; %bb.157:                              ;   in Loop: Header=BB419_4 Depth=1
	v_and_b32_e32 v17, 0xffff, v16
	v_or_b32_e32 v26, 0x10000, v16
	s_delay_alu instid0(VALU_DEP_2) | instskip(NEXT) | instid1(VALU_DEP_2)
	v_cmp_eq_u32_e32 vcc_lo, 0, v17
	v_cndmask_b32_e32 v17, v26, v16, vcc_lo
; %bb.158:                              ;   in Loop: Header=BB419_4 Depth=1
	s_or_b32 exec_lo, exec_lo, s16
	s_delay_alu instid0(VALU_DEP_1) | instskip(NEXT) | instid1(VALU_DEP_1)
	v_fma_mix_f32_bf16 v14, s2, v14, v17 op_sel:[0,0,1] op_sel_hi:[0,0,1]
	v_and_b32_e32 v16, 0x7f800000, v14
	s_delay_alu instid0(VALU_DEP_1) | instskip(SKIP_1) | instid1(SALU_CYCLE_1)
	v_cmp_ne_u32_e32 vcc_lo, 0x7f800000, v16
                                        ; implicit-def: $vgpr16
	s_and_saveexec_b32 s16, vcc_lo
	s_xor_b32 s16, exec_lo, s16
; %bb.159:                              ;   in Loop: Header=BB419_4 Depth=1
	v_bfe_u32 v16, v14, 16, 1
	s_delay_alu instid0(VALU_DEP_1)
	v_add3_u32 v16, v14, v16, 0x7fff
                                        ; implicit-def: $vgpr14
; %bb.160:                              ;   in Loop: Header=BB419_4 Depth=1
	s_and_not1_saveexec_b32 s16, s16
; %bb.161:                              ;   in Loop: Header=BB419_4 Depth=1
	v_and_b32_e32 v16, 0xffff, v14
	v_or_b32_e32 v17, 0x10000, v14
	s_delay_alu instid0(VALU_DEP_2) | instskip(NEXT) | instid1(VALU_DEP_2)
	v_cmp_eq_u32_e32 vcc_lo, 0, v16
	v_cndmask_b32_e32 v16, v17, v14, vcc_lo
; %bb.162:                              ;   in Loop: Header=BB419_4 Depth=1
	s_or_b32 exec_lo, exec_lo, s16
	global_store_d16_hi_b16 v[24:25], v16, off offset:64
	global_load_u16 v14, v[22:23], off offset:96
	s_wait_loadcnt 0x0
	v_lshlrev_b32_e32 v14, 16, v14
	s_delay_alu instid0(VALU_DEP_1) | instskip(SKIP_1) | instid1(VALU_DEP_1)
	v_mul_f32_e32 v14, s30, v14
	s_wait_xcnt 0x1
	v_and_b32_e32 v16, 0x7f800000, v14
	s_delay_alu instid0(VALU_DEP_1) | instskip(SKIP_2) | instid1(SALU_CYCLE_1)
	v_cmp_ne_u32_e32 vcc_lo, 0x7f800000, v16
                                        ; implicit-def: $vgpr16
	s_wait_xcnt 0x0
	s_and_saveexec_b32 s16, vcc_lo
	s_xor_b32 s16, exec_lo, s16
; %bb.163:                              ;   in Loop: Header=BB419_4 Depth=1
	v_bfe_u32 v16, v14, 16, 1
	s_delay_alu instid0(VALU_DEP_1)
	v_add3_u32 v16, v14, v16, 0x7fff
                                        ; implicit-def: $vgpr14
; %bb.164:                              ;   in Loop: Header=BB419_4 Depth=1
	s_and_not1_saveexec_b32 s16, s16
; %bb.165:                              ;   in Loop: Header=BB419_4 Depth=1
	v_and_b32_e32 v16, 0xffff, v14
	v_or_b32_e32 v17, 0x10000, v14
	s_delay_alu instid0(VALU_DEP_2) | instskip(NEXT) | instid1(VALU_DEP_2)
	v_cmp_eq_u32_e32 vcc_lo, 0, v16
	v_cndmask_b32_e32 v16, v17, v14, vcc_lo
; %bb.166:                              ;   in Loop: Header=BB419_4 Depth=1
	s_or_b32 exec_lo, exec_lo, s16
	s_delay_alu instid0(VALU_DEP_1) | instskip(SKIP_1) | instid1(VALU_DEP_1)
	v_fma_mix_f32_bf16 v14, s2, v15, v16 op_sel:[0,0,1] op_sel_hi:[0,0,1]
	s_mov_b32 s16, exec_lo
                                        ; implicit-def: $vgpr16
	v_and_b32_e32 v15, 0x7f800000, v14
	s_delay_alu instid0(VALU_DEP_1)
	v_cmpx_ne_u32_e32 0x7f800000, v15
	s_xor_b32 s16, exec_lo, s16
; %bb.167:                              ;   in Loop: Header=BB419_4 Depth=1
	v_bfe_u32 v15, v14, 16, 1
	s_delay_alu instid0(VALU_DEP_1)
	v_add3_u32 v16, v14, v15, 0x7fff
                                        ; implicit-def: $vgpr14
; %bb.168:                              ;   in Loop: Header=BB419_4 Depth=1
	s_and_not1_saveexec_b32 s16, s16
; %bb.169:                              ;   in Loop: Header=BB419_4 Depth=1
	v_and_b32_e32 v15, 0xffff, v14
	v_or_b32_e32 v16, 0x10000, v14
	s_delay_alu instid0(VALU_DEP_2) | instskip(NEXT) | instid1(VALU_DEP_2)
	v_cmp_eq_u32_e32 vcc_lo, 0, v15
	v_cndmask_b32_e32 v16, v16, v14, vcc_lo
; %bb.170:                              ;   in Loop: Header=BB419_4 Depth=1
	s_or_b32 exec_lo, exec_lo, s16
	v_lshl_add_u64 v[14:15], s[4:5], 1, v[18:19]
	global_store_d16_hi_b16 v[24:25], v16, off offset:96
	v_lshl_add_u64 v[14:15], v[0:1], 1, v[14:15]
	global_load_u16 v16, v[14:15], off
	s_wait_loadcnt 0x0
	v_lshlrev_b32_e32 v16, 16, v16
	s_delay_alu instid0(VALU_DEP_1) | instskip(NEXT) | instid1(VALU_DEP_1)
	v_mul_f32_e32 v16, s30, v16
	v_and_b32_e32 v17, 0x7f800000, v16
	s_delay_alu instid0(VALU_DEP_1) | instskip(SKIP_2) | instid1(SALU_CYCLE_1)
	v_cmp_ne_u32_e32 vcc_lo, 0x7f800000, v17
                                        ; implicit-def: $vgpr17
	s_wait_xcnt 0x0
	s_and_saveexec_b32 s16, vcc_lo
	s_xor_b32 s16, exec_lo, s16
; %bb.171:                              ;   in Loop: Header=BB419_4 Depth=1
	v_bfe_u32 v17, v16, 16, 1
	s_delay_alu instid0(VALU_DEP_1)
	v_add3_u32 v17, v16, v17, 0x7fff
                                        ; implicit-def: $vgpr16
; %bb.172:                              ;   in Loop: Header=BB419_4 Depth=1
	s_and_not1_saveexec_b32 s16, s16
; %bb.173:                              ;   in Loop: Header=BB419_4 Depth=1
	v_and_b32_e32 v17, 0xffff, v16
	v_or_b32_e32 v18, 0x10000, v16
	s_delay_alu instid0(VALU_DEP_2) | instskip(NEXT) | instid1(VALU_DEP_2)
	v_cmp_eq_u32_e32 vcc_lo, 0, v17
	v_cndmask_b32_e32 v17, v18, v16, vcc_lo
; %bb.174:                              ;   in Loop: Header=BB419_4 Depth=1
	s_or_b32 exec_lo, exec_lo, s16
	s_delay_alu instid0(VALU_DEP_1) | instskip(SKIP_1) | instid1(VALU_DEP_1)
	v_fma_mix_f32_bf16 v12, s2, v12, v17 op_sel:[0,0,1] op_sel_hi:[0,0,1]
	s_mov_b32 s16, exec_lo
                                        ; implicit-def: $vgpr18
	v_and_b32_e32 v16, 0x7f800000, v12
	s_delay_alu instid0(VALU_DEP_1)
	v_cmpx_ne_u32_e32 0x7f800000, v16
	s_xor_b32 s16, exec_lo, s16
; %bb.175:                              ;   in Loop: Header=BB419_4 Depth=1
	v_bfe_u32 v16, v12, 16, 1
	s_delay_alu instid0(VALU_DEP_1)
	v_add3_u32 v18, v12, v16, 0x7fff
                                        ; implicit-def: $vgpr12
; %bb.176:                              ;   in Loop: Header=BB419_4 Depth=1
	s_and_not1_saveexec_b32 s16, s16
; %bb.177:                              ;   in Loop: Header=BB419_4 Depth=1
	v_and_b32_e32 v16, 0xffff, v12
	v_or_b32_e32 v17, 0x10000, v12
	s_delay_alu instid0(VALU_DEP_2) | instskip(NEXT) | instid1(VALU_DEP_2)
	v_cmp_eq_u32_e32 vcc_lo, 0, v16
	v_cndmask_b32_e32 v18, v17, v12, vcc_lo
; %bb.178:                              ;   in Loop: Header=BB419_4 Depth=1
	s_or_b32 exec_lo, exec_lo, s16
	v_lshl_add_u64 v[16:17], s[14:15], 1, v[20:21]
	s_delay_alu instid0(VALU_DEP_1) | instskip(SKIP_4) | instid1(VALU_DEP_1)
	v_lshl_add_u64 v[16:17], v[0:1], 1, v[16:17]
	global_store_d16_hi_b16 v[16:17], v18, off
	global_load_u16 v12, v[14:15], off offset:32
	s_wait_loadcnt 0x0
	v_lshlrev_b32_e32 v12, 16, v12
	v_mul_f32_e32 v12, s30, v12
	s_wait_xcnt 0x1
	s_delay_alu instid0(VALU_DEP_1) | instskip(NEXT) | instid1(VALU_DEP_1)
	v_and_b32_e32 v18, 0x7f800000, v12
	v_cmp_ne_u32_e32 vcc_lo, 0x7f800000, v18
                                        ; implicit-def: $vgpr18
	s_wait_xcnt 0x0
	s_and_saveexec_b32 s16, vcc_lo
	s_delay_alu instid0(SALU_CYCLE_1)
	s_xor_b32 s16, exec_lo, s16
; %bb.179:                              ;   in Loop: Header=BB419_4 Depth=1
	v_bfe_u32 v18, v12, 16, 1
	s_delay_alu instid0(VALU_DEP_1)
	v_add3_u32 v18, v12, v18, 0x7fff
                                        ; implicit-def: $vgpr12
; %bb.180:                              ;   in Loop: Header=BB419_4 Depth=1
	s_and_not1_saveexec_b32 s16, s16
; %bb.181:                              ;   in Loop: Header=BB419_4 Depth=1
	v_and_b32_e32 v18, 0xffff, v12
	v_or_b32_e32 v19, 0x10000, v12
	s_delay_alu instid0(VALU_DEP_2) | instskip(NEXT) | instid1(VALU_DEP_2)
	v_cmp_eq_u32_e32 vcc_lo, 0, v18
	v_cndmask_b32_e32 v18, v19, v12, vcc_lo
; %bb.182:                              ;   in Loop: Header=BB419_4 Depth=1
	s_or_b32 exec_lo, exec_lo, s16
	s_delay_alu instid0(VALU_DEP_1) | instskip(NEXT) | instid1(VALU_DEP_1)
	v_fma_mix_f32_bf16 v12, s2, v13, v18 op_sel:[0,0,1] op_sel_hi:[0,0,1]
	v_and_b32_e32 v13, 0x7f800000, v12
	s_delay_alu instid0(VALU_DEP_1) | instskip(SKIP_1) | instid1(SALU_CYCLE_1)
	v_cmp_ne_u32_e32 vcc_lo, 0x7f800000, v13
                                        ; implicit-def: $vgpr13
	s_and_saveexec_b32 s16, vcc_lo
	s_xor_b32 s16, exec_lo, s16
; %bb.183:                              ;   in Loop: Header=BB419_4 Depth=1
	v_bfe_u32 v13, v12, 16, 1
	s_delay_alu instid0(VALU_DEP_1)
	v_add3_u32 v13, v12, v13, 0x7fff
                                        ; implicit-def: $vgpr12
; %bb.184:                              ;   in Loop: Header=BB419_4 Depth=1
	s_and_not1_saveexec_b32 s16, s16
; %bb.185:                              ;   in Loop: Header=BB419_4 Depth=1
	v_and_b32_e32 v13, 0xffff, v12
	v_or_b32_e32 v18, 0x10000, v12
	s_delay_alu instid0(VALU_DEP_2) | instskip(NEXT) | instid1(VALU_DEP_2)
	v_cmp_eq_u32_e32 vcc_lo, 0, v13
	v_cndmask_b32_e32 v13, v18, v12, vcc_lo
; %bb.186:                              ;   in Loop: Header=BB419_4 Depth=1
	s_or_b32 exec_lo, exec_lo, s16
	global_store_d16_hi_b16 v[16:17], v13, off offset:32
	global_load_u16 v12, v[14:15], off offset:64
	s_wait_loadcnt 0x0
	v_lshlrev_b32_e32 v12, 16, v12
	s_delay_alu instid0(VALU_DEP_1) | instskip(SKIP_1) | instid1(VALU_DEP_1)
	v_mul_f32_e32 v12, s30, v12
	s_wait_xcnt 0x1
	v_and_b32_e32 v13, 0x7f800000, v12
	s_delay_alu instid0(VALU_DEP_1) | instskip(SKIP_2) | instid1(SALU_CYCLE_1)
	v_cmp_ne_u32_e32 vcc_lo, 0x7f800000, v13
                                        ; implicit-def: $vgpr13
	s_wait_xcnt 0x0
	s_and_saveexec_b32 s16, vcc_lo
	s_xor_b32 s16, exec_lo, s16
; %bb.187:                              ;   in Loop: Header=BB419_4 Depth=1
	v_bfe_u32 v13, v12, 16, 1
	s_delay_alu instid0(VALU_DEP_1)
	v_add3_u32 v13, v12, v13, 0x7fff
                                        ; implicit-def: $vgpr12
; %bb.188:                              ;   in Loop: Header=BB419_4 Depth=1
	s_and_not1_saveexec_b32 s16, s16
; %bb.189:                              ;   in Loop: Header=BB419_4 Depth=1
	v_and_b32_e32 v13, 0xffff, v12
	v_or_b32_e32 v18, 0x10000, v12
	s_delay_alu instid0(VALU_DEP_2) | instskip(NEXT) | instid1(VALU_DEP_2)
	v_cmp_eq_u32_e32 vcc_lo, 0, v13
	v_cndmask_b32_e32 v13, v18, v12, vcc_lo
; %bb.190:                              ;   in Loop: Header=BB419_4 Depth=1
	s_or_b32 exec_lo, exec_lo, s16
	s_delay_alu instid0(VALU_DEP_1) | instskip(NEXT) | instid1(VALU_DEP_1)
	v_fma_mix_f32_bf16 v10, s2, v10, v13 op_sel:[0,0,1] op_sel_hi:[0,0,1]
	v_and_b32_e32 v12, 0x7f800000, v10
	s_delay_alu instid0(VALU_DEP_1) | instskip(SKIP_1) | instid1(SALU_CYCLE_1)
	v_cmp_ne_u32_e32 vcc_lo, 0x7f800000, v12
                                        ; implicit-def: $vgpr12
	s_and_saveexec_b32 s16, vcc_lo
	s_xor_b32 s16, exec_lo, s16
; %bb.191:                              ;   in Loop: Header=BB419_4 Depth=1
	v_bfe_u32 v12, v10, 16, 1
	s_delay_alu instid0(VALU_DEP_1)
	v_add3_u32 v12, v10, v12, 0x7fff
                                        ; implicit-def: $vgpr10
; %bb.192:                              ;   in Loop: Header=BB419_4 Depth=1
	s_and_not1_saveexec_b32 s16, s16
; %bb.193:                              ;   in Loop: Header=BB419_4 Depth=1
	v_and_b32_e32 v12, 0xffff, v10
	v_or_b32_e32 v13, 0x10000, v10
	s_delay_alu instid0(VALU_DEP_2) | instskip(NEXT) | instid1(VALU_DEP_2)
	v_cmp_eq_u32_e32 vcc_lo, 0, v12
	v_cndmask_b32_e32 v12, v13, v10, vcc_lo
; %bb.194:                              ;   in Loop: Header=BB419_4 Depth=1
	s_or_b32 exec_lo, exec_lo, s16
	global_store_d16_hi_b16 v[16:17], v12, off offset:64
	global_load_u16 v10, v[14:15], off offset:96
	s_wait_loadcnt 0x0
	v_lshlrev_b32_e32 v10, 16, v10
	s_delay_alu instid0(VALU_DEP_1) | instskip(SKIP_1) | instid1(VALU_DEP_1)
	v_mul_f32_e32 v10, s30, v10
	s_wait_xcnt 0x1
	v_and_b32_e32 v12, 0x7f800000, v10
	s_delay_alu instid0(VALU_DEP_1) | instskip(SKIP_2) | instid1(SALU_CYCLE_1)
	v_cmp_ne_u32_e32 vcc_lo, 0x7f800000, v12
                                        ; implicit-def: $vgpr12
	s_wait_xcnt 0x0
	s_and_saveexec_b32 s16, vcc_lo
	s_xor_b32 s16, exec_lo, s16
; %bb.195:                              ;   in Loop: Header=BB419_4 Depth=1
	v_bfe_u32 v12, v10, 16, 1
	s_delay_alu instid0(VALU_DEP_1)
	v_add3_u32 v12, v10, v12, 0x7fff
                                        ; implicit-def: $vgpr10
; %bb.196:                              ;   in Loop: Header=BB419_4 Depth=1
	s_and_not1_saveexec_b32 s16, s16
; %bb.197:                              ;   in Loop: Header=BB419_4 Depth=1
	v_and_b32_e32 v12, 0xffff, v10
	v_or_b32_e32 v13, 0x10000, v10
	s_delay_alu instid0(VALU_DEP_2) | instskip(NEXT) | instid1(VALU_DEP_2)
	v_cmp_eq_u32_e32 vcc_lo, 0, v12
	v_cndmask_b32_e32 v12, v13, v10, vcc_lo
; %bb.198:                              ;   in Loop: Header=BB419_4 Depth=1
	s_or_b32 exec_lo, exec_lo, s16
	s_delay_alu instid0(VALU_DEP_1) | instskip(NEXT) | instid1(VALU_DEP_1)
	v_fma_mix_f32_bf16 v10, s2, v11, v12 op_sel:[0,0,1] op_sel_hi:[0,0,1]
	v_and_b32_e32 v11, 0x7f800000, v10
	s_delay_alu instid0(VALU_DEP_1) | instskip(SKIP_1) | instid1(SALU_CYCLE_1)
	v_cmp_ne_u32_e32 vcc_lo, 0x7f800000, v11
                                        ; implicit-def: $vgpr11
	s_and_saveexec_b32 s16, vcc_lo
	s_xor_b32 s16, exec_lo, s16
; %bb.199:                              ;   in Loop: Header=BB419_4 Depth=1
	v_bfe_u32 v11, v10, 16, 1
	s_delay_alu instid0(VALU_DEP_1)
	v_add3_u32 v11, v10, v11, 0x7fff
                                        ; implicit-def: $vgpr10
; %bb.200:                              ;   in Loop: Header=BB419_4 Depth=1
	s_and_not1_saveexec_b32 s16, s16
	s_cbranch_execz .LBB419_2
; %bb.201:                              ;   in Loop: Header=BB419_4 Depth=1
	v_and_b32_e32 v11, 0xffff, v10
	v_or_b32_e32 v12, 0x10000, v10
	s_delay_alu instid0(VALU_DEP_2) | instskip(NEXT) | instid1(VALU_DEP_2)
	v_cmp_eq_u32_e32 vcc_lo, 0, v11
	v_cndmask_b32_e32 v11, v12, v10, vcc_lo
	s_branch .LBB419_2
.LBB419_202:
	s_sendmsg sendmsg(MSG_DEALLOC_VGPRS)
	s_endpgm
	.section	.rodata,"a",@progbits
	.p2align	6, 0x0
	.amdhsa_kernel _ZN12_GLOBAL__N_127rocblas_gemm_batched_kernelIfLi16ELi16ELi64ELi64ELi4ELi64ELi4ELi4ELi64ELc84ELc78EK16rocblas_bfloat16S2_S1_EEvlllT_PT11_llS5_llS3_PT12_llPT13_lli
		.amdhsa_group_segment_fixed_size 2048
		.amdhsa_private_segment_fixed_size 0
		.amdhsa_kernarg_size 140
		.amdhsa_user_sgpr_count 2
		.amdhsa_user_sgpr_dispatch_ptr 0
		.amdhsa_user_sgpr_queue_ptr 0
		.amdhsa_user_sgpr_kernarg_segment_ptr 1
		.amdhsa_user_sgpr_dispatch_id 0
		.amdhsa_user_sgpr_kernarg_preload_length 0
		.amdhsa_user_sgpr_kernarg_preload_offset 0
		.amdhsa_user_sgpr_private_segment_size 0
		.amdhsa_wavefront_size32 1
		.amdhsa_uses_dynamic_stack 0
		.amdhsa_enable_private_segment 0
		.amdhsa_system_sgpr_workgroup_id_x 1
		.amdhsa_system_sgpr_workgroup_id_y 1
		.amdhsa_system_sgpr_workgroup_id_z 1
		.amdhsa_system_sgpr_workgroup_info 0
		.amdhsa_system_vgpr_workitem_id 1
		.amdhsa_next_free_vgpr 70
		.amdhsa_next_free_sgpr 38
		.amdhsa_named_barrier_count 0
		.amdhsa_reserve_vcc 1
		.amdhsa_float_round_mode_32 0
		.amdhsa_float_round_mode_16_64 0
		.amdhsa_float_denorm_mode_32 3
		.amdhsa_float_denorm_mode_16_64 3
		.amdhsa_fp16_overflow 0
		.amdhsa_memory_ordered 1
		.amdhsa_forward_progress 1
		.amdhsa_inst_pref_size 55
		.amdhsa_round_robin_scheduling 0
		.amdhsa_exception_fp_ieee_invalid_op 0
		.amdhsa_exception_fp_denorm_src 0
		.amdhsa_exception_fp_ieee_div_zero 0
		.amdhsa_exception_fp_ieee_overflow 0
		.amdhsa_exception_fp_ieee_underflow 0
		.amdhsa_exception_fp_ieee_inexact 0
		.amdhsa_exception_int_div_zero 0
	.end_amdhsa_kernel
	.section	.text._ZN12_GLOBAL__N_127rocblas_gemm_batched_kernelIfLi16ELi16ELi64ELi64ELi4ELi64ELi4ELi4ELi64ELc84ELc78EK16rocblas_bfloat16S2_S1_EEvlllT_PT11_llS5_llS3_PT12_llPT13_lli,"axG",@progbits,_ZN12_GLOBAL__N_127rocblas_gemm_batched_kernelIfLi16ELi16ELi64ELi64ELi4ELi64ELi4ELi4ELi64ELc84ELc78EK16rocblas_bfloat16S2_S1_EEvlllT_PT11_llS5_llS3_PT12_llPT13_lli,comdat
.Lfunc_end419:
	.size	_ZN12_GLOBAL__N_127rocblas_gemm_batched_kernelIfLi16ELi16ELi64ELi64ELi4ELi64ELi4ELi4ELi64ELc84ELc78EK16rocblas_bfloat16S2_S1_EEvlllT_PT11_llS5_llS3_PT12_llPT13_lli, .Lfunc_end419-_ZN12_GLOBAL__N_127rocblas_gemm_batched_kernelIfLi16ELi16ELi64ELi64ELi4ELi64ELi4ELi4ELi64ELc84ELc78EK16rocblas_bfloat16S2_S1_EEvlllT_PT11_llS5_llS3_PT12_llPT13_lli
                                        ; -- End function
	.set _ZN12_GLOBAL__N_127rocblas_gemm_batched_kernelIfLi16ELi16ELi64ELi64ELi4ELi64ELi4ELi4ELi64ELc84ELc78EK16rocblas_bfloat16S2_S1_EEvlllT_PT11_llS5_llS3_PT12_llPT13_lli.num_vgpr, 70
	.set _ZN12_GLOBAL__N_127rocblas_gemm_batched_kernelIfLi16ELi16ELi64ELi64ELi4ELi64ELi4ELi4ELi64ELc84ELc78EK16rocblas_bfloat16S2_S1_EEvlllT_PT11_llS5_llS3_PT12_llPT13_lli.num_agpr, 0
	.set _ZN12_GLOBAL__N_127rocblas_gemm_batched_kernelIfLi16ELi16ELi64ELi64ELi4ELi64ELi4ELi4ELi64ELc84ELc78EK16rocblas_bfloat16S2_S1_EEvlllT_PT11_llS5_llS3_PT12_llPT13_lli.numbered_sgpr, 38
	.set _ZN12_GLOBAL__N_127rocblas_gemm_batched_kernelIfLi16ELi16ELi64ELi64ELi4ELi64ELi4ELi4ELi64ELc84ELc78EK16rocblas_bfloat16S2_S1_EEvlllT_PT11_llS5_llS3_PT12_llPT13_lli.num_named_barrier, 0
	.set _ZN12_GLOBAL__N_127rocblas_gemm_batched_kernelIfLi16ELi16ELi64ELi64ELi4ELi64ELi4ELi4ELi64ELc84ELc78EK16rocblas_bfloat16S2_S1_EEvlllT_PT11_llS5_llS3_PT12_llPT13_lli.private_seg_size, 0
	.set _ZN12_GLOBAL__N_127rocblas_gemm_batched_kernelIfLi16ELi16ELi64ELi64ELi4ELi64ELi4ELi4ELi64ELc84ELc78EK16rocblas_bfloat16S2_S1_EEvlllT_PT11_llS5_llS3_PT12_llPT13_lli.uses_vcc, 1
	.set _ZN12_GLOBAL__N_127rocblas_gemm_batched_kernelIfLi16ELi16ELi64ELi64ELi4ELi64ELi4ELi4ELi64ELc84ELc78EK16rocblas_bfloat16S2_S1_EEvlllT_PT11_llS5_llS3_PT12_llPT13_lli.uses_flat_scratch, 0
	.set _ZN12_GLOBAL__N_127rocblas_gemm_batched_kernelIfLi16ELi16ELi64ELi64ELi4ELi64ELi4ELi4ELi64ELc84ELc78EK16rocblas_bfloat16S2_S1_EEvlllT_PT11_llS5_llS3_PT12_llPT13_lli.has_dyn_sized_stack, 0
	.set _ZN12_GLOBAL__N_127rocblas_gemm_batched_kernelIfLi16ELi16ELi64ELi64ELi4ELi64ELi4ELi4ELi64ELc84ELc78EK16rocblas_bfloat16S2_S1_EEvlllT_PT11_llS5_llS3_PT12_llPT13_lli.has_recursion, 0
	.set _ZN12_GLOBAL__N_127rocblas_gemm_batched_kernelIfLi16ELi16ELi64ELi64ELi4ELi64ELi4ELi4ELi64ELc84ELc78EK16rocblas_bfloat16S2_S1_EEvlllT_PT11_llS5_llS3_PT12_llPT13_lli.has_indirect_call, 0
	.section	.AMDGPU.csdata,"",@progbits
; Kernel info:
; codeLenInByte = 6916
; TotalNumSgprs: 40
; NumVgprs: 70
; ScratchSize: 0
; MemoryBound: 0
; FloatMode: 240
; IeeeMode: 1
; LDSByteSize: 2048 bytes/workgroup (compile time only)
; SGPRBlocks: 0
; VGPRBlocks: 4
; NumSGPRsForWavesPerEU: 40
; NumVGPRsForWavesPerEU: 70
; NamedBarCnt: 0
; Occupancy: 12
; WaveLimiterHint : 0
; COMPUTE_PGM_RSRC2:SCRATCH_EN: 0
; COMPUTE_PGM_RSRC2:USER_SGPR: 2
; COMPUTE_PGM_RSRC2:TRAP_HANDLER: 0
; COMPUTE_PGM_RSRC2:TGID_X_EN: 1
; COMPUTE_PGM_RSRC2:TGID_Y_EN: 1
; COMPUTE_PGM_RSRC2:TGID_Z_EN: 1
; COMPUTE_PGM_RSRC2:TIDIG_COMP_CNT: 1
	.section	.text._ZN12_GLOBAL__N_127rocblas_gemm_batched_kernelIfLi16ELi16ELi64ELi64ELi4ELi64ELi4ELi4ELi64ELc78ELc84EK16rocblas_bfloat16S2_S1_EEvlllT_PT11_llS5_llS3_PT12_llPT13_lli,"axG",@progbits,_ZN12_GLOBAL__N_127rocblas_gemm_batched_kernelIfLi16ELi16ELi64ELi64ELi4ELi64ELi4ELi4ELi64ELc78ELc84EK16rocblas_bfloat16S2_S1_EEvlllT_PT11_llS5_llS3_PT12_llPT13_lli,comdat
	.globl	_ZN12_GLOBAL__N_127rocblas_gemm_batched_kernelIfLi16ELi16ELi64ELi64ELi4ELi64ELi4ELi4ELi64ELc78ELc84EK16rocblas_bfloat16S2_S1_EEvlllT_PT11_llS5_llS3_PT12_llPT13_lli ; -- Begin function _ZN12_GLOBAL__N_127rocblas_gemm_batched_kernelIfLi16ELi16ELi64ELi64ELi4ELi64ELi4ELi4ELi64ELc78ELc84EK16rocblas_bfloat16S2_S1_EEvlllT_PT11_llS5_llS3_PT12_llPT13_lli
	.p2align	8
	.type	_ZN12_GLOBAL__N_127rocblas_gemm_batched_kernelIfLi16ELi16ELi64ELi64ELi4ELi64ELi4ELi4ELi64ELc78ELc84EK16rocblas_bfloat16S2_S1_EEvlllT_PT11_llS5_llS3_PT12_llPT13_lli,@function
_ZN12_GLOBAL__N_127rocblas_gemm_batched_kernelIfLi16ELi16ELi64ELi64ELi4ELi64ELi4ELi4ELi64ELc78ELc84EK16rocblas_bfloat16S2_S1_EEvlllT_PT11_llS5_llS3_PT12_llPT13_lli: ; @_ZN12_GLOBAL__N_127rocblas_gemm_batched_kernelIfLi16ELi16ELi64ELi64ELi4ELi64ELi4ELi4ELi64ELc78ELc84EK16rocblas_bfloat16S2_S1_EEvlllT_PT11_llS5_llS3_PT12_llPT13_lli
; %bb.0:
	s_load_b32 s3, s[0:1], 0x88
	s_bfe_u32 s2, ttmp6, 0x40014
	s_lshr_b32 s4, ttmp7, 16
	s_add_co_i32 s2, s2, 1
	s_bfe_u32 s6, ttmp6, 0x40008
	s_mul_i32 s5, s4, s2
	s_getreg_b32 s2, hwreg(HW_REG_IB_STS2, 6, 4)
	s_add_co_i32 s6, s6, s5
	s_cmp_eq_u32 s2, 0
	s_mov_b32 s29, 0
	s_cselect_b32 s28, s4, s6
	s_wait_kmcnt 0x0
	s_cmp_ge_i32 s28, s3
	s_cbranch_scc1 .LBB420_202
; %bb.1:
	s_clause 0x3
	s_load_b256 s[12:19], s[0:1], 0x20
	s_load_b128 s[24:27], s[0:1], 0x40
	s_load_b128 s[20:23], s[0:1], 0x78
	s_load_b256 s[4:11], s[0:1], 0x58
	s_bfe_u32 s30, ttmp6, 0x4000c
	s_bfe_u32 s33, ttmp6, 0x40010
	s_add_co_i32 s30, s30, 1
	s_and_b32 s34, ttmp7, 0xffff
	s_add_co_i32 s33, s33, 1
	s_and_b32 s31, ttmp6, 15
	s_mul_i32 s30, ttmp9, s30
	s_mul_i32 s33, s34, s33
	s_bfe_u32 s35, ttmp6, 0x40004
	v_bfe_u32 v2, v0, 10, 10
	s_add_co_i32 s31, s31, s30
	s_add_co_i32 s35, s35, s33
	s_cmp_eq_u32 s2, 0
	s_delay_alu instid0(VALU_DEP_1)
	v_dual_mov_b32 v3, 0 :: v_dual_lshlrev_b32 v16, 4, v2
	s_cselect_b32 s2, s34, s35
	v_and_b32_e32 v4, 0x3ff, v0
	s_cselect_b32 s34, ttmp9, s31
	s_lshl_b32 s36, s2, 6
	s_mov_b32 s37, s29
	v_and_b32_e32 v5, 3, v0
	v_add_nc_u64_e32 v[6:7], s[36:37], v[2:3]
	v_dual_add_nc_u32 v1, v16, v4 :: v_dual_mov_b32 v9, v3
	s_ashr_i32 s35, s34, 31
	s_load_b32 s30, s[0:1], 0x50
	s_lshl_b64 s[34:35], s[34:35], 6
	s_delay_alu instid0(VALU_DEP_1)
	v_dual_lshrrev_b32 v17, 6, v1 :: v_dual_lshrrev_b32 v8, 2, v1
	v_and_b32_e32 v2, 63, v1
	s_wait_kmcnt 0x0
	v_mul_u64_e32 v[10:11], s[6:7], v[6:7]
	v_mul_u64_e32 v[0:1], s[20:21], v[6:7]
	v_mad_nc_u64_u32 v[14:15], s14, v17, s[34:35]
	v_mad_nc_u64_u32 v[12:13], s24, v5, v[8:9]
	s_load_b96 s[0:2], s[0:1], 0x10
	v_dual_lshlrev_b32 v6, 2, v5 :: v_dual_lshlrev_b32 v7, 2, v2
	v_lshlrev_b32_e32 v36, 2, v4
	v_add_nc_u32_e32 v37, 0x400, v16
	s_delay_alu instid0(VALU_DEP_3) | instskip(NEXT) | instid1(VALU_DEP_4)
	v_lshl_or_b32 v6, v8, 4, v6
	v_lshl_or_b32 v34, v17, 8, v7
	v_mad_u32 v15, s15, v17, v15
	v_mad_u32 v13, s25, v5, v13
	v_mov_b32_e32 v5, v3
	v_add_nc_u32_e32 v35, 0x400, v6
	s_cmp_eq_f32 s30, 0
	s_cselect_b32 s31, -1, 0
	s_lshl_b64 s[20:21], s[20:21], 4
	s_lshl_b64 s[6:7], s[6:7], 4
	s_delay_alu instid0(VALU_DEP_4) | instskip(NEXT) | instid1(VALU_DEP_4)
	v_add_nc_u64_e32 v[8:9], v[14:15], v[2:3]
	v_add_nc_u64_e32 v[6:7], s[36:37], v[12:13]
	;; [unrolled: 1-line block ×3, first 2 shown]
	s_lshl_b64 s[16:17], s[16:17], 1
	s_lshl_b64 s[14:15], s[14:15], 3
	s_delay_alu instid0(VALU_DEP_3)
	v_lshl_add_u64 v[8:9], v[8:9], 1, s[12:13]
	v_lshl_add_u64 v[4:5], v[10:11], 1, s[4:5]
	s_lshl_b64 s[4:5], s[26:27], 1
	s_wait_kmcnt 0x0
	v_cmp_gt_i64_e64 s26, s[0:1], 0
	v_lshl_add_u64 v[6:7], v[6:7], 1, s[18:19]
	s_lshl_b64 s[12:13], s[24:25], 3
	s_branch .LBB420_4
.LBB420_2:                              ;   in Loop: Header=BB420_4 Depth=1
	s_or_b32 exec_lo, exec_lo, s18
	global_store_d16_hi_b16 v[16:17], v11, off offset:96
.LBB420_3:                              ;   in Loop: Header=BB420_4 Depth=1
	s_add_co_i32 s28, s28, 0x10000
	s_delay_alu instid0(SALU_CYCLE_1)
	s_cmp_lt_i32 s28, s3
	s_cbranch_scc0 .LBB420_202
.LBB420_4:                              ; =>This Loop Header: Depth=1
                                        ;     Child Loop BB420_6 Depth 2
	v_dual_mov_b32 v25, 0 :: v_dual_mov_b32 v24, 0
	v_dual_mov_b32 v23, 0 :: v_dual_mov_b32 v22, 0
	;; [unrolled: 1-line block ×4, first 2 shown]
	s_wait_xcnt 0x0
	v_dual_mov_b32 v17, 0 :: v_dual_mov_b32 v16, 0
	v_dual_mov_b32 v15, 0 :: v_dual_mov_b32 v14, 0
	;; [unrolled: 1-line block ×4, first 2 shown]
	s_and_not1_b32 vcc_lo, exec_lo, s26
	s_cbranch_vccnz .LBB420_7
; %bb.5:                                ;   in Loop: Header=BB420_4 Depth=1
	v_mad_nc_u64_u32 v[26:27], s4, s28, v[6:7]
	v_mad_nc_u64_u32 v[28:29], s16, s28, v[8:9]
	v_mov_b32_e32 v10, 0
	s_mov_b64 s[18:19], 0
	s_delay_alu instid0(VALU_DEP_1)
	v_dual_mov_b32 v11, v10 :: v_dual_mov_b32 v12, v10
	v_dual_mov_b32 v13, v10 :: v_dual_mov_b32 v14, v10
	v_mad_u32 v27, s5, s28, v27
	v_mad_u32 v29, s17, s28, v29
	v_dual_mov_b32 v15, v10 :: v_dual_mov_b32 v16, v10
	v_dual_mov_b32 v17, v10 :: v_dual_mov_b32 v18, v10
	;; [unrolled: 1-line block ×5, first 2 shown]
	v_mov_b32_e32 v25, v10
.LBB420_6:                              ;   Parent Loop BB420_4 Depth=1
                                        ; =>  This Inner Loop Header: Depth=2
	global_load_u16 v30, v[28:29], off
	global_load_u16 v31, v[26:27], off
	s_add_nc_u64 s[18:19], s[18:19], 4
	s_wait_xcnt 0x0
	v_add_nc_u64_e32 v[26:27], s[12:13], v[26:27]
	v_cmp_lt_i64_e64 s24, s[18:19], s[0:1]
	v_add_nc_u64_e32 v[28:29], s[14:15], v[28:29]
	s_and_b32 vcc_lo, exec_lo, s24
	s_wait_loadcnt 0x0
	v_dual_lshlrev_b32 v30, 16, v30 :: v_dual_lshlrev_b32 v31, 16, v31
	ds_store_b32 v34, v30
	ds_store_b32 v35, v31
	s_wait_dscnt 0x0
	s_barrier_signal -1
	s_barrier_wait -1
	ds_load_b128 v[30:33], v37
	ds_load_2addr_b32 v[50:51], v36 offset1:16
	ds_load_2addr_b32 v[52:53], v36 offset0:32 offset1:48
	ds_load_b128 v[38:41], v37 offset:256
	ds_load_b128 v[42:45], v37 offset:512
	;; [unrolled: 1-line block ×3, first 2 shown]
	ds_load_2addr_b32 v[54:55], v36 offset0:64 offset1:80
	ds_load_2addr_b32 v[56:57], v36 offset0:96 offset1:112
	;; [unrolled: 1-line block ×6, first 2 shown]
	s_wait_dscnt 0x0
	s_barrier_signal -1
	s_barrier_wait -1
	v_mov_b32_e32 v66, v33
	v_pk_fma_f32 v[24:25], v[50:51], v[30:31], v[24:25] op_sel_hi:[1,0,1]
	v_pk_fma_f32 v[22:23], v[52:53], v[30:31], v[22:23] op_sel_hi:[1,0,1]
	;; [unrolled: 1-line block ×8, first 2 shown]
	v_pk_fma_f32 v[24:25], v[54:55], v[30:31], v[24:25] op_sel:[0,1,0]
	v_pk_fma_f32 v[22:23], v[56:57], v[30:31], v[22:23] op_sel:[0,1,0]
	;; [unrolled: 1-line block ×8, first 2 shown]
	v_dual_mov_b32 v50, v41 :: v_dual_mov_b32 v52, v45
	v_mov_b32_e32 v68, v49
	v_pk_fma_f32 v[24:25], v[58:59], v[32:33], v[24:25] op_sel_hi:[1,0,1]
	v_pk_fma_f32 v[22:23], v[60:61], v[32:33], v[22:23] op_sel_hi:[1,0,1]
	;; [unrolled: 1-line block ×16, first 2 shown]
	s_cbranch_vccnz .LBB420_6
.LBB420_7:                              ;   in Loop: Header=BB420_4 Depth=1
	s_mul_u64 s[18:19], s[22:23], s[28:29]
	s_and_not1_b32 vcc_lo, exec_lo, s31
	s_lshl_b64 s[18:19], s[18:19], 1
	s_delay_alu instid0(SALU_CYCLE_1)
	s_add_nc_u64 s[18:19], s[10:11], s[18:19]
	s_cbranch_vccnz .LBB420_73
; %bb.8:                                ;   in Loop: Header=BB420_4 Depth=1
	v_mul_f32_e32 v26, s2, v24
	s_mov_b32 s24, exec_lo
                                        ; implicit-def: $vgpr30
	s_delay_alu instid0(VALU_DEP_1) | instskip(NEXT) | instid1(VALU_DEP_1)
	v_and_b32_e32 v27, 0x7f800000, v26
	v_cmpx_ne_u32_e32 0x7f800000, v27
	s_xor_b32 s24, exec_lo, s24
; %bb.9:                                ;   in Loop: Header=BB420_4 Depth=1
	v_bfe_u32 v27, v26, 16, 1
	s_delay_alu instid0(VALU_DEP_1)
	v_add3_u32 v30, v26, v27, 0x7fff
                                        ; implicit-def: $vgpr26
; %bb.10:                               ;   in Loop: Header=BB420_4 Depth=1
	s_and_not1_saveexec_b32 s24, s24
; %bb.11:                               ;   in Loop: Header=BB420_4 Depth=1
	v_and_b32_e32 v27, 0xffff, v26
	v_or_b32_e32 v28, 0x10000, v26
	s_delay_alu instid0(VALU_DEP_2) | instskip(NEXT) | instid1(VALU_DEP_2)
	v_cmp_eq_u32_e32 vcc_lo, 0, v27
	v_cndmask_b32_e32 v30, v28, v26, vcc_lo
; %bb.12:                               ;   in Loop: Header=BB420_4 Depth=1
	s_or_b32 exec_lo, exec_lo, s24
	v_mul_f32_e32 v31, s2, v25
	v_lshl_add_u64 v[26:27], v[0:1], 1, s[18:19]
	s_delay_alu instid0(VALU_DEP_2) | instskip(NEXT) | instid1(VALU_DEP_2)
	v_and_b32_e32 v32, 0x7f800000, v31
	v_lshl_add_u64 v[28:29], v[2:3], 1, v[26:27]
	s_delay_alu instid0(VALU_DEP_2) | instskip(SKIP_3) | instid1(SALU_CYCLE_1)
	v_cmp_ne_u32_e32 vcc_lo, 0x7f800000, v32
	global_store_d16_hi_b16 v[28:29], v30, off
                                        ; implicit-def: $vgpr32
	s_wait_xcnt 0x0
	s_and_saveexec_b32 s24, vcc_lo
	s_xor_b32 s24, exec_lo, s24
; %bb.13:                               ;   in Loop: Header=BB420_4 Depth=1
	v_bfe_u32 v30, v31, 16, 1
	s_delay_alu instid0(VALU_DEP_1)
	v_add3_u32 v32, v31, v30, 0x7fff
                                        ; implicit-def: $vgpr31
; %bb.14:                               ;   in Loop: Header=BB420_4 Depth=1
	s_and_not1_saveexec_b32 s24, s24
; %bb.15:                               ;   in Loop: Header=BB420_4 Depth=1
	v_and_b32_e32 v30, 0xffff, v31
	v_or_b32_e32 v32, 0x10000, v31
	s_delay_alu instid0(VALU_DEP_2) | instskip(NEXT) | instid1(VALU_DEP_2)
	v_cmp_eq_u32_e32 vcc_lo, 0, v30
	v_cndmask_b32_e32 v32, v32, v31, vcc_lo
; %bb.16:                               ;   in Loop: Header=BB420_4 Depth=1
	s_or_b32 exec_lo, exec_lo, s24
	v_mul_f32_e32 v30, s2, v22
	global_store_d16_hi_b16 v[28:29], v32, off offset:32
	v_and_b32_e32 v31, 0x7f800000, v30
	s_delay_alu instid0(VALU_DEP_1) | instskip(SKIP_2) | instid1(SALU_CYCLE_1)
	v_cmp_ne_u32_e32 vcc_lo, 0x7f800000, v31
                                        ; implicit-def: $vgpr31
	s_wait_xcnt 0x0
	s_and_saveexec_b32 s24, vcc_lo
	s_xor_b32 s24, exec_lo, s24
; %bb.17:                               ;   in Loop: Header=BB420_4 Depth=1
	v_bfe_u32 v31, v30, 16, 1
	s_delay_alu instid0(VALU_DEP_1)
	v_add3_u32 v31, v30, v31, 0x7fff
                                        ; implicit-def: $vgpr30
; %bb.18:                               ;   in Loop: Header=BB420_4 Depth=1
	s_and_not1_saveexec_b32 s24, s24
; %bb.19:                               ;   in Loop: Header=BB420_4 Depth=1
	v_and_b32_e32 v31, 0xffff, v30
	v_or_b32_e32 v32, 0x10000, v30
	s_delay_alu instid0(VALU_DEP_2) | instskip(NEXT) | instid1(VALU_DEP_2)
	v_cmp_eq_u32_e32 vcc_lo, 0, v31
	v_cndmask_b32_e32 v31, v32, v30, vcc_lo
; %bb.20:                               ;   in Loop: Header=BB420_4 Depth=1
	s_or_b32 exec_lo, exec_lo, s24
	v_mul_f32_e32 v30, s2, v23
	global_store_d16_hi_b16 v[28:29], v31, off offset:64
	v_and_b32_e32 v32, 0x7f800000, v30
	s_delay_alu instid0(VALU_DEP_1) | instskip(SKIP_2) | instid1(SALU_CYCLE_1)
	v_cmp_ne_u32_e32 vcc_lo, 0x7f800000, v32
                                        ; implicit-def: $vgpr32
	s_wait_xcnt 0x0
	s_and_saveexec_b32 s24, vcc_lo
	s_xor_b32 s24, exec_lo, s24
; %bb.21:                               ;   in Loop: Header=BB420_4 Depth=1
	v_bfe_u32 v31, v30, 16, 1
	s_delay_alu instid0(VALU_DEP_1)
	v_add3_u32 v32, v30, v31, 0x7fff
                                        ; implicit-def: $vgpr30
; %bb.22:                               ;   in Loop: Header=BB420_4 Depth=1
	s_and_not1_saveexec_b32 s24, s24
; %bb.23:                               ;   in Loop: Header=BB420_4 Depth=1
	v_and_b32_e32 v31, 0xffff, v30
	v_or_b32_e32 v32, 0x10000, v30
	s_delay_alu instid0(VALU_DEP_2) | instskip(NEXT) | instid1(VALU_DEP_2)
	v_cmp_eq_u32_e32 vcc_lo, 0, v31
	v_cndmask_b32_e32 v32, v32, v30, vcc_lo
; %bb.24:                               ;   in Loop: Header=BB420_4 Depth=1
	s_or_b32 exec_lo, exec_lo, s24
	v_mul_f32_e32 v31, s2, v20
	global_store_d16_hi_b16 v[28:29], v32, off offset:96
	v_and_b32_e32 v30, 0x7f800000, v31
	s_delay_alu instid0(VALU_DEP_1) | instskip(SKIP_2) | instid1(SALU_CYCLE_1)
	v_cmp_ne_u32_e32 vcc_lo, 0x7f800000, v30
                                        ; implicit-def: $vgpr30
	s_wait_xcnt 0x0
	s_and_saveexec_b32 s24, vcc_lo
	s_xor_b32 s24, exec_lo, s24
; %bb.25:                               ;   in Loop: Header=BB420_4 Depth=1
	v_bfe_u32 v28, v31, 16, 1
	s_delay_alu instid0(VALU_DEP_1)
	v_add3_u32 v30, v31, v28, 0x7fff
                                        ; implicit-def: $vgpr31
; %bb.26:                               ;   in Loop: Header=BB420_4 Depth=1
	s_and_not1_saveexec_b32 s24, s24
; %bb.27:                               ;   in Loop: Header=BB420_4 Depth=1
	v_and_b32_e32 v28, 0xffff, v31
	v_or_b32_e32 v29, 0x10000, v31
	s_delay_alu instid0(VALU_DEP_2) | instskip(NEXT) | instid1(VALU_DEP_2)
	v_cmp_eq_u32_e32 vcc_lo, 0, v28
	v_cndmask_b32_e32 v30, v29, v31, vcc_lo
; %bb.28:                               ;   in Loop: Header=BB420_4 Depth=1
	s_or_b32 exec_lo, exec_lo, s24
	v_mul_f32_e32 v31, s2, v21
	v_lshl_add_u64 v[26:27], s[20:21], 1, v[26:27]
	s_delay_alu instid0(VALU_DEP_2) | instskip(NEXT) | instid1(VALU_DEP_2)
	v_and_b32_e32 v32, 0x7f800000, v31
	v_lshl_add_u64 v[28:29], v[2:3], 1, v[26:27]
	s_delay_alu instid0(VALU_DEP_2) | instskip(SKIP_3) | instid1(SALU_CYCLE_1)
	v_cmp_ne_u32_e32 vcc_lo, 0x7f800000, v32
	global_store_d16_hi_b16 v[28:29], v30, off
                                        ; implicit-def: $vgpr32
	s_wait_xcnt 0x0
	s_and_saveexec_b32 s24, vcc_lo
	s_xor_b32 s24, exec_lo, s24
; %bb.29:                               ;   in Loop: Header=BB420_4 Depth=1
	v_bfe_u32 v30, v31, 16, 1
	s_delay_alu instid0(VALU_DEP_1)
	v_add3_u32 v32, v31, v30, 0x7fff
                                        ; implicit-def: $vgpr31
; %bb.30:                               ;   in Loop: Header=BB420_4 Depth=1
	s_and_not1_saveexec_b32 s24, s24
; %bb.31:                               ;   in Loop: Header=BB420_4 Depth=1
	v_and_b32_e32 v30, 0xffff, v31
	v_or_b32_e32 v32, 0x10000, v31
	s_delay_alu instid0(VALU_DEP_2) | instskip(NEXT) | instid1(VALU_DEP_2)
	v_cmp_eq_u32_e32 vcc_lo, 0, v30
	v_cndmask_b32_e32 v32, v32, v31, vcc_lo
; %bb.32:                               ;   in Loop: Header=BB420_4 Depth=1
	s_or_b32 exec_lo, exec_lo, s24
	v_mul_f32_e32 v30, s2, v18
	global_store_d16_hi_b16 v[28:29], v32, off offset:32
	v_and_b32_e32 v31, 0x7f800000, v30
	s_delay_alu instid0(VALU_DEP_1) | instskip(SKIP_2) | instid1(SALU_CYCLE_1)
	v_cmp_ne_u32_e32 vcc_lo, 0x7f800000, v31
                                        ; implicit-def: $vgpr31
	s_wait_xcnt 0x0
	s_and_saveexec_b32 s24, vcc_lo
	s_xor_b32 s24, exec_lo, s24
; %bb.33:                               ;   in Loop: Header=BB420_4 Depth=1
	v_bfe_u32 v31, v30, 16, 1
	s_delay_alu instid0(VALU_DEP_1)
	v_add3_u32 v31, v30, v31, 0x7fff
                                        ; implicit-def: $vgpr30
; %bb.34:                               ;   in Loop: Header=BB420_4 Depth=1
	s_and_not1_saveexec_b32 s24, s24
; %bb.35:                               ;   in Loop: Header=BB420_4 Depth=1
	v_and_b32_e32 v31, 0xffff, v30
	v_or_b32_e32 v32, 0x10000, v30
	s_delay_alu instid0(VALU_DEP_2) | instskip(NEXT) | instid1(VALU_DEP_2)
	v_cmp_eq_u32_e32 vcc_lo, 0, v31
	v_cndmask_b32_e32 v31, v32, v30, vcc_lo
; %bb.36:                               ;   in Loop: Header=BB420_4 Depth=1
	s_or_b32 exec_lo, exec_lo, s24
	v_mul_f32_e32 v30, s2, v19
	global_store_d16_hi_b16 v[28:29], v31, off offset:64
	v_and_b32_e32 v32, 0x7f800000, v30
	s_delay_alu instid0(VALU_DEP_1) | instskip(SKIP_2) | instid1(SALU_CYCLE_1)
	v_cmp_ne_u32_e32 vcc_lo, 0x7f800000, v32
                                        ; implicit-def: $vgpr32
	s_wait_xcnt 0x0
	s_and_saveexec_b32 s24, vcc_lo
	s_xor_b32 s24, exec_lo, s24
; %bb.37:                               ;   in Loop: Header=BB420_4 Depth=1
	v_bfe_u32 v31, v30, 16, 1
	s_delay_alu instid0(VALU_DEP_1)
	v_add3_u32 v32, v30, v31, 0x7fff
                                        ; implicit-def: $vgpr30
; %bb.38:                               ;   in Loop: Header=BB420_4 Depth=1
	s_and_not1_saveexec_b32 s24, s24
; %bb.39:                               ;   in Loop: Header=BB420_4 Depth=1
	v_and_b32_e32 v31, 0xffff, v30
	v_or_b32_e32 v32, 0x10000, v30
	s_delay_alu instid0(VALU_DEP_2) | instskip(NEXT) | instid1(VALU_DEP_2)
	v_cmp_eq_u32_e32 vcc_lo, 0, v31
	v_cndmask_b32_e32 v32, v32, v30, vcc_lo
; %bb.40:                               ;   in Loop: Header=BB420_4 Depth=1
	s_or_b32 exec_lo, exec_lo, s24
	v_mul_f32_e32 v31, s2, v16
	global_store_d16_hi_b16 v[28:29], v32, off offset:96
	v_and_b32_e32 v30, 0x7f800000, v31
	s_delay_alu instid0(VALU_DEP_1) | instskip(SKIP_2) | instid1(SALU_CYCLE_1)
	v_cmp_ne_u32_e32 vcc_lo, 0x7f800000, v30
                                        ; implicit-def: $vgpr30
	s_wait_xcnt 0x0
	s_and_saveexec_b32 s24, vcc_lo
	s_xor_b32 s24, exec_lo, s24
; %bb.41:                               ;   in Loop: Header=BB420_4 Depth=1
	v_bfe_u32 v28, v31, 16, 1
	s_delay_alu instid0(VALU_DEP_1)
	v_add3_u32 v30, v31, v28, 0x7fff
                                        ; implicit-def: $vgpr31
; %bb.42:                               ;   in Loop: Header=BB420_4 Depth=1
	s_and_not1_saveexec_b32 s24, s24
; %bb.43:                               ;   in Loop: Header=BB420_4 Depth=1
	v_and_b32_e32 v28, 0xffff, v31
	v_or_b32_e32 v29, 0x10000, v31
	s_delay_alu instid0(VALU_DEP_2) | instskip(NEXT) | instid1(VALU_DEP_2)
	v_cmp_eq_u32_e32 vcc_lo, 0, v28
	v_cndmask_b32_e32 v30, v29, v31, vcc_lo
; %bb.44:                               ;   in Loop: Header=BB420_4 Depth=1
	s_or_b32 exec_lo, exec_lo, s24
	v_mul_f32_e32 v31, s2, v17
	v_lshl_add_u64 v[26:27], s[20:21], 1, v[26:27]
	s_delay_alu instid0(VALU_DEP_2) | instskip(NEXT) | instid1(VALU_DEP_2)
	v_and_b32_e32 v32, 0x7f800000, v31
	v_lshl_add_u64 v[28:29], v[2:3], 1, v[26:27]
	s_delay_alu instid0(VALU_DEP_2) | instskip(SKIP_3) | instid1(SALU_CYCLE_1)
	v_cmp_ne_u32_e32 vcc_lo, 0x7f800000, v32
	global_store_d16_hi_b16 v[28:29], v30, off
                                        ; implicit-def: $vgpr32
	s_wait_xcnt 0x0
	s_and_saveexec_b32 s24, vcc_lo
	s_xor_b32 s24, exec_lo, s24
; %bb.45:                               ;   in Loop: Header=BB420_4 Depth=1
	v_bfe_u32 v30, v31, 16, 1
	s_delay_alu instid0(VALU_DEP_1)
	v_add3_u32 v32, v31, v30, 0x7fff
                                        ; implicit-def: $vgpr31
; %bb.46:                               ;   in Loop: Header=BB420_4 Depth=1
	s_and_not1_saveexec_b32 s24, s24
; %bb.47:                               ;   in Loop: Header=BB420_4 Depth=1
	v_and_b32_e32 v30, 0xffff, v31
	v_or_b32_e32 v32, 0x10000, v31
	s_delay_alu instid0(VALU_DEP_2) | instskip(NEXT) | instid1(VALU_DEP_2)
	v_cmp_eq_u32_e32 vcc_lo, 0, v30
	v_cndmask_b32_e32 v32, v32, v31, vcc_lo
; %bb.48:                               ;   in Loop: Header=BB420_4 Depth=1
	s_or_b32 exec_lo, exec_lo, s24
	v_mul_f32_e32 v30, s2, v14
	global_store_d16_hi_b16 v[28:29], v32, off offset:32
	v_and_b32_e32 v31, 0x7f800000, v30
	s_delay_alu instid0(VALU_DEP_1) | instskip(SKIP_2) | instid1(SALU_CYCLE_1)
	v_cmp_ne_u32_e32 vcc_lo, 0x7f800000, v31
                                        ; implicit-def: $vgpr31
	s_wait_xcnt 0x0
	s_and_saveexec_b32 s24, vcc_lo
	s_xor_b32 s24, exec_lo, s24
; %bb.49:                               ;   in Loop: Header=BB420_4 Depth=1
	v_bfe_u32 v31, v30, 16, 1
	s_delay_alu instid0(VALU_DEP_1)
	v_add3_u32 v31, v30, v31, 0x7fff
                                        ; implicit-def: $vgpr30
; %bb.50:                               ;   in Loop: Header=BB420_4 Depth=1
	s_and_not1_saveexec_b32 s24, s24
; %bb.51:                               ;   in Loop: Header=BB420_4 Depth=1
	v_and_b32_e32 v31, 0xffff, v30
	v_or_b32_e32 v32, 0x10000, v30
	s_delay_alu instid0(VALU_DEP_2) | instskip(NEXT) | instid1(VALU_DEP_2)
	v_cmp_eq_u32_e32 vcc_lo, 0, v31
	v_cndmask_b32_e32 v31, v32, v30, vcc_lo
; %bb.52:                               ;   in Loop: Header=BB420_4 Depth=1
	s_or_b32 exec_lo, exec_lo, s24
	v_mul_f32_e32 v30, s2, v15
	s_mov_b32 s24, exec_lo
	global_store_d16_hi_b16 v[28:29], v31, off offset:64
                                        ; implicit-def: $vgpr31
	v_and_b32_e32 v32, 0x7f800000, v30
	s_wait_xcnt 0x0
	s_delay_alu instid0(VALU_DEP_1)
	v_cmpx_ne_u32_e32 0x7f800000, v32
	s_xor_b32 s24, exec_lo, s24
; %bb.53:                               ;   in Loop: Header=BB420_4 Depth=1
	v_bfe_u32 v31, v30, 16, 1
	s_delay_alu instid0(VALU_DEP_1)
	v_add3_u32 v31, v30, v31, 0x7fff
                                        ; implicit-def: $vgpr30
; %bb.54:                               ;   in Loop: Header=BB420_4 Depth=1
	s_and_not1_saveexec_b32 s24, s24
; %bb.55:                               ;   in Loop: Header=BB420_4 Depth=1
	v_and_b32_e32 v31, 0xffff, v30
	v_or_b32_e32 v32, 0x10000, v30
	s_delay_alu instid0(VALU_DEP_2) | instskip(NEXT) | instid1(VALU_DEP_2)
	v_cmp_eq_u32_e32 vcc_lo, 0, v31
	v_cndmask_b32_e32 v31, v32, v30, vcc_lo
; %bb.56:                               ;   in Loop: Header=BB420_4 Depth=1
	s_or_b32 exec_lo, exec_lo, s24
	v_mul_f32_e32 v30, s2, v12
	s_mov_b32 s24, exec_lo
	global_store_d16_hi_b16 v[28:29], v31, off offset:96
                                        ; implicit-def: $vgpr28
	v_and_b32_e32 v32, 0x7f800000, v30
	s_wait_xcnt 0x0
	s_delay_alu instid0(VALU_DEP_1)
	v_cmpx_ne_u32_e32 0x7f800000, v32
	s_xor_b32 s24, exec_lo, s24
; %bb.57:                               ;   in Loop: Header=BB420_4 Depth=1
	v_bfe_u32 v28, v30, 16, 1
	s_delay_alu instid0(VALU_DEP_1)
	v_add3_u32 v28, v30, v28, 0x7fff
                                        ; implicit-def: $vgpr30
; %bb.58:                               ;   in Loop: Header=BB420_4 Depth=1
	s_and_not1_saveexec_b32 s24, s24
; %bb.59:                               ;   in Loop: Header=BB420_4 Depth=1
	v_and_b32_e32 v28, 0xffff, v30
	v_or_b32_e32 v29, 0x10000, v30
	s_delay_alu instid0(VALU_DEP_2) | instskip(NEXT) | instid1(VALU_DEP_2)
	v_cmp_eq_u32_e32 vcc_lo, 0, v28
	v_cndmask_b32_e32 v28, v29, v30, vcc_lo
; %bb.60:                               ;   in Loop: Header=BB420_4 Depth=1
	s_or_b32 exec_lo, exec_lo, s24
	v_mul_f32_e32 v29, s2, v13
	v_lshl_add_u64 v[26:27], s[20:21], 1, v[26:27]
	s_delay_alu instid0(VALU_DEP_2) | instskip(NEXT) | instid1(VALU_DEP_2)
	v_and_b32_e32 v30, 0x7f800000, v29
	v_lshl_add_u64 v[26:27], v[2:3], 1, v[26:27]
	s_delay_alu instid0(VALU_DEP_2) | instskip(SKIP_3) | instid1(SALU_CYCLE_1)
	v_cmp_ne_u32_e32 vcc_lo, 0x7f800000, v30
	global_store_d16_hi_b16 v[26:27], v28, off
                                        ; implicit-def: $vgpr30
	s_wait_xcnt 0x0
	s_and_saveexec_b32 s24, vcc_lo
	s_xor_b32 s24, exec_lo, s24
; %bb.61:                               ;   in Loop: Header=BB420_4 Depth=1
	v_bfe_u32 v28, v29, 16, 1
	s_delay_alu instid0(VALU_DEP_1)
	v_add3_u32 v30, v29, v28, 0x7fff
                                        ; implicit-def: $vgpr29
; %bb.62:                               ;   in Loop: Header=BB420_4 Depth=1
	s_and_not1_saveexec_b32 s24, s24
; %bb.63:                               ;   in Loop: Header=BB420_4 Depth=1
	v_and_b32_e32 v28, 0xffff, v29
	v_or_b32_e32 v30, 0x10000, v29
	s_delay_alu instid0(VALU_DEP_2) | instskip(NEXT) | instid1(VALU_DEP_2)
	v_cmp_eq_u32_e32 vcc_lo, 0, v28
	v_cndmask_b32_e32 v30, v30, v29, vcc_lo
; %bb.64:                               ;   in Loop: Header=BB420_4 Depth=1
	s_or_b32 exec_lo, exec_lo, s24
	v_mul_f32_e32 v28, s2, v10
	global_store_d16_hi_b16 v[26:27], v30, off offset:32
	v_and_b32_e32 v29, 0x7f800000, v28
	s_delay_alu instid0(VALU_DEP_1) | instskip(SKIP_2) | instid1(SALU_CYCLE_1)
	v_cmp_ne_u32_e32 vcc_lo, 0x7f800000, v29
                                        ; implicit-def: $vgpr29
	s_wait_xcnt 0x0
	s_and_saveexec_b32 s24, vcc_lo
	s_xor_b32 s24, exec_lo, s24
; %bb.65:                               ;   in Loop: Header=BB420_4 Depth=1
	v_bfe_u32 v29, v28, 16, 1
	s_delay_alu instid0(VALU_DEP_1)
	v_add3_u32 v29, v28, v29, 0x7fff
                                        ; implicit-def: $vgpr28
; %bb.66:                               ;   in Loop: Header=BB420_4 Depth=1
	s_and_not1_saveexec_b32 s24, s24
; %bb.67:                               ;   in Loop: Header=BB420_4 Depth=1
	v_and_b32_e32 v29, 0xffff, v28
	v_or_b32_e32 v30, 0x10000, v28
	s_delay_alu instid0(VALU_DEP_2) | instskip(NEXT) | instid1(VALU_DEP_2)
	v_cmp_eq_u32_e32 vcc_lo, 0, v29
	v_cndmask_b32_e32 v29, v30, v28, vcc_lo
; %bb.68:                               ;   in Loop: Header=BB420_4 Depth=1
	s_or_b32 exec_lo, exec_lo, s24
	v_mul_f32_e32 v28, s2, v11
	s_mov_b32 s24, exec_lo
	global_store_d16_hi_b16 v[26:27], v29, off offset:64
                                        ; implicit-def: $vgpr29
	v_and_b32_e32 v30, 0x7f800000, v28
	s_wait_xcnt 0x0
	s_delay_alu instid0(VALU_DEP_1)
	v_cmpx_ne_u32_e32 0x7f800000, v30
	s_xor_b32 s24, exec_lo, s24
; %bb.69:                               ;   in Loop: Header=BB420_4 Depth=1
	v_bfe_u32 v29, v28, 16, 1
	s_delay_alu instid0(VALU_DEP_1)
	v_add3_u32 v29, v28, v29, 0x7fff
                                        ; implicit-def: $vgpr28
; %bb.70:                               ;   in Loop: Header=BB420_4 Depth=1
	s_and_not1_saveexec_b32 s24, s24
; %bb.71:                               ;   in Loop: Header=BB420_4 Depth=1
	v_and_b32_e32 v29, 0xffff, v28
	v_or_b32_e32 v30, 0x10000, v28
	s_delay_alu instid0(VALU_DEP_2) | instskip(NEXT) | instid1(VALU_DEP_2)
	v_cmp_eq_u32_e32 vcc_lo, 0, v29
	v_cndmask_b32_e32 v29, v30, v28, vcc_lo
; %bb.72:                               ;   in Loop: Header=BB420_4 Depth=1
	s_or_b32 exec_lo, exec_lo, s24
	global_store_d16_hi_b16 v[26:27], v29, off offset:96
	s_branch .LBB420_3
.LBB420_73:                             ;   in Loop: Header=BB420_4 Depth=1
	s_cbranch_execz .LBB420_3
; %bb.74:                               ;   in Loop: Header=BB420_4 Depth=1
	s_mul_u64 s[24:25], s[8:9], s[28:29]
	s_wait_xcnt 0x0
	v_lshl_add_u64 v[26:27], s[24:25], 1, v[4:5]
	s_delay_alu instid0(VALU_DEP_1) | instskip(SKIP_3) | instid1(VALU_DEP_1)
	v_lshl_add_u64 v[30:31], v[2:3], 1, v[26:27]
	global_load_u16 v28, v[30:31], off
	s_wait_loadcnt 0x0
	v_lshlrev_b32_e32 v28, 16, v28
	v_mul_f32_e32 v28, s30, v28
	s_delay_alu instid0(VALU_DEP_1) | instskip(NEXT) | instid1(VALU_DEP_1)
	v_and_b32_e32 v29, 0x7f800000, v28
	v_cmp_ne_u32_e32 vcc_lo, 0x7f800000, v29
                                        ; implicit-def: $vgpr29
	s_wait_xcnt 0x0
	s_and_saveexec_b32 s24, vcc_lo
	s_delay_alu instid0(SALU_CYCLE_1)
	s_xor_b32 s24, exec_lo, s24
; %bb.75:                               ;   in Loop: Header=BB420_4 Depth=1
	v_bfe_u32 v29, v28, 16, 1
	s_delay_alu instid0(VALU_DEP_1)
	v_add3_u32 v29, v28, v29, 0x7fff
                                        ; implicit-def: $vgpr28
; %bb.76:                               ;   in Loop: Header=BB420_4 Depth=1
	s_and_not1_saveexec_b32 s24, s24
; %bb.77:                               ;   in Loop: Header=BB420_4 Depth=1
	v_and_b32_e32 v29, 0xffff, v28
	v_or_b32_e32 v32, 0x10000, v28
	s_delay_alu instid0(VALU_DEP_2) | instskip(NEXT) | instid1(VALU_DEP_2)
	v_cmp_eq_u32_e32 vcc_lo, 0, v29
	v_cndmask_b32_e32 v29, v32, v28, vcc_lo
; %bb.78:                               ;   in Loop: Header=BB420_4 Depth=1
	s_or_b32 exec_lo, exec_lo, s24
	s_delay_alu instid0(VALU_DEP_1) | instskip(SKIP_1) | instid1(VALU_DEP_1)
	v_fma_mix_f32_bf16 v24, s2, v24, v29 op_sel:[0,0,1] op_sel_hi:[0,0,1]
	s_mov_b32 s24, exec_lo
                                        ; implicit-def: $vgpr38
	v_and_b32_e32 v28, 0x7f800000, v24
	s_delay_alu instid0(VALU_DEP_1)
	v_cmpx_ne_u32_e32 0x7f800000, v28
	s_xor_b32 s24, exec_lo, s24
; %bb.79:                               ;   in Loop: Header=BB420_4 Depth=1
	v_bfe_u32 v28, v24, 16, 1
	s_delay_alu instid0(VALU_DEP_1)
	v_add3_u32 v38, v24, v28, 0x7fff
                                        ; implicit-def: $vgpr24
; %bb.80:                               ;   in Loop: Header=BB420_4 Depth=1
	s_and_not1_saveexec_b32 s24, s24
; %bb.81:                               ;   in Loop: Header=BB420_4 Depth=1
	v_and_b32_e32 v28, 0xffff, v24
	v_or_b32_e32 v29, 0x10000, v24
	s_delay_alu instid0(VALU_DEP_2) | instskip(NEXT) | instid1(VALU_DEP_2)
	v_cmp_eq_u32_e32 vcc_lo, 0, v28
	v_cndmask_b32_e32 v38, v29, v24, vcc_lo
; %bb.82:                               ;   in Loop: Header=BB420_4 Depth=1
	s_or_b32 exec_lo, exec_lo, s24
	v_lshl_add_u64 v[28:29], v[0:1], 1, s[18:19]
	s_delay_alu instid0(VALU_DEP_1) | instskip(SKIP_4) | instid1(VALU_DEP_1)
	v_lshl_add_u64 v[32:33], v[2:3], 1, v[28:29]
	global_store_d16_hi_b16 v[32:33], v38, off
	global_load_u16 v24, v[30:31], off offset:32
	s_wait_loadcnt 0x0
	v_lshlrev_b32_e32 v24, 16, v24
	v_mul_f32_e32 v24, s30, v24
	s_wait_xcnt 0x1
	s_delay_alu instid0(VALU_DEP_1) | instskip(NEXT) | instid1(VALU_DEP_1)
	v_and_b32_e32 v38, 0x7f800000, v24
	v_cmp_ne_u32_e32 vcc_lo, 0x7f800000, v38
                                        ; implicit-def: $vgpr38
	s_wait_xcnt 0x0
	s_and_saveexec_b32 s18, vcc_lo
	s_delay_alu instid0(SALU_CYCLE_1)
	s_xor_b32 s18, exec_lo, s18
; %bb.83:                               ;   in Loop: Header=BB420_4 Depth=1
	v_bfe_u32 v38, v24, 16, 1
	s_delay_alu instid0(VALU_DEP_1)
	v_add3_u32 v38, v24, v38, 0x7fff
                                        ; implicit-def: $vgpr24
; %bb.84:                               ;   in Loop: Header=BB420_4 Depth=1
	s_and_not1_saveexec_b32 s18, s18
; %bb.85:                               ;   in Loop: Header=BB420_4 Depth=1
	v_and_b32_e32 v38, 0xffff, v24
	v_or_b32_e32 v39, 0x10000, v24
	s_delay_alu instid0(VALU_DEP_2) | instskip(NEXT) | instid1(VALU_DEP_2)
	v_cmp_eq_u32_e32 vcc_lo, 0, v38
	v_cndmask_b32_e32 v38, v39, v24, vcc_lo
; %bb.86:                               ;   in Loop: Header=BB420_4 Depth=1
	s_or_b32 exec_lo, exec_lo, s18
	s_delay_alu instid0(VALU_DEP_1) | instskip(NEXT) | instid1(VALU_DEP_1)
	v_fma_mix_f32_bf16 v24, s2, v25, v38 op_sel:[0,0,1] op_sel_hi:[0,0,1]
	v_and_b32_e32 v25, 0x7f800000, v24
	s_delay_alu instid0(VALU_DEP_1) | instskip(SKIP_1) | instid1(SALU_CYCLE_1)
	v_cmp_ne_u32_e32 vcc_lo, 0x7f800000, v25
                                        ; implicit-def: $vgpr25
	s_and_saveexec_b32 s18, vcc_lo
	s_xor_b32 s18, exec_lo, s18
; %bb.87:                               ;   in Loop: Header=BB420_4 Depth=1
	v_bfe_u32 v25, v24, 16, 1
	s_delay_alu instid0(VALU_DEP_1)
	v_add3_u32 v25, v24, v25, 0x7fff
                                        ; implicit-def: $vgpr24
; %bb.88:                               ;   in Loop: Header=BB420_4 Depth=1
	s_and_not1_saveexec_b32 s18, s18
; %bb.89:                               ;   in Loop: Header=BB420_4 Depth=1
	v_and_b32_e32 v25, 0xffff, v24
	v_or_b32_e32 v38, 0x10000, v24
	s_delay_alu instid0(VALU_DEP_2) | instskip(NEXT) | instid1(VALU_DEP_2)
	v_cmp_eq_u32_e32 vcc_lo, 0, v25
	v_cndmask_b32_e32 v25, v38, v24, vcc_lo
; %bb.90:                               ;   in Loop: Header=BB420_4 Depth=1
	s_or_b32 exec_lo, exec_lo, s18
	global_store_d16_hi_b16 v[32:33], v25, off offset:32
	global_load_u16 v24, v[30:31], off offset:64
	s_wait_loadcnt 0x0
	v_lshlrev_b32_e32 v24, 16, v24
	s_delay_alu instid0(VALU_DEP_1) | instskip(SKIP_1) | instid1(VALU_DEP_1)
	v_mul_f32_e32 v24, s30, v24
	s_wait_xcnt 0x1
	v_and_b32_e32 v25, 0x7f800000, v24
	s_delay_alu instid0(VALU_DEP_1) | instskip(SKIP_2) | instid1(SALU_CYCLE_1)
	v_cmp_ne_u32_e32 vcc_lo, 0x7f800000, v25
                                        ; implicit-def: $vgpr25
	s_wait_xcnt 0x0
	s_and_saveexec_b32 s18, vcc_lo
	s_xor_b32 s18, exec_lo, s18
; %bb.91:                               ;   in Loop: Header=BB420_4 Depth=1
	v_bfe_u32 v25, v24, 16, 1
	s_delay_alu instid0(VALU_DEP_1)
	v_add3_u32 v25, v24, v25, 0x7fff
                                        ; implicit-def: $vgpr24
; %bb.92:                               ;   in Loop: Header=BB420_4 Depth=1
	s_and_not1_saveexec_b32 s18, s18
; %bb.93:                               ;   in Loop: Header=BB420_4 Depth=1
	v_and_b32_e32 v25, 0xffff, v24
	v_or_b32_e32 v38, 0x10000, v24
	s_delay_alu instid0(VALU_DEP_2) | instskip(NEXT) | instid1(VALU_DEP_2)
	v_cmp_eq_u32_e32 vcc_lo, 0, v25
	v_cndmask_b32_e32 v25, v38, v24, vcc_lo
; %bb.94:                               ;   in Loop: Header=BB420_4 Depth=1
	s_or_b32 exec_lo, exec_lo, s18
	s_delay_alu instid0(VALU_DEP_1) | instskip(NEXT) | instid1(VALU_DEP_1)
	v_fma_mix_f32_bf16 v22, s2, v22, v25 op_sel:[0,0,1] op_sel_hi:[0,0,1]
	v_and_b32_e32 v24, 0x7f800000, v22
	s_delay_alu instid0(VALU_DEP_1) | instskip(SKIP_1) | instid1(SALU_CYCLE_1)
	v_cmp_ne_u32_e32 vcc_lo, 0x7f800000, v24
                                        ; implicit-def: $vgpr24
	s_and_saveexec_b32 s18, vcc_lo
	s_xor_b32 s18, exec_lo, s18
; %bb.95:                               ;   in Loop: Header=BB420_4 Depth=1
	v_bfe_u32 v24, v22, 16, 1
	s_delay_alu instid0(VALU_DEP_1)
	v_add3_u32 v24, v22, v24, 0x7fff
                                        ; implicit-def: $vgpr22
; %bb.96:                               ;   in Loop: Header=BB420_4 Depth=1
	s_and_not1_saveexec_b32 s18, s18
; %bb.97:                               ;   in Loop: Header=BB420_4 Depth=1
	v_and_b32_e32 v24, 0xffff, v22
	v_or_b32_e32 v25, 0x10000, v22
	s_delay_alu instid0(VALU_DEP_2) | instskip(NEXT) | instid1(VALU_DEP_2)
	v_cmp_eq_u32_e32 vcc_lo, 0, v24
	v_cndmask_b32_e32 v24, v25, v22, vcc_lo
; %bb.98:                               ;   in Loop: Header=BB420_4 Depth=1
	s_or_b32 exec_lo, exec_lo, s18
	global_store_d16_hi_b16 v[32:33], v24, off offset:64
	global_load_u16 v22, v[30:31], off offset:96
	s_wait_loadcnt 0x0
	v_lshlrev_b32_e32 v22, 16, v22
	s_delay_alu instid0(VALU_DEP_1) | instskip(SKIP_1) | instid1(VALU_DEP_1)
	v_mul_f32_e32 v22, s30, v22
	s_wait_xcnt 0x1
	v_and_b32_e32 v24, 0x7f800000, v22
	s_delay_alu instid0(VALU_DEP_1) | instskip(SKIP_2) | instid1(SALU_CYCLE_1)
	v_cmp_ne_u32_e32 vcc_lo, 0x7f800000, v24
                                        ; implicit-def: $vgpr24
	s_wait_xcnt 0x0
	s_and_saveexec_b32 s18, vcc_lo
	s_xor_b32 s18, exec_lo, s18
; %bb.99:                               ;   in Loop: Header=BB420_4 Depth=1
	v_bfe_u32 v24, v22, 16, 1
	s_delay_alu instid0(VALU_DEP_1)
	v_add3_u32 v24, v22, v24, 0x7fff
                                        ; implicit-def: $vgpr22
; %bb.100:                              ;   in Loop: Header=BB420_4 Depth=1
	s_and_not1_saveexec_b32 s18, s18
; %bb.101:                              ;   in Loop: Header=BB420_4 Depth=1
	v_and_b32_e32 v24, 0xffff, v22
	v_or_b32_e32 v25, 0x10000, v22
	s_delay_alu instid0(VALU_DEP_2) | instskip(NEXT) | instid1(VALU_DEP_2)
	v_cmp_eq_u32_e32 vcc_lo, 0, v24
	v_cndmask_b32_e32 v24, v25, v22, vcc_lo
; %bb.102:                              ;   in Loop: Header=BB420_4 Depth=1
	s_or_b32 exec_lo, exec_lo, s18
	s_delay_alu instid0(VALU_DEP_1) | instskip(SKIP_1) | instid1(VALU_DEP_1)
	v_fma_mix_f32_bf16 v22, s2, v23, v24 op_sel:[0,0,1] op_sel_hi:[0,0,1]
	s_mov_b32 s18, exec_lo
                                        ; implicit-def: $vgpr24
	v_and_b32_e32 v23, 0x7f800000, v22
	s_delay_alu instid0(VALU_DEP_1)
	v_cmpx_ne_u32_e32 0x7f800000, v23
	s_xor_b32 s18, exec_lo, s18
; %bb.103:                              ;   in Loop: Header=BB420_4 Depth=1
	v_bfe_u32 v23, v22, 16, 1
	s_delay_alu instid0(VALU_DEP_1)
	v_add3_u32 v24, v22, v23, 0x7fff
                                        ; implicit-def: $vgpr22
; %bb.104:                              ;   in Loop: Header=BB420_4 Depth=1
	s_and_not1_saveexec_b32 s18, s18
; %bb.105:                              ;   in Loop: Header=BB420_4 Depth=1
	v_and_b32_e32 v23, 0xffff, v22
	v_or_b32_e32 v24, 0x10000, v22
	s_delay_alu instid0(VALU_DEP_2) | instskip(NEXT) | instid1(VALU_DEP_2)
	v_cmp_eq_u32_e32 vcc_lo, 0, v23
	v_cndmask_b32_e32 v24, v24, v22, vcc_lo
; %bb.106:                              ;   in Loop: Header=BB420_4 Depth=1
	s_or_b32 exec_lo, exec_lo, s18
	v_lshl_add_u64 v[22:23], s[6:7], 1, v[26:27]
	global_store_d16_hi_b16 v[32:33], v24, off offset:96
	v_lshl_add_u64 v[26:27], v[2:3], 1, v[22:23]
	global_load_u16 v24, v[26:27], off
	s_wait_loadcnt 0x0
	v_lshlrev_b32_e32 v24, 16, v24
	s_delay_alu instid0(VALU_DEP_1) | instskip(NEXT) | instid1(VALU_DEP_1)
	v_mul_f32_e32 v24, s30, v24
	v_and_b32_e32 v25, 0x7f800000, v24
	s_delay_alu instid0(VALU_DEP_1) | instskip(SKIP_2) | instid1(SALU_CYCLE_1)
	v_cmp_ne_u32_e32 vcc_lo, 0x7f800000, v25
                                        ; implicit-def: $vgpr25
	s_wait_xcnt 0x0
	s_and_saveexec_b32 s18, vcc_lo
	s_xor_b32 s18, exec_lo, s18
; %bb.107:                              ;   in Loop: Header=BB420_4 Depth=1
	v_bfe_u32 v25, v24, 16, 1
	s_delay_alu instid0(VALU_DEP_1)
	v_add3_u32 v25, v24, v25, 0x7fff
                                        ; implicit-def: $vgpr24
; %bb.108:                              ;   in Loop: Header=BB420_4 Depth=1
	s_and_not1_saveexec_b32 s18, s18
; %bb.109:                              ;   in Loop: Header=BB420_4 Depth=1
	v_and_b32_e32 v25, 0xffff, v24
	v_or_b32_e32 v30, 0x10000, v24
	s_delay_alu instid0(VALU_DEP_2) | instskip(NEXT) | instid1(VALU_DEP_2)
	v_cmp_eq_u32_e32 vcc_lo, 0, v25
	v_cndmask_b32_e32 v25, v30, v24, vcc_lo
; %bb.110:                              ;   in Loop: Header=BB420_4 Depth=1
	s_or_b32 exec_lo, exec_lo, s18
	s_delay_alu instid0(VALU_DEP_1) | instskip(SKIP_1) | instid1(VALU_DEP_1)
	v_fma_mix_f32_bf16 v20, s2, v20, v25 op_sel:[0,0,1] op_sel_hi:[0,0,1]
	s_mov_b32 s18, exec_lo
                                        ; implicit-def: $vgpr30
	v_and_b32_e32 v24, 0x7f800000, v20
	s_delay_alu instid0(VALU_DEP_1)
	v_cmpx_ne_u32_e32 0x7f800000, v24
	s_xor_b32 s18, exec_lo, s18
; %bb.111:                              ;   in Loop: Header=BB420_4 Depth=1
	v_bfe_u32 v24, v20, 16, 1
	s_delay_alu instid0(VALU_DEP_1)
	v_add3_u32 v30, v20, v24, 0x7fff
                                        ; implicit-def: $vgpr20
; %bb.112:                              ;   in Loop: Header=BB420_4 Depth=1
	s_and_not1_saveexec_b32 s18, s18
; %bb.113:                              ;   in Loop: Header=BB420_4 Depth=1
	v_and_b32_e32 v24, 0xffff, v20
	v_or_b32_e32 v25, 0x10000, v20
	s_delay_alu instid0(VALU_DEP_2) | instskip(NEXT) | instid1(VALU_DEP_2)
	v_cmp_eq_u32_e32 vcc_lo, 0, v24
	v_cndmask_b32_e32 v30, v25, v20, vcc_lo
; %bb.114:                              ;   in Loop: Header=BB420_4 Depth=1
	s_or_b32 exec_lo, exec_lo, s18
	v_lshl_add_u64 v[24:25], s[20:21], 1, v[28:29]
	s_delay_alu instid0(VALU_DEP_1) | instskip(SKIP_4) | instid1(VALU_DEP_1)
	v_lshl_add_u64 v[28:29], v[2:3], 1, v[24:25]
	global_store_d16_hi_b16 v[28:29], v30, off
	global_load_u16 v20, v[26:27], off offset:32
	s_wait_loadcnt 0x0
	v_lshlrev_b32_e32 v20, 16, v20
	v_mul_f32_e32 v20, s30, v20
	s_wait_xcnt 0x1
	s_delay_alu instid0(VALU_DEP_1) | instskip(NEXT) | instid1(VALU_DEP_1)
	v_and_b32_e32 v30, 0x7f800000, v20
	v_cmp_ne_u32_e32 vcc_lo, 0x7f800000, v30
                                        ; implicit-def: $vgpr30
	s_wait_xcnt 0x0
	s_and_saveexec_b32 s18, vcc_lo
	s_delay_alu instid0(SALU_CYCLE_1)
	s_xor_b32 s18, exec_lo, s18
; %bb.115:                              ;   in Loop: Header=BB420_4 Depth=1
	v_bfe_u32 v30, v20, 16, 1
	s_delay_alu instid0(VALU_DEP_1)
	v_add3_u32 v30, v20, v30, 0x7fff
                                        ; implicit-def: $vgpr20
; %bb.116:                              ;   in Loop: Header=BB420_4 Depth=1
	s_and_not1_saveexec_b32 s18, s18
; %bb.117:                              ;   in Loop: Header=BB420_4 Depth=1
	v_and_b32_e32 v30, 0xffff, v20
	v_or_b32_e32 v31, 0x10000, v20
	s_delay_alu instid0(VALU_DEP_2) | instskip(NEXT) | instid1(VALU_DEP_2)
	v_cmp_eq_u32_e32 vcc_lo, 0, v30
	v_cndmask_b32_e32 v30, v31, v20, vcc_lo
; %bb.118:                              ;   in Loop: Header=BB420_4 Depth=1
	s_or_b32 exec_lo, exec_lo, s18
	s_delay_alu instid0(VALU_DEP_1) | instskip(NEXT) | instid1(VALU_DEP_1)
	v_fma_mix_f32_bf16 v20, s2, v21, v30 op_sel:[0,0,1] op_sel_hi:[0,0,1]
	v_and_b32_e32 v21, 0x7f800000, v20
	s_delay_alu instid0(VALU_DEP_1) | instskip(SKIP_1) | instid1(SALU_CYCLE_1)
	v_cmp_ne_u32_e32 vcc_lo, 0x7f800000, v21
                                        ; implicit-def: $vgpr21
	s_and_saveexec_b32 s18, vcc_lo
	s_xor_b32 s18, exec_lo, s18
; %bb.119:                              ;   in Loop: Header=BB420_4 Depth=1
	v_bfe_u32 v21, v20, 16, 1
	s_delay_alu instid0(VALU_DEP_1)
	v_add3_u32 v21, v20, v21, 0x7fff
                                        ; implicit-def: $vgpr20
; %bb.120:                              ;   in Loop: Header=BB420_4 Depth=1
	s_and_not1_saveexec_b32 s18, s18
; %bb.121:                              ;   in Loop: Header=BB420_4 Depth=1
	v_and_b32_e32 v21, 0xffff, v20
	v_or_b32_e32 v30, 0x10000, v20
	s_delay_alu instid0(VALU_DEP_2) | instskip(NEXT) | instid1(VALU_DEP_2)
	v_cmp_eq_u32_e32 vcc_lo, 0, v21
	v_cndmask_b32_e32 v21, v30, v20, vcc_lo
; %bb.122:                              ;   in Loop: Header=BB420_4 Depth=1
	s_or_b32 exec_lo, exec_lo, s18
	global_store_d16_hi_b16 v[28:29], v21, off offset:32
	global_load_u16 v20, v[26:27], off offset:64
	s_wait_loadcnt 0x0
	v_lshlrev_b32_e32 v20, 16, v20
	s_delay_alu instid0(VALU_DEP_1) | instskip(SKIP_1) | instid1(VALU_DEP_1)
	v_mul_f32_e32 v20, s30, v20
	s_wait_xcnt 0x1
	v_and_b32_e32 v21, 0x7f800000, v20
	s_delay_alu instid0(VALU_DEP_1) | instskip(SKIP_2) | instid1(SALU_CYCLE_1)
	v_cmp_ne_u32_e32 vcc_lo, 0x7f800000, v21
                                        ; implicit-def: $vgpr21
	s_wait_xcnt 0x0
	s_and_saveexec_b32 s18, vcc_lo
	s_xor_b32 s18, exec_lo, s18
; %bb.123:                              ;   in Loop: Header=BB420_4 Depth=1
	v_bfe_u32 v21, v20, 16, 1
	s_delay_alu instid0(VALU_DEP_1)
	v_add3_u32 v21, v20, v21, 0x7fff
                                        ; implicit-def: $vgpr20
; %bb.124:                              ;   in Loop: Header=BB420_4 Depth=1
	s_and_not1_saveexec_b32 s18, s18
; %bb.125:                              ;   in Loop: Header=BB420_4 Depth=1
	v_and_b32_e32 v21, 0xffff, v20
	v_or_b32_e32 v30, 0x10000, v20
	s_delay_alu instid0(VALU_DEP_2) | instskip(NEXT) | instid1(VALU_DEP_2)
	v_cmp_eq_u32_e32 vcc_lo, 0, v21
	v_cndmask_b32_e32 v21, v30, v20, vcc_lo
; %bb.126:                              ;   in Loop: Header=BB420_4 Depth=1
	s_or_b32 exec_lo, exec_lo, s18
	s_delay_alu instid0(VALU_DEP_1) | instskip(NEXT) | instid1(VALU_DEP_1)
	v_fma_mix_f32_bf16 v18, s2, v18, v21 op_sel:[0,0,1] op_sel_hi:[0,0,1]
	v_and_b32_e32 v20, 0x7f800000, v18
	s_delay_alu instid0(VALU_DEP_1) | instskip(SKIP_1) | instid1(SALU_CYCLE_1)
	v_cmp_ne_u32_e32 vcc_lo, 0x7f800000, v20
                                        ; implicit-def: $vgpr20
	s_and_saveexec_b32 s18, vcc_lo
	s_xor_b32 s18, exec_lo, s18
; %bb.127:                              ;   in Loop: Header=BB420_4 Depth=1
	v_bfe_u32 v20, v18, 16, 1
	s_delay_alu instid0(VALU_DEP_1)
	v_add3_u32 v20, v18, v20, 0x7fff
                                        ; implicit-def: $vgpr18
; %bb.128:                              ;   in Loop: Header=BB420_4 Depth=1
	s_and_not1_saveexec_b32 s18, s18
; %bb.129:                              ;   in Loop: Header=BB420_4 Depth=1
	v_and_b32_e32 v20, 0xffff, v18
	v_or_b32_e32 v21, 0x10000, v18
	s_delay_alu instid0(VALU_DEP_2) | instskip(NEXT) | instid1(VALU_DEP_2)
	v_cmp_eq_u32_e32 vcc_lo, 0, v20
	v_cndmask_b32_e32 v20, v21, v18, vcc_lo
; %bb.130:                              ;   in Loop: Header=BB420_4 Depth=1
	s_or_b32 exec_lo, exec_lo, s18
	global_store_d16_hi_b16 v[28:29], v20, off offset:64
	global_load_u16 v18, v[26:27], off offset:96
	s_wait_loadcnt 0x0
	v_lshlrev_b32_e32 v18, 16, v18
	s_delay_alu instid0(VALU_DEP_1) | instskip(SKIP_1) | instid1(VALU_DEP_1)
	v_mul_f32_e32 v18, s30, v18
	s_wait_xcnt 0x1
	v_and_b32_e32 v20, 0x7f800000, v18
	s_delay_alu instid0(VALU_DEP_1) | instskip(SKIP_2) | instid1(SALU_CYCLE_1)
	v_cmp_ne_u32_e32 vcc_lo, 0x7f800000, v20
                                        ; implicit-def: $vgpr20
	s_wait_xcnt 0x0
	s_and_saveexec_b32 s18, vcc_lo
	s_xor_b32 s18, exec_lo, s18
; %bb.131:                              ;   in Loop: Header=BB420_4 Depth=1
	v_bfe_u32 v20, v18, 16, 1
	s_delay_alu instid0(VALU_DEP_1)
	v_add3_u32 v20, v18, v20, 0x7fff
                                        ; implicit-def: $vgpr18
; %bb.132:                              ;   in Loop: Header=BB420_4 Depth=1
	s_and_not1_saveexec_b32 s18, s18
; %bb.133:                              ;   in Loop: Header=BB420_4 Depth=1
	v_and_b32_e32 v20, 0xffff, v18
	v_or_b32_e32 v21, 0x10000, v18
	s_delay_alu instid0(VALU_DEP_2) | instskip(NEXT) | instid1(VALU_DEP_2)
	v_cmp_eq_u32_e32 vcc_lo, 0, v20
	v_cndmask_b32_e32 v20, v21, v18, vcc_lo
; %bb.134:                              ;   in Loop: Header=BB420_4 Depth=1
	s_or_b32 exec_lo, exec_lo, s18
	s_delay_alu instid0(VALU_DEP_1) | instskip(SKIP_1) | instid1(VALU_DEP_1)
	v_fma_mix_f32_bf16 v18, s2, v19, v20 op_sel:[0,0,1] op_sel_hi:[0,0,1]
	s_mov_b32 s18, exec_lo
                                        ; implicit-def: $vgpr20
	v_and_b32_e32 v19, 0x7f800000, v18
	s_delay_alu instid0(VALU_DEP_1)
	v_cmpx_ne_u32_e32 0x7f800000, v19
	s_xor_b32 s18, exec_lo, s18
; %bb.135:                              ;   in Loop: Header=BB420_4 Depth=1
	v_bfe_u32 v19, v18, 16, 1
	s_delay_alu instid0(VALU_DEP_1)
	v_add3_u32 v20, v18, v19, 0x7fff
                                        ; implicit-def: $vgpr18
; %bb.136:                              ;   in Loop: Header=BB420_4 Depth=1
	s_and_not1_saveexec_b32 s18, s18
; %bb.137:                              ;   in Loop: Header=BB420_4 Depth=1
	v_and_b32_e32 v19, 0xffff, v18
	v_or_b32_e32 v20, 0x10000, v18
	s_delay_alu instid0(VALU_DEP_2) | instskip(NEXT) | instid1(VALU_DEP_2)
	v_cmp_eq_u32_e32 vcc_lo, 0, v19
	v_cndmask_b32_e32 v20, v20, v18, vcc_lo
; %bb.138:                              ;   in Loop: Header=BB420_4 Depth=1
	s_or_b32 exec_lo, exec_lo, s18
	v_lshl_add_u64 v[18:19], s[6:7], 1, v[22:23]
	global_store_d16_hi_b16 v[28:29], v20, off offset:96
	v_lshl_add_u64 v[22:23], v[2:3], 1, v[18:19]
	global_load_u16 v20, v[22:23], off
	s_wait_loadcnt 0x0
	v_lshlrev_b32_e32 v20, 16, v20
	s_delay_alu instid0(VALU_DEP_1) | instskip(NEXT) | instid1(VALU_DEP_1)
	v_mul_f32_e32 v20, s30, v20
	v_and_b32_e32 v21, 0x7f800000, v20
	s_delay_alu instid0(VALU_DEP_1) | instskip(SKIP_2) | instid1(SALU_CYCLE_1)
	v_cmp_ne_u32_e32 vcc_lo, 0x7f800000, v21
                                        ; implicit-def: $vgpr21
	s_wait_xcnt 0x0
	s_and_saveexec_b32 s18, vcc_lo
	s_xor_b32 s18, exec_lo, s18
; %bb.139:                              ;   in Loop: Header=BB420_4 Depth=1
	v_bfe_u32 v21, v20, 16, 1
	s_delay_alu instid0(VALU_DEP_1)
	v_add3_u32 v21, v20, v21, 0x7fff
                                        ; implicit-def: $vgpr20
; %bb.140:                              ;   in Loop: Header=BB420_4 Depth=1
	s_and_not1_saveexec_b32 s18, s18
; %bb.141:                              ;   in Loop: Header=BB420_4 Depth=1
	v_and_b32_e32 v21, 0xffff, v20
	v_or_b32_e32 v26, 0x10000, v20
	s_delay_alu instid0(VALU_DEP_2) | instskip(NEXT) | instid1(VALU_DEP_2)
	v_cmp_eq_u32_e32 vcc_lo, 0, v21
	v_cndmask_b32_e32 v21, v26, v20, vcc_lo
; %bb.142:                              ;   in Loop: Header=BB420_4 Depth=1
	s_or_b32 exec_lo, exec_lo, s18
	s_delay_alu instid0(VALU_DEP_1) | instskip(SKIP_1) | instid1(VALU_DEP_1)
	v_fma_mix_f32_bf16 v16, s2, v16, v21 op_sel:[0,0,1] op_sel_hi:[0,0,1]
	s_mov_b32 s18, exec_lo
                                        ; implicit-def: $vgpr26
	v_and_b32_e32 v20, 0x7f800000, v16
	s_delay_alu instid0(VALU_DEP_1)
	v_cmpx_ne_u32_e32 0x7f800000, v20
	s_xor_b32 s18, exec_lo, s18
; %bb.143:                              ;   in Loop: Header=BB420_4 Depth=1
	v_bfe_u32 v20, v16, 16, 1
	s_delay_alu instid0(VALU_DEP_1)
	v_add3_u32 v26, v16, v20, 0x7fff
                                        ; implicit-def: $vgpr16
; %bb.144:                              ;   in Loop: Header=BB420_4 Depth=1
	s_and_not1_saveexec_b32 s18, s18
; %bb.145:                              ;   in Loop: Header=BB420_4 Depth=1
	v_and_b32_e32 v20, 0xffff, v16
	v_or_b32_e32 v21, 0x10000, v16
	s_delay_alu instid0(VALU_DEP_2) | instskip(NEXT) | instid1(VALU_DEP_2)
	v_cmp_eq_u32_e32 vcc_lo, 0, v20
	v_cndmask_b32_e32 v26, v21, v16, vcc_lo
; %bb.146:                              ;   in Loop: Header=BB420_4 Depth=1
	s_or_b32 exec_lo, exec_lo, s18
	v_lshl_add_u64 v[20:21], s[20:21], 1, v[24:25]
	s_delay_alu instid0(VALU_DEP_1) | instskip(SKIP_4) | instid1(VALU_DEP_1)
	v_lshl_add_u64 v[24:25], v[2:3], 1, v[20:21]
	global_store_d16_hi_b16 v[24:25], v26, off
	global_load_u16 v16, v[22:23], off offset:32
	s_wait_loadcnt 0x0
	v_lshlrev_b32_e32 v16, 16, v16
	v_mul_f32_e32 v16, s30, v16
	s_wait_xcnt 0x1
	s_delay_alu instid0(VALU_DEP_1) | instskip(NEXT) | instid1(VALU_DEP_1)
	v_and_b32_e32 v26, 0x7f800000, v16
	v_cmp_ne_u32_e32 vcc_lo, 0x7f800000, v26
                                        ; implicit-def: $vgpr26
	s_wait_xcnt 0x0
	s_and_saveexec_b32 s18, vcc_lo
	s_delay_alu instid0(SALU_CYCLE_1)
	s_xor_b32 s18, exec_lo, s18
; %bb.147:                              ;   in Loop: Header=BB420_4 Depth=1
	v_bfe_u32 v26, v16, 16, 1
	s_delay_alu instid0(VALU_DEP_1)
	v_add3_u32 v26, v16, v26, 0x7fff
                                        ; implicit-def: $vgpr16
; %bb.148:                              ;   in Loop: Header=BB420_4 Depth=1
	s_and_not1_saveexec_b32 s18, s18
; %bb.149:                              ;   in Loop: Header=BB420_4 Depth=1
	v_and_b32_e32 v26, 0xffff, v16
	v_or_b32_e32 v27, 0x10000, v16
	s_delay_alu instid0(VALU_DEP_2) | instskip(NEXT) | instid1(VALU_DEP_2)
	v_cmp_eq_u32_e32 vcc_lo, 0, v26
	v_cndmask_b32_e32 v26, v27, v16, vcc_lo
; %bb.150:                              ;   in Loop: Header=BB420_4 Depth=1
	s_or_b32 exec_lo, exec_lo, s18
	s_delay_alu instid0(VALU_DEP_1) | instskip(NEXT) | instid1(VALU_DEP_1)
	v_fma_mix_f32_bf16 v16, s2, v17, v26 op_sel:[0,0,1] op_sel_hi:[0,0,1]
	v_and_b32_e32 v17, 0x7f800000, v16
	s_delay_alu instid0(VALU_DEP_1) | instskip(SKIP_1) | instid1(SALU_CYCLE_1)
	v_cmp_ne_u32_e32 vcc_lo, 0x7f800000, v17
                                        ; implicit-def: $vgpr17
	s_and_saveexec_b32 s18, vcc_lo
	s_xor_b32 s18, exec_lo, s18
; %bb.151:                              ;   in Loop: Header=BB420_4 Depth=1
	v_bfe_u32 v17, v16, 16, 1
	s_delay_alu instid0(VALU_DEP_1)
	v_add3_u32 v17, v16, v17, 0x7fff
                                        ; implicit-def: $vgpr16
; %bb.152:                              ;   in Loop: Header=BB420_4 Depth=1
	s_and_not1_saveexec_b32 s18, s18
; %bb.153:                              ;   in Loop: Header=BB420_4 Depth=1
	v_and_b32_e32 v17, 0xffff, v16
	v_or_b32_e32 v26, 0x10000, v16
	s_delay_alu instid0(VALU_DEP_2) | instskip(NEXT) | instid1(VALU_DEP_2)
	v_cmp_eq_u32_e32 vcc_lo, 0, v17
	v_cndmask_b32_e32 v17, v26, v16, vcc_lo
; %bb.154:                              ;   in Loop: Header=BB420_4 Depth=1
	s_or_b32 exec_lo, exec_lo, s18
	global_store_d16_hi_b16 v[24:25], v17, off offset:32
	global_load_u16 v16, v[22:23], off offset:64
	s_wait_loadcnt 0x0
	v_lshlrev_b32_e32 v16, 16, v16
	s_delay_alu instid0(VALU_DEP_1) | instskip(SKIP_1) | instid1(VALU_DEP_1)
	v_mul_f32_e32 v16, s30, v16
	s_wait_xcnt 0x1
	v_and_b32_e32 v17, 0x7f800000, v16
	s_delay_alu instid0(VALU_DEP_1) | instskip(SKIP_2) | instid1(SALU_CYCLE_1)
	v_cmp_ne_u32_e32 vcc_lo, 0x7f800000, v17
                                        ; implicit-def: $vgpr17
	s_wait_xcnt 0x0
	s_and_saveexec_b32 s18, vcc_lo
	s_xor_b32 s18, exec_lo, s18
; %bb.155:                              ;   in Loop: Header=BB420_4 Depth=1
	v_bfe_u32 v17, v16, 16, 1
	s_delay_alu instid0(VALU_DEP_1)
	v_add3_u32 v17, v16, v17, 0x7fff
                                        ; implicit-def: $vgpr16
; %bb.156:                              ;   in Loop: Header=BB420_4 Depth=1
	s_and_not1_saveexec_b32 s18, s18
; %bb.157:                              ;   in Loop: Header=BB420_4 Depth=1
	v_and_b32_e32 v17, 0xffff, v16
	v_or_b32_e32 v26, 0x10000, v16
	s_delay_alu instid0(VALU_DEP_2) | instskip(NEXT) | instid1(VALU_DEP_2)
	v_cmp_eq_u32_e32 vcc_lo, 0, v17
	v_cndmask_b32_e32 v17, v26, v16, vcc_lo
; %bb.158:                              ;   in Loop: Header=BB420_4 Depth=1
	s_or_b32 exec_lo, exec_lo, s18
	s_delay_alu instid0(VALU_DEP_1) | instskip(NEXT) | instid1(VALU_DEP_1)
	v_fma_mix_f32_bf16 v14, s2, v14, v17 op_sel:[0,0,1] op_sel_hi:[0,0,1]
	v_and_b32_e32 v16, 0x7f800000, v14
	s_delay_alu instid0(VALU_DEP_1) | instskip(SKIP_1) | instid1(SALU_CYCLE_1)
	v_cmp_ne_u32_e32 vcc_lo, 0x7f800000, v16
                                        ; implicit-def: $vgpr16
	s_and_saveexec_b32 s18, vcc_lo
	s_xor_b32 s18, exec_lo, s18
; %bb.159:                              ;   in Loop: Header=BB420_4 Depth=1
	v_bfe_u32 v16, v14, 16, 1
	s_delay_alu instid0(VALU_DEP_1)
	v_add3_u32 v16, v14, v16, 0x7fff
                                        ; implicit-def: $vgpr14
; %bb.160:                              ;   in Loop: Header=BB420_4 Depth=1
	s_and_not1_saveexec_b32 s18, s18
; %bb.161:                              ;   in Loop: Header=BB420_4 Depth=1
	v_and_b32_e32 v16, 0xffff, v14
	v_or_b32_e32 v17, 0x10000, v14
	s_delay_alu instid0(VALU_DEP_2) | instskip(NEXT) | instid1(VALU_DEP_2)
	v_cmp_eq_u32_e32 vcc_lo, 0, v16
	v_cndmask_b32_e32 v16, v17, v14, vcc_lo
; %bb.162:                              ;   in Loop: Header=BB420_4 Depth=1
	s_or_b32 exec_lo, exec_lo, s18
	global_store_d16_hi_b16 v[24:25], v16, off offset:64
	global_load_u16 v14, v[22:23], off offset:96
	s_wait_loadcnt 0x0
	v_lshlrev_b32_e32 v14, 16, v14
	s_delay_alu instid0(VALU_DEP_1) | instskip(SKIP_1) | instid1(VALU_DEP_1)
	v_mul_f32_e32 v14, s30, v14
	s_wait_xcnt 0x1
	v_and_b32_e32 v16, 0x7f800000, v14
	s_delay_alu instid0(VALU_DEP_1) | instskip(SKIP_2) | instid1(SALU_CYCLE_1)
	v_cmp_ne_u32_e32 vcc_lo, 0x7f800000, v16
                                        ; implicit-def: $vgpr16
	s_wait_xcnt 0x0
	s_and_saveexec_b32 s18, vcc_lo
	s_xor_b32 s18, exec_lo, s18
; %bb.163:                              ;   in Loop: Header=BB420_4 Depth=1
	v_bfe_u32 v16, v14, 16, 1
	s_delay_alu instid0(VALU_DEP_1)
	v_add3_u32 v16, v14, v16, 0x7fff
                                        ; implicit-def: $vgpr14
; %bb.164:                              ;   in Loop: Header=BB420_4 Depth=1
	s_and_not1_saveexec_b32 s18, s18
; %bb.165:                              ;   in Loop: Header=BB420_4 Depth=1
	v_and_b32_e32 v16, 0xffff, v14
	v_or_b32_e32 v17, 0x10000, v14
	s_delay_alu instid0(VALU_DEP_2) | instskip(NEXT) | instid1(VALU_DEP_2)
	v_cmp_eq_u32_e32 vcc_lo, 0, v16
	v_cndmask_b32_e32 v16, v17, v14, vcc_lo
; %bb.166:                              ;   in Loop: Header=BB420_4 Depth=1
	s_or_b32 exec_lo, exec_lo, s18
	s_delay_alu instid0(VALU_DEP_1) | instskip(SKIP_1) | instid1(VALU_DEP_1)
	v_fma_mix_f32_bf16 v14, s2, v15, v16 op_sel:[0,0,1] op_sel_hi:[0,0,1]
	s_mov_b32 s18, exec_lo
                                        ; implicit-def: $vgpr16
	v_and_b32_e32 v15, 0x7f800000, v14
	s_delay_alu instid0(VALU_DEP_1)
	v_cmpx_ne_u32_e32 0x7f800000, v15
	s_xor_b32 s18, exec_lo, s18
; %bb.167:                              ;   in Loop: Header=BB420_4 Depth=1
	v_bfe_u32 v15, v14, 16, 1
	s_delay_alu instid0(VALU_DEP_1)
	v_add3_u32 v16, v14, v15, 0x7fff
                                        ; implicit-def: $vgpr14
; %bb.168:                              ;   in Loop: Header=BB420_4 Depth=1
	s_and_not1_saveexec_b32 s18, s18
; %bb.169:                              ;   in Loop: Header=BB420_4 Depth=1
	v_and_b32_e32 v15, 0xffff, v14
	v_or_b32_e32 v16, 0x10000, v14
	s_delay_alu instid0(VALU_DEP_2) | instskip(NEXT) | instid1(VALU_DEP_2)
	v_cmp_eq_u32_e32 vcc_lo, 0, v15
	v_cndmask_b32_e32 v16, v16, v14, vcc_lo
; %bb.170:                              ;   in Loop: Header=BB420_4 Depth=1
	s_or_b32 exec_lo, exec_lo, s18
	v_lshl_add_u64 v[14:15], s[6:7], 1, v[18:19]
	global_store_d16_hi_b16 v[24:25], v16, off offset:96
	v_lshl_add_u64 v[14:15], v[2:3], 1, v[14:15]
	global_load_u16 v16, v[14:15], off
	s_wait_loadcnt 0x0
	v_lshlrev_b32_e32 v16, 16, v16
	s_delay_alu instid0(VALU_DEP_1) | instskip(NEXT) | instid1(VALU_DEP_1)
	v_mul_f32_e32 v16, s30, v16
	v_and_b32_e32 v17, 0x7f800000, v16
	s_delay_alu instid0(VALU_DEP_1) | instskip(SKIP_2) | instid1(SALU_CYCLE_1)
	v_cmp_ne_u32_e32 vcc_lo, 0x7f800000, v17
                                        ; implicit-def: $vgpr17
	s_wait_xcnt 0x0
	s_and_saveexec_b32 s18, vcc_lo
	s_xor_b32 s18, exec_lo, s18
; %bb.171:                              ;   in Loop: Header=BB420_4 Depth=1
	v_bfe_u32 v17, v16, 16, 1
	s_delay_alu instid0(VALU_DEP_1)
	v_add3_u32 v17, v16, v17, 0x7fff
                                        ; implicit-def: $vgpr16
; %bb.172:                              ;   in Loop: Header=BB420_4 Depth=1
	s_and_not1_saveexec_b32 s18, s18
; %bb.173:                              ;   in Loop: Header=BB420_4 Depth=1
	v_and_b32_e32 v17, 0xffff, v16
	v_or_b32_e32 v18, 0x10000, v16
	s_delay_alu instid0(VALU_DEP_2) | instskip(NEXT) | instid1(VALU_DEP_2)
	v_cmp_eq_u32_e32 vcc_lo, 0, v17
	v_cndmask_b32_e32 v17, v18, v16, vcc_lo
; %bb.174:                              ;   in Loop: Header=BB420_4 Depth=1
	s_or_b32 exec_lo, exec_lo, s18
	s_delay_alu instid0(VALU_DEP_1) | instskip(SKIP_1) | instid1(VALU_DEP_1)
	v_fma_mix_f32_bf16 v12, s2, v12, v17 op_sel:[0,0,1] op_sel_hi:[0,0,1]
	s_mov_b32 s18, exec_lo
                                        ; implicit-def: $vgpr18
	v_and_b32_e32 v16, 0x7f800000, v12
	s_delay_alu instid0(VALU_DEP_1)
	v_cmpx_ne_u32_e32 0x7f800000, v16
	s_xor_b32 s18, exec_lo, s18
; %bb.175:                              ;   in Loop: Header=BB420_4 Depth=1
	v_bfe_u32 v16, v12, 16, 1
	s_delay_alu instid0(VALU_DEP_1)
	v_add3_u32 v18, v12, v16, 0x7fff
                                        ; implicit-def: $vgpr12
; %bb.176:                              ;   in Loop: Header=BB420_4 Depth=1
	s_and_not1_saveexec_b32 s18, s18
; %bb.177:                              ;   in Loop: Header=BB420_4 Depth=1
	v_and_b32_e32 v16, 0xffff, v12
	v_or_b32_e32 v17, 0x10000, v12
	s_delay_alu instid0(VALU_DEP_2) | instskip(NEXT) | instid1(VALU_DEP_2)
	v_cmp_eq_u32_e32 vcc_lo, 0, v16
	v_cndmask_b32_e32 v18, v17, v12, vcc_lo
; %bb.178:                              ;   in Loop: Header=BB420_4 Depth=1
	s_or_b32 exec_lo, exec_lo, s18
	v_lshl_add_u64 v[16:17], s[20:21], 1, v[20:21]
	s_delay_alu instid0(VALU_DEP_1) | instskip(SKIP_4) | instid1(VALU_DEP_1)
	v_lshl_add_u64 v[16:17], v[2:3], 1, v[16:17]
	global_store_d16_hi_b16 v[16:17], v18, off
	global_load_u16 v12, v[14:15], off offset:32
	s_wait_loadcnt 0x0
	v_lshlrev_b32_e32 v12, 16, v12
	v_mul_f32_e32 v12, s30, v12
	s_wait_xcnt 0x1
	s_delay_alu instid0(VALU_DEP_1) | instskip(NEXT) | instid1(VALU_DEP_1)
	v_and_b32_e32 v18, 0x7f800000, v12
	v_cmp_ne_u32_e32 vcc_lo, 0x7f800000, v18
                                        ; implicit-def: $vgpr18
	s_wait_xcnt 0x0
	s_and_saveexec_b32 s18, vcc_lo
	s_delay_alu instid0(SALU_CYCLE_1)
	s_xor_b32 s18, exec_lo, s18
; %bb.179:                              ;   in Loop: Header=BB420_4 Depth=1
	v_bfe_u32 v18, v12, 16, 1
	s_delay_alu instid0(VALU_DEP_1)
	v_add3_u32 v18, v12, v18, 0x7fff
                                        ; implicit-def: $vgpr12
; %bb.180:                              ;   in Loop: Header=BB420_4 Depth=1
	s_and_not1_saveexec_b32 s18, s18
; %bb.181:                              ;   in Loop: Header=BB420_4 Depth=1
	v_and_b32_e32 v18, 0xffff, v12
	v_or_b32_e32 v19, 0x10000, v12
	s_delay_alu instid0(VALU_DEP_2) | instskip(NEXT) | instid1(VALU_DEP_2)
	v_cmp_eq_u32_e32 vcc_lo, 0, v18
	v_cndmask_b32_e32 v18, v19, v12, vcc_lo
; %bb.182:                              ;   in Loop: Header=BB420_4 Depth=1
	s_or_b32 exec_lo, exec_lo, s18
	s_delay_alu instid0(VALU_DEP_1) | instskip(NEXT) | instid1(VALU_DEP_1)
	v_fma_mix_f32_bf16 v12, s2, v13, v18 op_sel:[0,0,1] op_sel_hi:[0,0,1]
	v_and_b32_e32 v13, 0x7f800000, v12
	s_delay_alu instid0(VALU_DEP_1) | instskip(SKIP_1) | instid1(SALU_CYCLE_1)
	v_cmp_ne_u32_e32 vcc_lo, 0x7f800000, v13
                                        ; implicit-def: $vgpr13
	s_and_saveexec_b32 s18, vcc_lo
	s_xor_b32 s18, exec_lo, s18
; %bb.183:                              ;   in Loop: Header=BB420_4 Depth=1
	v_bfe_u32 v13, v12, 16, 1
	s_delay_alu instid0(VALU_DEP_1)
	v_add3_u32 v13, v12, v13, 0x7fff
                                        ; implicit-def: $vgpr12
; %bb.184:                              ;   in Loop: Header=BB420_4 Depth=1
	s_and_not1_saveexec_b32 s18, s18
; %bb.185:                              ;   in Loop: Header=BB420_4 Depth=1
	v_and_b32_e32 v13, 0xffff, v12
	v_or_b32_e32 v18, 0x10000, v12
	s_delay_alu instid0(VALU_DEP_2) | instskip(NEXT) | instid1(VALU_DEP_2)
	v_cmp_eq_u32_e32 vcc_lo, 0, v13
	v_cndmask_b32_e32 v13, v18, v12, vcc_lo
; %bb.186:                              ;   in Loop: Header=BB420_4 Depth=1
	s_or_b32 exec_lo, exec_lo, s18
	global_store_d16_hi_b16 v[16:17], v13, off offset:32
	global_load_u16 v12, v[14:15], off offset:64
	s_wait_loadcnt 0x0
	v_lshlrev_b32_e32 v12, 16, v12
	s_delay_alu instid0(VALU_DEP_1) | instskip(SKIP_1) | instid1(VALU_DEP_1)
	v_mul_f32_e32 v12, s30, v12
	s_wait_xcnt 0x1
	v_and_b32_e32 v13, 0x7f800000, v12
	s_delay_alu instid0(VALU_DEP_1) | instskip(SKIP_2) | instid1(SALU_CYCLE_1)
	v_cmp_ne_u32_e32 vcc_lo, 0x7f800000, v13
                                        ; implicit-def: $vgpr13
	s_wait_xcnt 0x0
	s_and_saveexec_b32 s18, vcc_lo
	s_xor_b32 s18, exec_lo, s18
; %bb.187:                              ;   in Loop: Header=BB420_4 Depth=1
	v_bfe_u32 v13, v12, 16, 1
	s_delay_alu instid0(VALU_DEP_1)
	v_add3_u32 v13, v12, v13, 0x7fff
                                        ; implicit-def: $vgpr12
; %bb.188:                              ;   in Loop: Header=BB420_4 Depth=1
	s_and_not1_saveexec_b32 s18, s18
; %bb.189:                              ;   in Loop: Header=BB420_4 Depth=1
	v_and_b32_e32 v13, 0xffff, v12
	v_or_b32_e32 v18, 0x10000, v12
	s_delay_alu instid0(VALU_DEP_2) | instskip(NEXT) | instid1(VALU_DEP_2)
	v_cmp_eq_u32_e32 vcc_lo, 0, v13
	v_cndmask_b32_e32 v13, v18, v12, vcc_lo
; %bb.190:                              ;   in Loop: Header=BB420_4 Depth=1
	s_or_b32 exec_lo, exec_lo, s18
	s_delay_alu instid0(VALU_DEP_1) | instskip(NEXT) | instid1(VALU_DEP_1)
	v_fma_mix_f32_bf16 v10, s2, v10, v13 op_sel:[0,0,1] op_sel_hi:[0,0,1]
	v_and_b32_e32 v12, 0x7f800000, v10
	s_delay_alu instid0(VALU_DEP_1) | instskip(SKIP_1) | instid1(SALU_CYCLE_1)
	v_cmp_ne_u32_e32 vcc_lo, 0x7f800000, v12
                                        ; implicit-def: $vgpr12
	s_and_saveexec_b32 s18, vcc_lo
	s_xor_b32 s18, exec_lo, s18
; %bb.191:                              ;   in Loop: Header=BB420_4 Depth=1
	v_bfe_u32 v12, v10, 16, 1
	s_delay_alu instid0(VALU_DEP_1)
	v_add3_u32 v12, v10, v12, 0x7fff
                                        ; implicit-def: $vgpr10
; %bb.192:                              ;   in Loop: Header=BB420_4 Depth=1
	s_and_not1_saveexec_b32 s18, s18
; %bb.193:                              ;   in Loop: Header=BB420_4 Depth=1
	v_and_b32_e32 v12, 0xffff, v10
	v_or_b32_e32 v13, 0x10000, v10
	s_delay_alu instid0(VALU_DEP_2) | instskip(NEXT) | instid1(VALU_DEP_2)
	v_cmp_eq_u32_e32 vcc_lo, 0, v12
	v_cndmask_b32_e32 v12, v13, v10, vcc_lo
; %bb.194:                              ;   in Loop: Header=BB420_4 Depth=1
	s_or_b32 exec_lo, exec_lo, s18
	global_store_d16_hi_b16 v[16:17], v12, off offset:64
	global_load_u16 v10, v[14:15], off offset:96
	s_wait_loadcnt 0x0
	v_lshlrev_b32_e32 v10, 16, v10
	s_delay_alu instid0(VALU_DEP_1) | instskip(SKIP_1) | instid1(VALU_DEP_1)
	v_mul_f32_e32 v10, s30, v10
	s_wait_xcnt 0x1
	v_and_b32_e32 v12, 0x7f800000, v10
	s_delay_alu instid0(VALU_DEP_1) | instskip(SKIP_2) | instid1(SALU_CYCLE_1)
	v_cmp_ne_u32_e32 vcc_lo, 0x7f800000, v12
                                        ; implicit-def: $vgpr12
	s_wait_xcnt 0x0
	s_and_saveexec_b32 s18, vcc_lo
	s_xor_b32 s18, exec_lo, s18
; %bb.195:                              ;   in Loop: Header=BB420_4 Depth=1
	v_bfe_u32 v12, v10, 16, 1
	s_delay_alu instid0(VALU_DEP_1)
	v_add3_u32 v12, v10, v12, 0x7fff
                                        ; implicit-def: $vgpr10
; %bb.196:                              ;   in Loop: Header=BB420_4 Depth=1
	s_and_not1_saveexec_b32 s18, s18
; %bb.197:                              ;   in Loop: Header=BB420_4 Depth=1
	v_and_b32_e32 v12, 0xffff, v10
	v_or_b32_e32 v13, 0x10000, v10
	s_delay_alu instid0(VALU_DEP_2) | instskip(NEXT) | instid1(VALU_DEP_2)
	v_cmp_eq_u32_e32 vcc_lo, 0, v12
	v_cndmask_b32_e32 v12, v13, v10, vcc_lo
; %bb.198:                              ;   in Loop: Header=BB420_4 Depth=1
	s_or_b32 exec_lo, exec_lo, s18
	s_delay_alu instid0(VALU_DEP_1) | instskip(NEXT) | instid1(VALU_DEP_1)
	v_fma_mix_f32_bf16 v10, s2, v11, v12 op_sel:[0,0,1] op_sel_hi:[0,0,1]
	v_and_b32_e32 v11, 0x7f800000, v10
	s_delay_alu instid0(VALU_DEP_1) | instskip(SKIP_1) | instid1(SALU_CYCLE_1)
	v_cmp_ne_u32_e32 vcc_lo, 0x7f800000, v11
                                        ; implicit-def: $vgpr11
	s_and_saveexec_b32 s18, vcc_lo
	s_xor_b32 s18, exec_lo, s18
; %bb.199:                              ;   in Loop: Header=BB420_4 Depth=1
	v_bfe_u32 v11, v10, 16, 1
	s_delay_alu instid0(VALU_DEP_1)
	v_add3_u32 v11, v10, v11, 0x7fff
                                        ; implicit-def: $vgpr10
; %bb.200:                              ;   in Loop: Header=BB420_4 Depth=1
	s_and_not1_saveexec_b32 s18, s18
	s_cbranch_execz .LBB420_2
; %bb.201:                              ;   in Loop: Header=BB420_4 Depth=1
	v_and_b32_e32 v11, 0xffff, v10
	v_or_b32_e32 v12, 0x10000, v10
	s_delay_alu instid0(VALU_DEP_2) | instskip(NEXT) | instid1(VALU_DEP_2)
	v_cmp_eq_u32_e32 vcc_lo, 0, v11
	v_cndmask_b32_e32 v11, v12, v10, vcc_lo
	s_branch .LBB420_2
.LBB420_202:
	s_sendmsg sendmsg(MSG_DEALLOC_VGPRS)
	s_endpgm
	.section	.rodata,"a",@progbits
	.p2align	6, 0x0
	.amdhsa_kernel _ZN12_GLOBAL__N_127rocblas_gemm_batched_kernelIfLi16ELi16ELi64ELi64ELi4ELi64ELi4ELi4ELi64ELc78ELc84EK16rocblas_bfloat16S2_S1_EEvlllT_PT11_llS5_llS3_PT12_llPT13_lli
		.amdhsa_group_segment_fixed_size 2048
		.amdhsa_private_segment_fixed_size 0
		.amdhsa_kernarg_size 140
		.amdhsa_user_sgpr_count 2
		.amdhsa_user_sgpr_dispatch_ptr 0
		.amdhsa_user_sgpr_queue_ptr 0
		.amdhsa_user_sgpr_kernarg_segment_ptr 1
		.amdhsa_user_sgpr_dispatch_id 0
		.amdhsa_user_sgpr_kernarg_preload_length 0
		.amdhsa_user_sgpr_kernarg_preload_offset 0
		.amdhsa_user_sgpr_private_segment_size 0
		.amdhsa_wavefront_size32 1
		.amdhsa_uses_dynamic_stack 0
		.amdhsa_enable_private_segment 0
		.amdhsa_system_sgpr_workgroup_id_x 1
		.amdhsa_system_sgpr_workgroup_id_y 1
		.amdhsa_system_sgpr_workgroup_id_z 1
		.amdhsa_system_sgpr_workgroup_info 0
		.amdhsa_system_vgpr_workitem_id 1
		.amdhsa_next_free_vgpr 70
		.amdhsa_next_free_sgpr 38
		.amdhsa_named_barrier_count 0
		.amdhsa_reserve_vcc 1
		.amdhsa_float_round_mode_32 0
		.amdhsa_float_round_mode_16_64 0
		.amdhsa_float_denorm_mode_32 3
		.amdhsa_float_denorm_mode_16_64 3
		.amdhsa_fp16_overflow 0
		.amdhsa_memory_ordered 1
		.amdhsa_forward_progress 1
		.amdhsa_inst_pref_size 55
		.amdhsa_round_robin_scheduling 0
		.amdhsa_exception_fp_ieee_invalid_op 0
		.amdhsa_exception_fp_denorm_src 0
		.amdhsa_exception_fp_ieee_div_zero 0
		.amdhsa_exception_fp_ieee_overflow 0
		.amdhsa_exception_fp_ieee_underflow 0
		.amdhsa_exception_fp_ieee_inexact 0
		.amdhsa_exception_int_div_zero 0
	.end_amdhsa_kernel
	.section	.text._ZN12_GLOBAL__N_127rocblas_gemm_batched_kernelIfLi16ELi16ELi64ELi64ELi4ELi64ELi4ELi4ELi64ELc78ELc84EK16rocblas_bfloat16S2_S1_EEvlllT_PT11_llS5_llS3_PT12_llPT13_lli,"axG",@progbits,_ZN12_GLOBAL__N_127rocblas_gemm_batched_kernelIfLi16ELi16ELi64ELi64ELi4ELi64ELi4ELi4ELi64ELc78ELc84EK16rocblas_bfloat16S2_S1_EEvlllT_PT11_llS5_llS3_PT12_llPT13_lli,comdat
.Lfunc_end420:
	.size	_ZN12_GLOBAL__N_127rocblas_gemm_batched_kernelIfLi16ELi16ELi64ELi64ELi4ELi64ELi4ELi4ELi64ELc78ELc84EK16rocblas_bfloat16S2_S1_EEvlllT_PT11_llS5_llS3_PT12_llPT13_lli, .Lfunc_end420-_ZN12_GLOBAL__N_127rocblas_gemm_batched_kernelIfLi16ELi16ELi64ELi64ELi4ELi64ELi4ELi4ELi64ELc78ELc84EK16rocblas_bfloat16S2_S1_EEvlllT_PT11_llS5_llS3_PT12_llPT13_lli
                                        ; -- End function
	.set _ZN12_GLOBAL__N_127rocblas_gemm_batched_kernelIfLi16ELi16ELi64ELi64ELi4ELi64ELi4ELi4ELi64ELc78ELc84EK16rocblas_bfloat16S2_S1_EEvlllT_PT11_llS5_llS3_PT12_llPT13_lli.num_vgpr, 70
	.set _ZN12_GLOBAL__N_127rocblas_gemm_batched_kernelIfLi16ELi16ELi64ELi64ELi4ELi64ELi4ELi4ELi64ELc78ELc84EK16rocblas_bfloat16S2_S1_EEvlllT_PT11_llS5_llS3_PT12_llPT13_lli.num_agpr, 0
	.set _ZN12_GLOBAL__N_127rocblas_gemm_batched_kernelIfLi16ELi16ELi64ELi64ELi4ELi64ELi4ELi4ELi64ELc78ELc84EK16rocblas_bfloat16S2_S1_EEvlllT_PT11_llS5_llS3_PT12_llPT13_lli.numbered_sgpr, 38
	.set _ZN12_GLOBAL__N_127rocblas_gemm_batched_kernelIfLi16ELi16ELi64ELi64ELi4ELi64ELi4ELi4ELi64ELc78ELc84EK16rocblas_bfloat16S2_S1_EEvlllT_PT11_llS5_llS3_PT12_llPT13_lli.num_named_barrier, 0
	.set _ZN12_GLOBAL__N_127rocblas_gemm_batched_kernelIfLi16ELi16ELi64ELi64ELi4ELi64ELi4ELi4ELi64ELc78ELc84EK16rocblas_bfloat16S2_S1_EEvlllT_PT11_llS5_llS3_PT12_llPT13_lli.private_seg_size, 0
	.set _ZN12_GLOBAL__N_127rocblas_gemm_batched_kernelIfLi16ELi16ELi64ELi64ELi4ELi64ELi4ELi4ELi64ELc78ELc84EK16rocblas_bfloat16S2_S1_EEvlllT_PT11_llS5_llS3_PT12_llPT13_lli.uses_vcc, 1
	.set _ZN12_GLOBAL__N_127rocblas_gemm_batched_kernelIfLi16ELi16ELi64ELi64ELi4ELi64ELi4ELi4ELi64ELc78ELc84EK16rocblas_bfloat16S2_S1_EEvlllT_PT11_llS5_llS3_PT12_llPT13_lli.uses_flat_scratch, 0
	.set _ZN12_GLOBAL__N_127rocblas_gemm_batched_kernelIfLi16ELi16ELi64ELi64ELi4ELi64ELi4ELi4ELi64ELc78ELc84EK16rocblas_bfloat16S2_S1_EEvlllT_PT11_llS5_llS3_PT12_llPT13_lli.has_dyn_sized_stack, 0
	.set _ZN12_GLOBAL__N_127rocblas_gemm_batched_kernelIfLi16ELi16ELi64ELi64ELi4ELi64ELi4ELi4ELi64ELc78ELc84EK16rocblas_bfloat16S2_S1_EEvlllT_PT11_llS5_llS3_PT12_llPT13_lli.has_recursion, 0
	.set _ZN12_GLOBAL__N_127rocblas_gemm_batched_kernelIfLi16ELi16ELi64ELi64ELi4ELi64ELi4ELi4ELi64ELc78ELc84EK16rocblas_bfloat16S2_S1_EEvlllT_PT11_llS5_llS3_PT12_llPT13_lli.has_indirect_call, 0
	.section	.AMDGPU.csdata,"",@progbits
; Kernel info:
; codeLenInByte = 6920
; TotalNumSgprs: 40
; NumVgprs: 70
; ScratchSize: 0
; MemoryBound: 0
; FloatMode: 240
; IeeeMode: 1
; LDSByteSize: 2048 bytes/workgroup (compile time only)
; SGPRBlocks: 0
; VGPRBlocks: 4
; NumSGPRsForWavesPerEU: 40
; NumVGPRsForWavesPerEU: 70
; NamedBarCnt: 0
; Occupancy: 12
; WaveLimiterHint : 0
; COMPUTE_PGM_RSRC2:SCRATCH_EN: 0
; COMPUTE_PGM_RSRC2:USER_SGPR: 2
; COMPUTE_PGM_RSRC2:TRAP_HANDLER: 0
; COMPUTE_PGM_RSRC2:TGID_X_EN: 1
; COMPUTE_PGM_RSRC2:TGID_Y_EN: 1
; COMPUTE_PGM_RSRC2:TGID_Z_EN: 1
; COMPUTE_PGM_RSRC2:TIDIG_COMP_CNT: 1
	.section	.text._ZN12_GLOBAL__N_127rocblas_gemm_batched_kernelIfLi16ELi16ELi64ELi64ELi4ELi64ELi4ELi4ELi64ELc84ELc84EK16rocblas_bfloat16S2_S1_EEvlllT_PT11_llS5_llS3_PT12_llPT13_lli,"axG",@progbits,_ZN12_GLOBAL__N_127rocblas_gemm_batched_kernelIfLi16ELi16ELi64ELi64ELi4ELi64ELi4ELi4ELi64ELc84ELc84EK16rocblas_bfloat16S2_S1_EEvlllT_PT11_llS5_llS3_PT12_llPT13_lli,comdat
	.globl	_ZN12_GLOBAL__N_127rocblas_gemm_batched_kernelIfLi16ELi16ELi64ELi64ELi4ELi64ELi4ELi4ELi64ELc84ELc84EK16rocblas_bfloat16S2_S1_EEvlllT_PT11_llS5_llS3_PT12_llPT13_lli ; -- Begin function _ZN12_GLOBAL__N_127rocblas_gemm_batched_kernelIfLi16ELi16ELi64ELi64ELi4ELi64ELi4ELi4ELi64ELc84ELc84EK16rocblas_bfloat16S2_S1_EEvlllT_PT11_llS5_llS3_PT12_llPT13_lli
	.p2align	8
	.type	_ZN12_GLOBAL__N_127rocblas_gemm_batched_kernelIfLi16ELi16ELi64ELi64ELi4ELi64ELi4ELi4ELi64ELc84ELc84EK16rocblas_bfloat16S2_S1_EEvlllT_PT11_llS5_llS3_PT12_llPT13_lli,@function
_ZN12_GLOBAL__N_127rocblas_gemm_batched_kernelIfLi16ELi16ELi64ELi64ELi4ELi64ELi4ELi4ELi64ELc84ELc84EK16rocblas_bfloat16S2_S1_EEvlllT_PT11_llS5_llS3_PT12_llPT13_lli: ; @_ZN12_GLOBAL__N_127rocblas_gemm_batched_kernelIfLi16ELi16ELi64ELi64ELi4ELi64ELi4ELi4ELi64ELc84ELc84EK16rocblas_bfloat16S2_S1_EEvlllT_PT11_llS5_llS3_PT12_llPT13_lli
; %bb.0:
	s_load_b32 s3, s[0:1], 0x88
	s_bfe_u32 s2, ttmp6, 0x40014
	s_lshr_b32 s4, ttmp7, 16
	s_add_co_i32 s2, s2, 1
	s_bfe_u32 s6, ttmp6, 0x40008
	s_mul_i32 s5, s4, s2
	s_getreg_b32 s2, hwreg(HW_REG_IB_STS2, 6, 4)
	s_add_co_i32 s6, s6, s5
	s_cmp_eq_u32 s2, 0
	s_mov_b32 s29, 0
	s_cselect_b32 s28, s4, s6
	s_wait_kmcnt 0x0
	s_cmp_ge_i32 s28, s3
	s_cbranch_scc1 .LBB421_202
; %bb.1:
	v_bfe_u32 v4, v0, 10, 10
	v_and_b32_e32 v2, 0x3ff, v0
	s_bfe_u32 s30, ttmp6, 0x4000c
	s_bfe_u32 s33, ttmp6, 0x40010
	s_clause 0x2
	s_load_b256 s[12:19], s[0:1], 0x20
	s_load_b128 s[24:27], s[0:1], 0x40
	s_load_b128 s[20:23], s[0:1], 0x78
	v_lshlrev_b32_e32 v16, 4, v4
	s_add_co_i32 s30, s30, 1
	s_and_b32 s34, ttmp7, 0xffff
	s_add_co_i32 s33, s33, 1
	s_and_b32 s31, ttmp6, 15
	s_mul_i32 s30, ttmp9, s30
	s_mul_i32 s33, s34, s33
	s_bfe_u32 s35, ttmp6, 0x40004
	v_dual_add_nc_u32 v3, v16, v2 :: v_dual_mov_b32 v5, 0
	s_add_co_i32 s31, s31, s30
	s_add_co_i32 s35, s35, s33
	s_load_b256 s[4:11], s[0:1], 0x58
	s_cmp_eq_u32 s2, 0
	v_and_b32_e32 v17, 63, v3
	s_cselect_b32 s30, ttmp9, s31
	s_cselect_b32 s2, s34, s35
	s_ashr_i32 s31, s30, 31
	s_lshl_b32 s36, s2, 6
	s_lshl_b64 s[34:35], s[30:31], 6
	s_mov_b32 s37, s29
	v_dual_mov_b32 v7, s35 :: v_dual_bitop2_b32 v6, s34, v17 bitop3:0x54
	v_add_nc_u64_e32 v[8:9], s[36:37], v[4:5]
	v_dual_lshrrev_b32 v10, 2, v3 :: v_dual_bitop2_b32 v4, 3, v0 bitop3:0x40
	v_mov_b32_e32 v11, v5
	s_wait_kmcnt 0x0
	v_mul_u64_e32 v[6:7], s[14:15], v[6:7]
	s_load_b32 s30, s[0:1], 0x50
	v_lshlrev_b32_e32 v36, 2, v2
	v_mul_u64_e32 v[0:1], s[20:21], v[8:9]
	s_wait_xcnt 0x0
	s_load_b96 s[0:2], s[0:1], 0x10
	v_mul_u64_e32 v[12:13], s[6:7], v[8:9]
	v_lshlrev_b32_e32 v8, 2, v4
	v_mad_nc_u64_u32 v[14:15], s24, v4, v[10:11]
	v_dual_lshrrev_b32 v9, 6, v3 :: v_dual_lshlrev_b32 v11, 2, v17
	v_mov_b32_e32 v3, v5
	v_add_nc_u32_e32 v37, 0x400, v16
	s_delay_alu instid0(VALU_DEP_3) | instskip(NEXT) | instid1(VALU_DEP_3)
	v_lshl_or_b32 v34, v9, 8, v11
	v_add_nc_u64_e32 v[2:3], s[34:35], v[2:3]
	v_mad_u32 v15, s25, v4, v15
	v_lshl_or_b32 v4, v10, 4, v8
	s_wait_kmcnt 0x0
	s_cmp_eq_f32 s30, 0
	s_delay_alu instid0(VALU_DEP_1)
	v_add_nc_u32_e32 v35, 0x400, v4
	v_lshlrev_b32_e32 v4, 1, v9
	s_cselect_b32 s31, -1, 0
	s_lshl_b64 s[14:15], s[20:21], 4
	v_cmp_gt_i64_e64 s20, s[0:1], 0
	v_add_nc_u64_e32 v[8:9], s[36:37], v[14:15]
	s_lshl_b64 s[6:7], s[6:7], 4
	s_lshl_b64 s[16:17], s[16:17], 1
	v_lshl_add_u64 v[10:11], v[6:7], 1, v[4:5]
	s_delay_alu instid0(VALU_DEP_2) | instskip(NEXT) | instid1(VALU_DEP_2)
	v_lshl_add_u64 v[6:7], v[8:9], 1, s[18:19]
	v_add_nc_u64_e32 v[8:9], s[12:13], v[10:11]
	v_lshl_add_u64 v[4:5], v[12:13], 1, s[4:5]
	s_lshl_b64 s[4:5], s[26:27], 1
	s_lshl_b64 s[12:13], s[24:25], 3
	s_branch .LBB421_4
.LBB421_2:                              ;   in Loop: Header=BB421_4 Depth=1
	s_or_b32 exec_lo, exec_lo, s18
	global_store_d16_hi_b16 v[16:17], v11, off offset:96
.LBB421_3:                              ;   in Loop: Header=BB421_4 Depth=1
	s_add_co_i32 s28, s28, 0x10000
	s_delay_alu instid0(SALU_CYCLE_1)
	s_cmp_lt_i32 s28, s3
	s_cbranch_scc0 .LBB421_202
.LBB421_4:                              ; =>This Loop Header: Depth=1
                                        ;     Child Loop BB421_6 Depth 2
	v_dual_mov_b32 v25, 0 :: v_dual_mov_b32 v24, 0
	v_dual_mov_b32 v23, 0 :: v_dual_mov_b32 v22, 0
	;; [unrolled: 1-line block ×4, first 2 shown]
	s_wait_xcnt 0x0
	v_dual_mov_b32 v17, 0 :: v_dual_mov_b32 v16, 0
	v_dual_mov_b32 v15, 0 :: v_dual_mov_b32 v14, 0
	;; [unrolled: 1-line block ×4, first 2 shown]
	s_and_not1_b32 vcc_lo, exec_lo, s20
	s_cbranch_vccnz .LBB421_7
; %bb.5:                                ;   in Loop: Header=BB421_4 Depth=1
	v_mad_nc_u64_u32 v[26:27], s4, s28, v[6:7]
	v_mad_nc_u64_u32 v[28:29], s16, s28, v[8:9]
	v_mov_b32_e32 v10, 0
	s_mov_b64 s[18:19], 0
	s_delay_alu instid0(VALU_DEP_1)
	v_dual_mov_b32 v11, v10 :: v_dual_mov_b32 v12, v10
	v_dual_mov_b32 v13, v10 :: v_dual_mov_b32 v14, v10
	v_mad_u32 v27, s5, s28, v27
	v_mad_u32 v29, s17, s28, v29
	v_dual_mov_b32 v15, v10 :: v_dual_mov_b32 v16, v10
	v_dual_mov_b32 v17, v10 :: v_dual_mov_b32 v18, v10
	v_dual_mov_b32 v19, v10 :: v_dual_mov_b32 v20, v10
	v_dual_mov_b32 v21, v10 :: v_dual_mov_b32 v22, v10
	v_dual_mov_b32 v23, v10 :: v_dual_mov_b32 v24, v10
	v_mov_b32_e32 v25, v10
.LBB421_6:                              ;   Parent Loop BB421_4 Depth=1
                                        ; =>  This Inner Loop Header: Depth=2
	global_load_u16 v30, v[28:29], off
	global_load_u16 v31, v[26:27], off
	s_add_nc_u64 s[18:19], s[18:19], 4
	s_wait_xcnt 0x0
	v_add_nc_u64_e32 v[26:27], s[12:13], v[26:27]
	v_cmp_lt_i64_e64 s21, s[18:19], s[0:1]
	v_add_nc_u64_e32 v[28:29], 8, v[28:29]
	s_and_b32 vcc_lo, exec_lo, s21
	s_wait_loadcnt 0x0
	v_dual_lshlrev_b32 v30, 16, v30 :: v_dual_lshlrev_b32 v31, 16, v31
	ds_store_b32 v34, v30
	ds_store_b32 v35, v31
	s_wait_dscnt 0x0
	s_barrier_signal -1
	s_barrier_wait -1
	ds_load_b128 v[30:33], v37
	ds_load_2addr_b32 v[50:51], v36 offset1:16
	ds_load_2addr_b32 v[52:53], v36 offset0:32 offset1:48
	ds_load_b128 v[38:41], v37 offset:256
	ds_load_b128 v[42:45], v37 offset:512
	;; [unrolled: 1-line block ×3, first 2 shown]
	ds_load_2addr_b32 v[54:55], v36 offset0:64 offset1:80
	ds_load_2addr_b32 v[56:57], v36 offset0:96 offset1:112
	;; [unrolled: 1-line block ×6, first 2 shown]
	s_wait_dscnt 0x0
	s_barrier_signal -1
	s_barrier_wait -1
	v_mov_b32_e32 v66, v33
	v_pk_fma_f32 v[24:25], v[50:51], v[30:31], v[24:25] op_sel_hi:[1,0,1]
	v_pk_fma_f32 v[22:23], v[52:53], v[30:31], v[22:23] op_sel_hi:[1,0,1]
	;; [unrolled: 1-line block ×8, first 2 shown]
	v_pk_fma_f32 v[24:25], v[54:55], v[30:31], v[24:25] op_sel:[0,1,0]
	v_pk_fma_f32 v[22:23], v[56:57], v[30:31], v[22:23] op_sel:[0,1,0]
	;; [unrolled: 1-line block ×8, first 2 shown]
	v_dual_mov_b32 v50, v41 :: v_dual_mov_b32 v52, v45
	v_mov_b32_e32 v68, v49
	v_pk_fma_f32 v[24:25], v[58:59], v[32:33], v[24:25] op_sel_hi:[1,0,1]
	v_pk_fma_f32 v[22:23], v[60:61], v[32:33], v[22:23] op_sel_hi:[1,0,1]
	;; [unrolled: 1-line block ×16, first 2 shown]
	s_cbranch_vccnz .LBB421_6
.LBB421_7:                              ;   in Loop: Header=BB421_4 Depth=1
	s_mul_u64 s[18:19], s[22:23], s[28:29]
	s_and_not1_b32 vcc_lo, exec_lo, s31
	s_lshl_b64 s[18:19], s[18:19], 1
	s_delay_alu instid0(SALU_CYCLE_1)
	s_add_nc_u64 s[18:19], s[10:11], s[18:19]
	s_cbranch_vccnz .LBB421_73
; %bb.8:                                ;   in Loop: Header=BB421_4 Depth=1
	v_mul_f32_e32 v26, s2, v24
	s_mov_b32 s21, exec_lo
                                        ; implicit-def: $vgpr30
	s_delay_alu instid0(VALU_DEP_1) | instskip(NEXT) | instid1(VALU_DEP_1)
	v_and_b32_e32 v27, 0x7f800000, v26
	v_cmpx_ne_u32_e32 0x7f800000, v27
	s_xor_b32 s21, exec_lo, s21
; %bb.9:                                ;   in Loop: Header=BB421_4 Depth=1
	v_bfe_u32 v27, v26, 16, 1
	s_delay_alu instid0(VALU_DEP_1)
	v_add3_u32 v30, v26, v27, 0x7fff
                                        ; implicit-def: $vgpr26
; %bb.10:                               ;   in Loop: Header=BB421_4 Depth=1
	s_and_not1_saveexec_b32 s21, s21
; %bb.11:                               ;   in Loop: Header=BB421_4 Depth=1
	v_and_b32_e32 v27, 0xffff, v26
	v_or_b32_e32 v28, 0x10000, v26
	s_delay_alu instid0(VALU_DEP_2) | instskip(NEXT) | instid1(VALU_DEP_2)
	v_cmp_eq_u32_e32 vcc_lo, 0, v27
	v_cndmask_b32_e32 v30, v28, v26, vcc_lo
; %bb.12:                               ;   in Loop: Header=BB421_4 Depth=1
	s_or_b32 exec_lo, exec_lo, s21
	v_mul_f32_e32 v31, s2, v25
	v_lshl_add_u64 v[26:27], v[0:1], 1, s[18:19]
	s_delay_alu instid0(VALU_DEP_2) | instskip(NEXT) | instid1(VALU_DEP_2)
	v_and_b32_e32 v32, 0x7f800000, v31
	v_lshl_add_u64 v[28:29], v[2:3], 1, v[26:27]
	s_delay_alu instid0(VALU_DEP_2) | instskip(SKIP_3) | instid1(SALU_CYCLE_1)
	v_cmp_ne_u32_e32 vcc_lo, 0x7f800000, v32
	global_store_d16_hi_b16 v[28:29], v30, off
                                        ; implicit-def: $vgpr32
	s_wait_xcnt 0x0
	s_and_saveexec_b32 s21, vcc_lo
	s_xor_b32 s21, exec_lo, s21
; %bb.13:                               ;   in Loop: Header=BB421_4 Depth=1
	v_bfe_u32 v30, v31, 16, 1
	s_delay_alu instid0(VALU_DEP_1)
	v_add3_u32 v32, v31, v30, 0x7fff
                                        ; implicit-def: $vgpr31
; %bb.14:                               ;   in Loop: Header=BB421_4 Depth=1
	s_and_not1_saveexec_b32 s21, s21
; %bb.15:                               ;   in Loop: Header=BB421_4 Depth=1
	v_and_b32_e32 v30, 0xffff, v31
	v_or_b32_e32 v32, 0x10000, v31
	s_delay_alu instid0(VALU_DEP_2) | instskip(NEXT) | instid1(VALU_DEP_2)
	v_cmp_eq_u32_e32 vcc_lo, 0, v30
	v_cndmask_b32_e32 v32, v32, v31, vcc_lo
; %bb.16:                               ;   in Loop: Header=BB421_4 Depth=1
	s_or_b32 exec_lo, exec_lo, s21
	v_mul_f32_e32 v30, s2, v22
	global_store_d16_hi_b16 v[28:29], v32, off offset:32
	v_and_b32_e32 v31, 0x7f800000, v30
	s_delay_alu instid0(VALU_DEP_1) | instskip(SKIP_2) | instid1(SALU_CYCLE_1)
	v_cmp_ne_u32_e32 vcc_lo, 0x7f800000, v31
                                        ; implicit-def: $vgpr31
	s_wait_xcnt 0x0
	s_and_saveexec_b32 s21, vcc_lo
	s_xor_b32 s21, exec_lo, s21
; %bb.17:                               ;   in Loop: Header=BB421_4 Depth=1
	v_bfe_u32 v31, v30, 16, 1
	s_delay_alu instid0(VALU_DEP_1)
	v_add3_u32 v31, v30, v31, 0x7fff
                                        ; implicit-def: $vgpr30
; %bb.18:                               ;   in Loop: Header=BB421_4 Depth=1
	s_and_not1_saveexec_b32 s21, s21
; %bb.19:                               ;   in Loop: Header=BB421_4 Depth=1
	v_and_b32_e32 v31, 0xffff, v30
	v_or_b32_e32 v32, 0x10000, v30
	s_delay_alu instid0(VALU_DEP_2) | instskip(NEXT) | instid1(VALU_DEP_2)
	v_cmp_eq_u32_e32 vcc_lo, 0, v31
	v_cndmask_b32_e32 v31, v32, v30, vcc_lo
; %bb.20:                               ;   in Loop: Header=BB421_4 Depth=1
	s_or_b32 exec_lo, exec_lo, s21
	v_mul_f32_e32 v30, s2, v23
	global_store_d16_hi_b16 v[28:29], v31, off offset:64
	v_and_b32_e32 v32, 0x7f800000, v30
	s_delay_alu instid0(VALU_DEP_1) | instskip(SKIP_2) | instid1(SALU_CYCLE_1)
	v_cmp_ne_u32_e32 vcc_lo, 0x7f800000, v32
                                        ; implicit-def: $vgpr32
	s_wait_xcnt 0x0
	s_and_saveexec_b32 s21, vcc_lo
	s_xor_b32 s21, exec_lo, s21
; %bb.21:                               ;   in Loop: Header=BB421_4 Depth=1
	v_bfe_u32 v31, v30, 16, 1
	s_delay_alu instid0(VALU_DEP_1)
	v_add3_u32 v32, v30, v31, 0x7fff
                                        ; implicit-def: $vgpr30
; %bb.22:                               ;   in Loop: Header=BB421_4 Depth=1
	s_and_not1_saveexec_b32 s21, s21
; %bb.23:                               ;   in Loop: Header=BB421_4 Depth=1
	v_and_b32_e32 v31, 0xffff, v30
	v_or_b32_e32 v32, 0x10000, v30
	s_delay_alu instid0(VALU_DEP_2) | instskip(NEXT) | instid1(VALU_DEP_2)
	v_cmp_eq_u32_e32 vcc_lo, 0, v31
	v_cndmask_b32_e32 v32, v32, v30, vcc_lo
; %bb.24:                               ;   in Loop: Header=BB421_4 Depth=1
	s_or_b32 exec_lo, exec_lo, s21
	v_mul_f32_e32 v31, s2, v20
	global_store_d16_hi_b16 v[28:29], v32, off offset:96
	v_and_b32_e32 v30, 0x7f800000, v31
	s_delay_alu instid0(VALU_DEP_1) | instskip(SKIP_2) | instid1(SALU_CYCLE_1)
	v_cmp_ne_u32_e32 vcc_lo, 0x7f800000, v30
                                        ; implicit-def: $vgpr30
	s_wait_xcnt 0x0
	s_and_saveexec_b32 s21, vcc_lo
	s_xor_b32 s21, exec_lo, s21
; %bb.25:                               ;   in Loop: Header=BB421_4 Depth=1
	v_bfe_u32 v28, v31, 16, 1
	s_delay_alu instid0(VALU_DEP_1)
	v_add3_u32 v30, v31, v28, 0x7fff
                                        ; implicit-def: $vgpr31
; %bb.26:                               ;   in Loop: Header=BB421_4 Depth=1
	s_and_not1_saveexec_b32 s21, s21
; %bb.27:                               ;   in Loop: Header=BB421_4 Depth=1
	v_and_b32_e32 v28, 0xffff, v31
	v_or_b32_e32 v29, 0x10000, v31
	s_delay_alu instid0(VALU_DEP_2) | instskip(NEXT) | instid1(VALU_DEP_2)
	v_cmp_eq_u32_e32 vcc_lo, 0, v28
	v_cndmask_b32_e32 v30, v29, v31, vcc_lo
; %bb.28:                               ;   in Loop: Header=BB421_4 Depth=1
	s_or_b32 exec_lo, exec_lo, s21
	v_mul_f32_e32 v31, s2, v21
	v_lshl_add_u64 v[26:27], s[14:15], 1, v[26:27]
	s_delay_alu instid0(VALU_DEP_2) | instskip(NEXT) | instid1(VALU_DEP_2)
	v_and_b32_e32 v32, 0x7f800000, v31
	v_lshl_add_u64 v[28:29], v[2:3], 1, v[26:27]
	s_delay_alu instid0(VALU_DEP_2) | instskip(SKIP_3) | instid1(SALU_CYCLE_1)
	v_cmp_ne_u32_e32 vcc_lo, 0x7f800000, v32
	global_store_d16_hi_b16 v[28:29], v30, off
                                        ; implicit-def: $vgpr32
	s_wait_xcnt 0x0
	s_and_saveexec_b32 s21, vcc_lo
	s_xor_b32 s21, exec_lo, s21
; %bb.29:                               ;   in Loop: Header=BB421_4 Depth=1
	v_bfe_u32 v30, v31, 16, 1
	s_delay_alu instid0(VALU_DEP_1)
	v_add3_u32 v32, v31, v30, 0x7fff
                                        ; implicit-def: $vgpr31
; %bb.30:                               ;   in Loop: Header=BB421_4 Depth=1
	s_and_not1_saveexec_b32 s21, s21
; %bb.31:                               ;   in Loop: Header=BB421_4 Depth=1
	v_and_b32_e32 v30, 0xffff, v31
	v_or_b32_e32 v32, 0x10000, v31
	s_delay_alu instid0(VALU_DEP_2) | instskip(NEXT) | instid1(VALU_DEP_2)
	v_cmp_eq_u32_e32 vcc_lo, 0, v30
	v_cndmask_b32_e32 v32, v32, v31, vcc_lo
; %bb.32:                               ;   in Loop: Header=BB421_4 Depth=1
	s_or_b32 exec_lo, exec_lo, s21
	v_mul_f32_e32 v30, s2, v18
	global_store_d16_hi_b16 v[28:29], v32, off offset:32
	v_and_b32_e32 v31, 0x7f800000, v30
	s_delay_alu instid0(VALU_DEP_1) | instskip(SKIP_2) | instid1(SALU_CYCLE_1)
	v_cmp_ne_u32_e32 vcc_lo, 0x7f800000, v31
                                        ; implicit-def: $vgpr31
	s_wait_xcnt 0x0
	s_and_saveexec_b32 s21, vcc_lo
	s_xor_b32 s21, exec_lo, s21
; %bb.33:                               ;   in Loop: Header=BB421_4 Depth=1
	v_bfe_u32 v31, v30, 16, 1
	s_delay_alu instid0(VALU_DEP_1)
	v_add3_u32 v31, v30, v31, 0x7fff
                                        ; implicit-def: $vgpr30
; %bb.34:                               ;   in Loop: Header=BB421_4 Depth=1
	s_and_not1_saveexec_b32 s21, s21
; %bb.35:                               ;   in Loop: Header=BB421_4 Depth=1
	v_and_b32_e32 v31, 0xffff, v30
	v_or_b32_e32 v32, 0x10000, v30
	s_delay_alu instid0(VALU_DEP_2) | instskip(NEXT) | instid1(VALU_DEP_2)
	v_cmp_eq_u32_e32 vcc_lo, 0, v31
	v_cndmask_b32_e32 v31, v32, v30, vcc_lo
; %bb.36:                               ;   in Loop: Header=BB421_4 Depth=1
	s_or_b32 exec_lo, exec_lo, s21
	v_mul_f32_e32 v30, s2, v19
	global_store_d16_hi_b16 v[28:29], v31, off offset:64
	v_and_b32_e32 v32, 0x7f800000, v30
	s_delay_alu instid0(VALU_DEP_1) | instskip(SKIP_2) | instid1(SALU_CYCLE_1)
	v_cmp_ne_u32_e32 vcc_lo, 0x7f800000, v32
                                        ; implicit-def: $vgpr32
	s_wait_xcnt 0x0
	s_and_saveexec_b32 s21, vcc_lo
	s_xor_b32 s21, exec_lo, s21
; %bb.37:                               ;   in Loop: Header=BB421_4 Depth=1
	v_bfe_u32 v31, v30, 16, 1
	s_delay_alu instid0(VALU_DEP_1)
	v_add3_u32 v32, v30, v31, 0x7fff
                                        ; implicit-def: $vgpr30
; %bb.38:                               ;   in Loop: Header=BB421_4 Depth=1
	s_and_not1_saveexec_b32 s21, s21
; %bb.39:                               ;   in Loop: Header=BB421_4 Depth=1
	v_and_b32_e32 v31, 0xffff, v30
	v_or_b32_e32 v32, 0x10000, v30
	s_delay_alu instid0(VALU_DEP_2) | instskip(NEXT) | instid1(VALU_DEP_2)
	v_cmp_eq_u32_e32 vcc_lo, 0, v31
	v_cndmask_b32_e32 v32, v32, v30, vcc_lo
; %bb.40:                               ;   in Loop: Header=BB421_4 Depth=1
	s_or_b32 exec_lo, exec_lo, s21
	v_mul_f32_e32 v31, s2, v16
	global_store_d16_hi_b16 v[28:29], v32, off offset:96
	v_and_b32_e32 v30, 0x7f800000, v31
	s_delay_alu instid0(VALU_DEP_1) | instskip(SKIP_2) | instid1(SALU_CYCLE_1)
	v_cmp_ne_u32_e32 vcc_lo, 0x7f800000, v30
                                        ; implicit-def: $vgpr30
	s_wait_xcnt 0x0
	s_and_saveexec_b32 s21, vcc_lo
	s_xor_b32 s21, exec_lo, s21
; %bb.41:                               ;   in Loop: Header=BB421_4 Depth=1
	v_bfe_u32 v28, v31, 16, 1
	s_delay_alu instid0(VALU_DEP_1)
	v_add3_u32 v30, v31, v28, 0x7fff
                                        ; implicit-def: $vgpr31
; %bb.42:                               ;   in Loop: Header=BB421_4 Depth=1
	s_and_not1_saveexec_b32 s21, s21
; %bb.43:                               ;   in Loop: Header=BB421_4 Depth=1
	v_and_b32_e32 v28, 0xffff, v31
	v_or_b32_e32 v29, 0x10000, v31
	s_delay_alu instid0(VALU_DEP_2) | instskip(NEXT) | instid1(VALU_DEP_2)
	v_cmp_eq_u32_e32 vcc_lo, 0, v28
	v_cndmask_b32_e32 v30, v29, v31, vcc_lo
; %bb.44:                               ;   in Loop: Header=BB421_4 Depth=1
	s_or_b32 exec_lo, exec_lo, s21
	v_mul_f32_e32 v31, s2, v17
	v_lshl_add_u64 v[26:27], s[14:15], 1, v[26:27]
	s_delay_alu instid0(VALU_DEP_2) | instskip(NEXT) | instid1(VALU_DEP_2)
	v_and_b32_e32 v32, 0x7f800000, v31
	v_lshl_add_u64 v[28:29], v[2:3], 1, v[26:27]
	s_delay_alu instid0(VALU_DEP_2) | instskip(SKIP_3) | instid1(SALU_CYCLE_1)
	v_cmp_ne_u32_e32 vcc_lo, 0x7f800000, v32
	global_store_d16_hi_b16 v[28:29], v30, off
                                        ; implicit-def: $vgpr32
	s_wait_xcnt 0x0
	s_and_saveexec_b32 s21, vcc_lo
	s_xor_b32 s21, exec_lo, s21
; %bb.45:                               ;   in Loop: Header=BB421_4 Depth=1
	v_bfe_u32 v30, v31, 16, 1
	s_delay_alu instid0(VALU_DEP_1)
	v_add3_u32 v32, v31, v30, 0x7fff
                                        ; implicit-def: $vgpr31
; %bb.46:                               ;   in Loop: Header=BB421_4 Depth=1
	s_and_not1_saveexec_b32 s21, s21
; %bb.47:                               ;   in Loop: Header=BB421_4 Depth=1
	v_and_b32_e32 v30, 0xffff, v31
	v_or_b32_e32 v32, 0x10000, v31
	s_delay_alu instid0(VALU_DEP_2) | instskip(NEXT) | instid1(VALU_DEP_2)
	v_cmp_eq_u32_e32 vcc_lo, 0, v30
	v_cndmask_b32_e32 v32, v32, v31, vcc_lo
; %bb.48:                               ;   in Loop: Header=BB421_4 Depth=1
	s_or_b32 exec_lo, exec_lo, s21
	v_mul_f32_e32 v30, s2, v14
	global_store_d16_hi_b16 v[28:29], v32, off offset:32
	v_and_b32_e32 v31, 0x7f800000, v30
	s_delay_alu instid0(VALU_DEP_1) | instskip(SKIP_2) | instid1(SALU_CYCLE_1)
	v_cmp_ne_u32_e32 vcc_lo, 0x7f800000, v31
                                        ; implicit-def: $vgpr31
	s_wait_xcnt 0x0
	s_and_saveexec_b32 s21, vcc_lo
	s_xor_b32 s21, exec_lo, s21
; %bb.49:                               ;   in Loop: Header=BB421_4 Depth=1
	v_bfe_u32 v31, v30, 16, 1
	s_delay_alu instid0(VALU_DEP_1)
	v_add3_u32 v31, v30, v31, 0x7fff
                                        ; implicit-def: $vgpr30
; %bb.50:                               ;   in Loop: Header=BB421_4 Depth=1
	s_and_not1_saveexec_b32 s21, s21
; %bb.51:                               ;   in Loop: Header=BB421_4 Depth=1
	v_and_b32_e32 v31, 0xffff, v30
	v_or_b32_e32 v32, 0x10000, v30
	s_delay_alu instid0(VALU_DEP_2) | instskip(NEXT) | instid1(VALU_DEP_2)
	v_cmp_eq_u32_e32 vcc_lo, 0, v31
	v_cndmask_b32_e32 v31, v32, v30, vcc_lo
; %bb.52:                               ;   in Loop: Header=BB421_4 Depth=1
	s_or_b32 exec_lo, exec_lo, s21
	v_mul_f32_e32 v30, s2, v15
	s_mov_b32 s21, exec_lo
	global_store_d16_hi_b16 v[28:29], v31, off offset:64
                                        ; implicit-def: $vgpr31
	v_and_b32_e32 v32, 0x7f800000, v30
	s_wait_xcnt 0x0
	s_delay_alu instid0(VALU_DEP_1)
	v_cmpx_ne_u32_e32 0x7f800000, v32
	s_xor_b32 s21, exec_lo, s21
; %bb.53:                               ;   in Loop: Header=BB421_4 Depth=1
	v_bfe_u32 v31, v30, 16, 1
	s_delay_alu instid0(VALU_DEP_1)
	v_add3_u32 v31, v30, v31, 0x7fff
                                        ; implicit-def: $vgpr30
; %bb.54:                               ;   in Loop: Header=BB421_4 Depth=1
	s_and_not1_saveexec_b32 s21, s21
; %bb.55:                               ;   in Loop: Header=BB421_4 Depth=1
	v_and_b32_e32 v31, 0xffff, v30
	v_or_b32_e32 v32, 0x10000, v30
	s_delay_alu instid0(VALU_DEP_2) | instskip(NEXT) | instid1(VALU_DEP_2)
	v_cmp_eq_u32_e32 vcc_lo, 0, v31
	v_cndmask_b32_e32 v31, v32, v30, vcc_lo
; %bb.56:                               ;   in Loop: Header=BB421_4 Depth=1
	s_or_b32 exec_lo, exec_lo, s21
	v_mul_f32_e32 v30, s2, v12
	s_mov_b32 s21, exec_lo
	global_store_d16_hi_b16 v[28:29], v31, off offset:96
                                        ; implicit-def: $vgpr28
	v_and_b32_e32 v32, 0x7f800000, v30
	s_wait_xcnt 0x0
	s_delay_alu instid0(VALU_DEP_1)
	v_cmpx_ne_u32_e32 0x7f800000, v32
	s_xor_b32 s21, exec_lo, s21
; %bb.57:                               ;   in Loop: Header=BB421_4 Depth=1
	v_bfe_u32 v28, v30, 16, 1
	s_delay_alu instid0(VALU_DEP_1)
	v_add3_u32 v28, v30, v28, 0x7fff
                                        ; implicit-def: $vgpr30
; %bb.58:                               ;   in Loop: Header=BB421_4 Depth=1
	s_and_not1_saveexec_b32 s21, s21
; %bb.59:                               ;   in Loop: Header=BB421_4 Depth=1
	v_and_b32_e32 v28, 0xffff, v30
	v_or_b32_e32 v29, 0x10000, v30
	s_delay_alu instid0(VALU_DEP_2) | instskip(NEXT) | instid1(VALU_DEP_2)
	v_cmp_eq_u32_e32 vcc_lo, 0, v28
	v_cndmask_b32_e32 v28, v29, v30, vcc_lo
; %bb.60:                               ;   in Loop: Header=BB421_4 Depth=1
	s_or_b32 exec_lo, exec_lo, s21
	v_mul_f32_e32 v29, s2, v13
	v_lshl_add_u64 v[26:27], s[14:15], 1, v[26:27]
	s_delay_alu instid0(VALU_DEP_2) | instskip(NEXT) | instid1(VALU_DEP_2)
	v_and_b32_e32 v30, 0x7f800000, v29
	v_lshl_add_u64 v[26:27], v[2:3], 1, v[26:27]
	s_delay_alu instid0(VALU_DEP_2) | instskip(SKIP_3) | instid1(SALU_CYCLE_1)
	v_cmp_ne_u32_e32 vcc_lo, 0x7f800000, v30
	global_store_d16_hi_b16 v[26:27], v28, off
                                        ; implicit-def: $vgpr30
	s_wait_xcnt 0x0
	s_and_saveexec_b32 s21, vcc_lo
	s_xor_b32 s21, exec_lo, s21
; %bb.61:                               ;   in Loop: Header=BB421_4 Depth=1
	v_bfe_u32 v28, v29, 16, 1
	s_delay_alu instid0(VALU_DEP_1)
	v_add3_u32 v30, v29, v28, 0x7fff
                                        ; implicit-def: $vgpr29
; %bb.62:                               ;   in Loop: Header=BB421_4 Depth=1
	s_and_not1_saveexec_b32 s21, s21
; %bb.63:                               ;   in Loop: Header=BB421_4 Depth=1
	v_and_b32_e32 v28, 0xffff, v29
	v_or_b32_e32 v30, 0x10000, v29
	s_delay_alu instid0(VALU_DEP_2) | instskip(NEXT) | instid1(VALU_DEP_2)
	v_cmp_eq_u32_e32 vcc_lo, 0, v28
	v_cndmask_b32_e32 v30, v30, v29, vcc_lo
; %bb.64:                               ;   in Loop: Header=BB421_4 Depth=1
	s_or_b32 exec_lo, exec_lo, s21
	v_mul_f32_e32 v28, s2, v10
	global_store_d16_hi_b16 v[26:27], v30, off offset:32
	v_and_b32_e32 v29, 0x7f800000, v28
	s_delay_alu instid0(VALU_DEP_1) | instskip(SKIP_2) | instid1(SALU_CYCLE_1)
	v_cmp_ne_u32_e32 vcc_lo, 0x7f800000, v29
                                        ; implicit-def: $vgpr29
	s_wait_xcnt 0x0
	s_and_saveexec_b32 s21, vcc_lo
	s_xor_b32 s21, exec_lo, s21
; %bb.65:                               ;   in Loop: Header=BB421_4 Depth=1
	v_bfe_u32 v29, v28, 16, 1
	s_delay_alu instid0(VALU_DEP_1)
	v_add3_u32 v29, v28, v29, 0x7fff
                                        ; implicit-def: $vgpr28
; %bb.66:                               ;   in Loop: Header=BB421_4 Depth=1
	s_and_not1_saveexec_b32 s21, s21
; %bb.67:                               ;   in Loop: Header=BB421_4 Depth=1
	v_and_b32_e32 v29, 0xffff, v28
	v_or_b32_e32 v30, 0x10000, v28
	s_delay_alu instid0(VALU_DEP_2) | instskip(NEXT) | instid1(VALU_DEP_2)
	v_cmp_eq_u32_e32 vcc_lo, 0, v29
	v_cndmask_b32_e32 v29, v30, v28, vcc_lo
; %bb.68:                               ;   in Loop: Header=BB421_4 Depth=1
	s_or_b32 exec_lo, exec_lo, s21
	v_mul_f32_e32 v28, s2, v11
	s_mov_b32 s21, exec_lo
	global_store_d16_hi_b16 v[26:27], v29, off offset:64
                                        ; implicit-def: $vgpr29
	v_and_b32_e32 v30, 0x7f800000, v28
	s_wait_xcnt 0x0
	s_delay_alu instid0(VALU_DEP_1)
	v_cmpx_ne_u32_e32 0x7f800000, v30
	s_xor_b32 s21, exec_lo, s21
; %bb.69:                               ;   in Loop: Header=BB421_4 Depth=1
	v_bfe_u32 v29, v28, 16, 1
	s_delay_alu instid0(VALU_DEP_1)
	v_add3_u32 v29, v28, v29, 0x7fff
                                        ; implicit-def: $vgpr28
; %bb.70:                               ;   in Loop: Header=BB421_4 Depth=1
	s_and_not1_saveexec_b32 s21, s21
; %bb.71:                               ;   in Loop: Header=BB421_4 Depth=1
	v_and_b32_e32 v29, 0xffff, v28
	v_or_b32_e32 v30, 0x10000, v28
	s_delay_alu instid0(VALU_DEP_2) | instskip(NEXT) | instid1(VALU_DEP_2)
	v_cmp_eq_u32_e32 vcc_lo, 0, v29
	v_cndmask_b32_e32 v29, v30, v28, vcc_lo
; %bb.72:                               ;   in Loop: Header=BB421_4 Depth=1
	s_or_b32 exec_lo, exec_lo, s21
	global_store_d16_hi_b16 v[26:27], v29, off offset:96
	s_branch .LBB421_3
.LBB421_73:                             ;   in Loop: Header=BB421_4 Depth=1
	s_cbranch_execz .LBB421_3
; %bb.74:                               ;   in Loop: Header=BB421_4 Depth=1
	s_mul_u64 s[24:25], s[8:9], s[28:29]
	s_wait_xcnt 0x0
	v_lshl_add_u64 v[26:27], s[24:25], 1, v[4:5]
	s_delay_alu instid0(VALU_DEP_1) | instskip(SKIP_3) | instid1(VALU_DEP_1)
	v_lshl_add_u64 v[30:31], v[2:3], 1, v[26:27]
	global_load_u16 v28, v[30:31], off
	s_wait_loadcnt 0x0
	v_lshlrev_b32_e32 v28, 16, v28
	v_mul_f32_e32 v28, s30, v28
	s_delay_alu instid0(VALU_DEP_1) | instskip(NEXT) | instid1(VALU_DEP_1)
	v_and_b32_e32 v29, 0x7f800000, v28
	v_cmp_ne_u32_e32 vcc_lo, 0x7f800000, v29
                                        ; implicit-def: $vgpr29
	s_wait_xcnt 0x0
	s_and_saveexec_b32 s21, vcc_lo
	s_delay_alu instid0(SALU_CYCLE_1)
	s_xor_b32 s21, exec_lo, s21
; %bb.75:                               ;   in Loop: Header=BB421_4 Depth=1
	v_bfe_u32 v29, v28, 16, 1
	s_delay_alu instid0(VALU_DEP_1)
	v_add3_u32 v29, v28, v29, 0x7fff
                                        ; implicit-def: $vgpr28
; %bb.76:                               ;   in Loop: Header=BB421_4 Depth=1
	s_and_not1_saveexec_b32 s21, s21
; %bb.77:                               ;   in Loop: Header=BB421_4 Depth=1
	v_and_b32_e32 v29, 0xffff, v28
	v_or_b32_e32 v32, 0x10000, v28
	s_delay_alu instid0(VALU_DEP_2) | instskip(NEXT) | instid1(VALU_DEP_2)
	v_cmp_eq_u32_e32 vcc_lo, 0, v29
	v_cndmask_b32_e32 v29, v32, v28, vcc_lo
; %bb.78:                               ;   in Loop: Header=BB421_4 Depth=1
	s_or_b32 exec_lo, exec_lo, s21
	s_delay_alu instid0(VALU_DEP_1) | instskip(SKIP_1) | instid1(VALU_DEP_1)
	v_fma_mix_f32_bf16 v24, s2, v24, v29 op_sel:[0,0,1] op_sel_hi:[0,0,1]
	s_mov_b32 s21, exec_lo
                                        ; implicit-def: $vgpr38
	v_and_b32_e32 v28, 0x7f800000, v24
	s_delay_alu instid0(VALU_DEP_1)
	v_cmpx_ne_u32_e32 0x7f800000, v28
	s_xor_b32 s21, exec_lo, s21
; %bb.79:                               ;   in Loop: Header=BB421_4 Depth=1
	v_bfe_u32 v28, v24, 16, 1
	s_delay_alu instid0(VALU_DEP_1)
	v_add3_u32 v38, v24, v28, 0x7fff
                                        ; implicit-def: $vgpr24
; %bb.80:                               ;   in Loop: Header=BB421_4 Depth=1
	s_and_not1_saveexec_b32 s21, s21
; %bb.81:                               ;   in Loop: Header=BB421_4 Depth=1
	v_and_b32_e32 v28, 0xffff, v24
	v_or_b32_e32 v29, 0x10000, v24
	s_delay_alu instid0(VALU_DEP_2) | instskip(NEXT) | instid1(VALU_DEP_2)
	v_cmp_eq_u32_e32 vcc_lo, 0, v28
	v_cndmask_b32_e32 v38, v29, v24, vcc_lo
; %bb.82:                               ;   in Loop: Header=BB421_4 Depth=1
	s_or_b32 exec_lo, exec_lo, s21
	v_lshl_add_u64 v[28:29], v[0:1], 1, s[18:19]
	s_delay_alu instid0(VALU_DEP_1) | instskip(SKIP_4) | instid1(VALU_DEP_1)
	v_lshl_add_u64 v[32:33], v[2:3], 1, v[28:29]
	global_store_d16_hi_b16 v[32:33], v38, off
	global_load_u16 v24, v[30:31], off offset:32
	s_wait_loadcnt 0x0
	v_lshlrev_b32_e32 v24, 16, v24
	v_mul_f32_e32 v24, s30, v24
	s_wait_xcnt 0x1
	s_delay_alu instid0(VALU_DEP_1) | instskip(NEXT) | instid1(VALU_DEP_1)
	v_and_b32_e32 v38, 0x7f800000, v24
	v_cmp_ne_u32_e32 vcc_lo, 0x7f800000, v38
                                        ; implicit-def: $vgpr38
	s_wait_xcnt 0x0
	s_and_saveexec_b32 s18, vcc_lo
	s_delay_alu instid0(SALU_CYCLE_1)
	s_xor_b32 s18, exec_lo, s18
; %bb.83:                               ;   in Loop: Header=BB421_4 Depth=1
	v_bfe_u32 v38, v24, 16, 1
	s_delay_alu instid0(VALU_DEP_1)
	v_add3_u32 v38, v24, v38, 0x7fff
                                        ; implicit-def: $vgpr24
; %bb.84:                               ;   in Loop: Header=BB421_4 Depth=1
	s_and_not1_saveexec_b32 s18, s18
; %bb.85:                               ;   in Loop: Header=BB421_4 Depth=1
	v_and_b32_e32 v38, 0xffff, v24
	v_or_b32_e32 v39, 0x10000, v24
	s_delay_alu instid0(VALU_DEP_2) | instskip(NEXT) | instid1(VALU_DEP_2)
	v_cmp_eq_u32_e32 vcc_lo, 0, v38
	v_cndmask_b32_e32 v38, v39, v24, vcc_lo
; %bb.86:                               ;   in Loop: Header=BB421_4 Depth=1
	s_or_b32 exec_lo, exec_lo, s18
	s_delay_alu instid0(VALU_DEP_1) | instskip(NEXT) | instid1(VALU_DEP_1)
	v_fma_mix_f32_bf16 v24, s2, v25, v38 op_sel:[0,0,1] op_sel_hi:[0,0,1]
	v_and_b32_e32 v25, 0x7f800000, v24
	s_delay_alu instid0(VALU_DEP_1) | instskip(SKIP_1) | instid1(SALU_CYCLE_1)
	v_cmp_ne_u32_e32 vcc_lo, 0x7f800000, v25
                                        ; implicit-def: $vgpr25
	s_and_saveexec_b32 s18, vcc_lo
	s_xor_b32 s18, exec_lo, s18
; %bb.87:                               ;   in Loop: Header=BB421_4 Depth=1
	v_bfe_u32 v25, v24, 16, 1
	s_delay_alu instid0(VALU_DEP_1)
	v_add3_u32 v25, v24, v25, 0x7fff
                                        ; implicit-def: $vgpr24
; %bb.88:                               ;   in Loop: Header=BB421_4 Depth=1
	s_and_not1_saveexec_b32 s18, s18
; %bb.89:                               ;   in Loop: Header=BB421_4 Depth=1
	v_and_b32_e32 v25, 0xffff, v24
	v_or_b32_e32 v38, 0x10000, v24
	s_delay_alu instid0(VALU_DEP_2) | instskip(NEXT) | instid1(VALU_DEP_2)
	v_cmp_eq_u32_e32 vcc_lo, 0, v25
	v_cndmask_b32_e32 v25, v38, v24, vcc_lo
; %bb.90:                               ;   in Loop: Header=BB421_4 Depth=1
	s_or_b32 exec_lo, exec_lo, s18
	global_store_d16_hi_b16 v[32:33], v25, off offset:32
	global_load_u16 v24, v[30:31], off offset:64
	s_wait_loadcnt 0x0
	v_lshlrev_b32_e32 v24, 16, v24
	s_delay_alu instid0(VALU_DEP_1) | instskip(SKIP_1) | instid1(VALU_DEP_1)
	v_mul_f32_e32 v24, s30, v24
	s_wait_xcnt 0x1
	v_and_b32_e32 v25, 0x7f800000, v24
	s_delay_alu instid0(VALU_DEP_1) | instskip(SKIP_2) | instid1(SALU_CYCLE_1)
	v_cmp_ne_u32_e32 vcc_lo, 0x7f800000, v25
                                        ; implicit-def: $vgpr25
	s_wait_xcnt 0x0
	s_and_saveexec_b32 s18, vcc_lo
	s_xor_b32 s18, exec_lo, s18
; %bb.91:                               ;   in Loop: Header=BB421_4 Depth=1
	v_bfe_u32 v25, v24, 16, 1
	s_delay_alu instid0(VALU_DEP_1)
	v_add3_u32 v25, v24, v25, 0x7fff
                                        ; implicit-def: $vgpr24
; %bb.92:                               ;   in Loop: Header=BB421_4 Depth=1
	s_and_not1_saveexec_b32 s18, s18
; %bb.93:                               ;   in Loop: Header=BB421_4 Depth=1
	v_and_b32_e32 v25, 0xffff, v24
	v_or_b32_e32 v38, 0x10000, v24
	s_delay_alu instid0(VALU_DEP_2) | instskip(NEXT) | instid1(VALU_DEP_2)
	v_cmp_eq_u32_e32 vcc_lo, 0, v25
	v_cndmask_b32_e32 v25, v38, v24, vcc_lo
; %bb.94:                               ;   in Loop: Header=BB421_4 Depth=1
	s_or_b32 exec_lo, exec_lo, s18
	s_delay_alu instid0(VALU_DEP_1) | instskip(NEXT) | instid1(VALU_DEP_1)
	v_fma_mix_f32_bf16 v22, s2, v22, v25 op_sel:[0,0,1] op_sel_hi:[0,0,1]
	v_and_b32_e32 v24, 0x7f800000, v22
	s_delay_alu instid0(VALU_DEP_1) | instskip(SKIP_1) | instid1(SALU_CYCLE_1)
	v_cmp_ne_u32_e32 vcc_lo, 0x7f800000, v24
                                        ; implicit-def: $vgpr24
	s_and_saveexec_b32 s18, vcc_lo
	s_xor_b32 s18, exec_lo, s18
; %bb.95:                               ;   in Loop: Header=BB421_4 Depth=1
	v_bfe_u32 v24, v22, 16, 1
	s_delay_alu instid0(VALU_DEP_1)
	v_add3_u32 v24, v22, v24, 0x7fff
                                        ; implicit-def: $vgpr22
; %bb.96:                               ;   in Loop: Header=BB421_4 Depth=1
	s_and_not1_saveexec_b32 s18, s18
; %bb.97:                               ;   in Loop: Header=BB421_4 Depth=1
	v_and_b32_e32 v24, 0xffff, v22
	v_or_b32_e32 v25, 0x10000, v22
	s_delay_alu instid0(VALU_DEP_2) | instskip(NEXT) | instid1(VALU_DEP_2)
	v_cmp_eq_u32_e32 vcc_lo, 0, v24
	v_cndmask_b32_e32 v24, v25, v22, vcc_lo
; %bb.98:                               ;   in Loop: Header=BB421_4 Depth=1
	s_or_b32 exec_lo, exec_lo, s18
	global_store_d16_hi_b16 v[32:33], v24, off offset:64
	global_load_u16 v22, v[30:31], off offset:96
	s_wait_loadcnt 0x0
	v_lshlrev_b32_e32 v22, 16, v22
	s_delay_alu instid0(VALU_DEP_1) | instskip(SKIP_1) | instid1(VALU_DEP_1)
	v_mul_f32_e32 v22, s30, v22
	s_wait_xcnt 0x1
	v_and_b32_e32 v24, 0x7f800000, v22
	s_delay_alu instid0(VALU_DEP_1) | instskip(SKIP_2) | instid1(SALU_CYCLE_1)
	v_cmp_ne_u32_e32 vcc_lo, 0x7f800000, v24
                                        ; implicit-def: $vgpr24
	s_wait_xcnt 0x0
	s_and_saveexec_b32 s18, vcc_lo
	s_xor_b32 s18, exec_lo, s18
; %bb.99:                               ;   in Loop: Header=BB421_4 Depth=1
	v_bfe_u32 v24, v22, 16, 1
	s_delay_alu instid0(VALU_DEP_1)
	v_add3_u32 v24, v22, v24, 0x7fff
                                        ; implicit-def: $vgpr22
; %bb.100:                              ;   in Loop: Header=BB421_4 Depth=1
	s_and_not1_saveexec_b32 s18, s18
; %bb.101:                              ;   in Loop: Header=BB421_4 Depth=1
	v_and_b32_e32 v24, 0xffff, v22
	v_or_b32_e32 v25, 0x10000, v22
	s_delay_alu instid0(VALU_DEP_2) | instskip(NEXT) | instid1(VALU_DEP_2)
	v_cmp_eq_u32_e32 vcc_lo, 0, v24
	v_cndmask_b32_e32 v24, v25, v22, vcc_lo
; %bb.102:                              ;   in Loop: Header=BB421_4 Depth=1
	s_or_b32 exec_lo, exec_lo, s18
	s_delay_alu instid0(VALU_DEP_1) | instskip(SKIP_1) | instid1(VALU_DEP_1)
	v_fma_mix_f32_bf16 v22, s2, v23, v24 op_sel:[0,0,1] op_sel_hi:[0,0,1]
	s_mov_b32 s18, exec_lo
                                        ; implicit-def: $vgpr24
	v_and_b32_e32 v23, 0x7f800000, v22
	s_delay_alu instid0(VALU_DEP_1)
	v_cmpx_ne_u32_e32 0x7f800000, v23
	s_xor_b32 s18, exec_lo, s18
; %bb.103:                              ;   in Loop: Header=BB421_4 Depth=1
	v_bfe_u32 v23, v22, 16, 1
	s_delay_alu instid0(VALU_DEP_1)
	v_add3_u32 v24, v22, v23, 0x7fff
                                        ; implicit-def: $vgpr22
; %bb.104:                              ;   in Loop: Header=BB421_4 Depth=1
	s_and_not1_saveexec_b32 s18, s18
; %bb.105:                              ;   in Loop: Header=BB421_4 Depth=1
	v_and_b32_e32 v23, 0xffff, v22
	v_or_b32_e32 v24, 0x10000, v22
	s_delay_alu instid0(VALU_DEP_2) | instskip(NEXT) | instid1(VALU_DEP_2)
	v_cmp_eq_u32_e32 vcc_lo, 0, v23
	v_cndmask_b32_e32 v24, v24, v22, vcc_lo
; %bb.106:                              ;   in Loop: Header=BB421_4 Depth=1
	s_or_b32 exec_lo, exec_lo, s18
	v_lshl_add_u64 v[22:23], s[6:7], 1, v[26:27]
	global_store_d16_hi_b16 v[32:33], v24, off offset:96
	v_lshl_add_u64 v[26:27], v[2:3], 1, v[22:23]
	global_load_u16 v24, v[26:27], off
	s_wait_loadcnt 0x0
	v_lshlrev_b32_e32 v24, 16, v24
	s_delay_alu instid0(VALU_DEP_1) | instskip(NEXT) | instid1(VALU_DEP_1)
	v_mul_f32_e32 v24, s30, v24
	v_and_b32_e32 v25, 0x7f800000, v24
	s_delay_alu instid0(VALU_DEP_1) | instskip(SKIP_2) | instid1(SALU_CYCLE_1)
	v_cmp_ne_u32_e32 vcc_lo, 0x7f800000, v25
                                        ; implicit-def: $vgpr25
	s_wait_xcnt 0x0
	s_and_saveexec_b32 s18, vcc_lo
	s_xor_b32 s18, exec_lo, s18
; %bb.107:                              ;   in Loop: Header=BB421_4 Depth=1
	v_bfe_u32 v25, v24, 16, 1
	s_delay_alu instid0(VALU_DEP_1)
	v_add3_u32 v25, v24, v25, 0x7fff
                                        ; implicit-def: $vgpr24
; %bb.108:                              ;   in Loop: Header=BB421_4 Depth=1
	s_and_not1_saveexec_b32 s18, s18
; %bb.109:                              ;   in Loop: Header=BB421_4 Depth=1
	v_and_b32_e32 v25, 0xffff, v24
	v_or_b32_e32 v30, 0x10000, v24
	s_delay_alu instid0(VALU_DEP_2) | instskip(NEXT) | instid1(VALU_DEP_2)
	v_cmp_eq_u32_e32 vcc_lo, 0, v25
	v_cndmask_b32_e32 v25, v30, v24, vcc_lo
; %bb.110:                              ;   in Loop: Header=BB421_4 Depth=1
	s_or_b32 exec_lo, exec_lo, s18
	s_delay_alu instid0(VALU_DEP_1) | instskip(SKIP_1) | instid1(VALU_DEP_1)
	v_fma_mix_f32_bf16 v20, s2, v20, v25 op_sel:[0,0,1] op_sel_hi:[0,0,1]
	s_mov_b32 s18, exec_lo
                                        ; implicit-def: $vgpr30
	v_and_b32_e32 v24, 0x7f800000, v20
	s_delay_alu instid0(VALU_DEP_1)
	v_cmpx_ne_u32_e32 0x7f800000, v24
	s_xor_b32 s18, exec_lo, s18
; %bb.111:                              ;   in Loop: Header=BB421_4 Depth=1
	v_bfe_u32 v24, v20, 16, 1
	s_delay_alu instid0(VALU_DEP_1)
	v_add3_u32 v30, v20, v24, 0x7fff
                                        ; implicit-def: $vgpr20
; %bb.112:                              ;   in Loop: Header=BB421_4 Depth=1
	s_and_not1_saveexec_b32 s18, s18
; %bb.113:                              ;   in Loop: Header=BB421_4 Depth=1
	v_and_b32_e32 v24, 0xffff, v20
	v_or_b32_e32 v25, 0x10000, v20
	s_delay_alu instid0(VALU_DEP_2) | instskip(NEXT) | instid1(VALU_DEP_2)
	v_cmp_eq_u32_e32 vcc_lo, 0, v24
	v_cndmask_b32_e32 v30, v25, v20, vcc_lo
; %bb.114:                              ;   in Loop: Header=BB421_4 Depth=1
	s_or_b32 exec_lo, exec_lo, s18
	v_lshl_add_u64 v[24:25], s[14:15], 1, v[28:29]
	s_delay_alu instid0(VALU_DEP_1) | instskip(SKIP_4) | instid1(VALU_DEP_1)
	v_lshl_add_u64 v[28:29], v[2:3], 1, v[24:25]
	global_store_d16_hi_b16 v[28:29], v30, off
	global_load_u16 v20, v[26:27], off offset:32
	s_wait_loadcnt 0x0
	v_lshlrev_b32_e32 v20, 16, v20
	v_mul_f32_e32 v20, s30, v20
	s_wait_xcnt 0x1
	s_delay_alu instid0(VALU_DEP_1) | instskip(NEXT) | instid1(VALU_DEP_1)
	v_and_b32_e32 v30, 0x7f800000, v20
	v_cmp_ne_u32_e32 vcc_lo, 0x7f800000, v30
                                        ; implicit-def: $vgpr30
	s_wait_xcnt 0x0
	s_and_saveexec_b32 s18, vcc_lo
	s_delay_alu instid0(SALU_CYCLE_1)
	s_xor_b32 s18, exec_lo, s18
; %bb.115:                              ;   in Loop: Header=BB421_4 Depth=1
	v_bfe_u32 v30, v20, 16, 1
	s_delay_alu instid0(VALU_DEP_1)
	v_add3_u32 v30, v20, v30, 0x7fff
                                        ; implicit-def: $vgpr20
; %bb.116:                              ;   in Loop: Header=BB421_4 Depth=1
	s_and_not1_saveexec_b32 s18, s18
; %bb.117:                              ;   in Loop: Header=BB421_4 Depth=1
	v_and_b32_e32 v30, 0xffff, v20
	v_or_b32_e32 v31, 0x10000, v20
	s_delay_alu instid0(VALU_DEP_2) | instskip(NEXT) | instid1(VALU_DEP_2)
	v_cmp_eq_u32_e32 vcc_lo, 0, v30
	v_cndmask_b32_e32 v30, v31, v20, vcc_lo
; %bb.118:                              ;   in Loop: Header=BB421_4 Depth=1
	s_or_b32 exec_lo, exec_lo, s18
	s_delay_alu instid0(VALU_DEP_1) | instskip(NEXT) | instid1(VALU_DEP_1)
	v_fma_mix_f32_bf16 v20, s2, v21, v30 op_sel:[0,0,1] op_sel_hi:[0,0,1]
	v_and_b32_e32 v21, 0x7f800000, v20
	s_delay_alu instid0(VALU_DEP_1) | instskip(SKIP_1) | instid1(SALU_CYCLE_1)
	v_cmp_ne_u32_e32 vcc_lo, 0x7f800000, v21
                                        ; implicit-def: $vgpr21
	s_and_saveexec_b32 s18, vcc_lo
	s_xor_b32 s18, exec_lo, s18
; %bb.119:                              ;   in Loop: Header=BB421_4 Depth=1
	v_bfe_u32 v21, v20, 16, 1
	s_delay_alu instid0(VALU_DEP_1)
	v_add3_u32 v21, v20, v21, 0x7fff
                                        ; implicit-def: $vgpr20
; %bb.120:                              ;   in Loop: Header=BB421_4 Depth=1
	s_and_not1_saveexec_b32 s18, s18
; %bb.121:                              ;   in Loop: Header=BB421_4 Depth=1
	v_and_b32_e32 v21, 0xffff, v20
	v_or_b32_e32 v30, 0x10000, v20
	s_delay_alu instid0(VALU_DEP_2) | instskip(NEXT) | instid1(VALU_DEP_2)
	v_cmp_eq_u32_e32 vcc_lo, 0, v21
	v_cndmask_b32_e32 v21, v30, v20, vcc_lo
; %bb.122:                              ;   in Loop: Header=BB421_4 Depth=1
	s_or_b32 exec_lo, exec_lo, s18
	global_store_d16_hi_b16 v[28:29], v21, off offset:32
	global_load_u16 v20, v[26:27], off offset:64
	s_wait_loadcnt 0x0
	v_lshlrev_b32_e32 v20, 16, v20
	s_delay_alu instid0(VALU_DEP_1) | instskip(SKIP_1) | instid1(VALU_DEP_1)
	v_mul_f32_e32 v20, s30, v20
	s_wait_xcnt 0x1
	v_and_b32_e32 v21, 0x7f800000, v20
	s_delay_alu instid0(VALU_DEP_1) | instskip(SKIP_2) | instid1(SALU_CYCLE_1)
	v_cmp_ne_u32_e32 vcc_lo, 0x7f800000, v21
                                        ; implicit-def: $vgpr21
	s_wait_xcnt 0x0
	s_and_saveexec_b32 s18, vcc_lo
	s_xor_b32 s18, exec_lo, s18
; %bb.123:                              ;   in Loop: Header=BB421_4 Depth=1
	v_bfe_u32 v21, v20, 16, 1
	s_delay_alu instid0(VALU_DEP_1)
	v_add3_u32 v21, v20, v21, 0x7fff
                                        ; implicit-def: $vgpr20
; %bb.124:                              ;   in Loop: Header=BB421_4 Depth=1
	s_and_not1_saveexec_b32 s18, s18
; %bb.125:                              ;   in Loop: Header=BB421_4 Depth=1
	v_and_b32_e32 v21, 0xffff, v20
	v_or_b32_e32 v30, 0x10000, v20
	s_delay_alu instid0(VALU_DEP_2) | instskip(NEXT) | instid1(VALU_DEP_2)
	v_cmp_eq_u32_e32 vcc_lo, 0, v21
	v_cndmask_b32_e32 v21, v30, v20, vcc_lo
; %bb.126:                              ;   in Loop: Header=BB421_4 Depth=1
	s_or_b32 exec_lo, exec_lo, s18
	s_delay_alu instid0(VALU_DEP_1) | instskip(NEXT) | instid1(VALU_DEP_1)
	v_fma_mix_f32_bf16 v18, s2, v18, v21 op_sel:[0,0,1] op_sel_hi:[0,0,1]
	v_and_b32_e32 v20, 0x7f800000, v18
	s_delay_alu instid0(VALU_DEP_1) | instskip(SKIP_1) | instid1(SALU_CYCLE_1)
	v_cmp_ne_u32_e32 vcc_lo, 0x7f800000, v20
                                        ; implicit-def: $vgpr20
	s_and_saveexec_b32 s18, vcc_lo
	s_xor_b32 s18, exec_lo, s18
; %bb.127:                              ;   in Loop: Header=BB421_4 Depth=1
	v_bfe_u32 v20, v18, 16, 1
	s_delay_alu instid0(VALU_DEP_1)
	v_add3_u32 v20, v18, v20, 0x7fff
                                        ; implicit-def: $vgpr18
; %bb.128:                              ;   in Loop: Header=BB421_4 Depth=1
	s_and_not1_saveexec_b32 s18, s18
; %bb.129:                              ;   in Loop: Header=BB421_4 Depth=1
	v_and_b32_e32 v20, 0xffff, v18
	v_or_b32_e32 v21, 0x10000, v18
	s_delay_alu instid0(VALU_DEP_2) | instskip(NEXT) | instid1(VALU_DEP_2)
	v_cmp_eq_u32_e32 vcc_lo, 0, v20
	v_cndmask_b32_e32 v20, v21, v18, vcc_lo
; %bb.130:                              ;   in Loop: Header=BB421_4 Depth=1
	s_or_b32 exec_lo, exec_lo, s18
	global_store_d16_hi_b16 v[28:29], v20, off offset:64
	global_load_u16 v18, v[26:27], off offset:96
	s_wait_loadcnt 0x0
	v_lshlrev_b32_e32 v18, 16, v18
	s_delay_alu instid0(VALU_DEP_1) | instskip(SKIP_1) | instid1(VALU_DEP_1)
	v_mul_f32_e32 v18, s30, v18
	s_wait_xcnt 0x1
	v_and_b32_e32 v20, 0x7f800000, v18
	s_delay_alu instid0(VALU_DEP_1) | instskip(SKIP_2) | instid1(SALU_CYCLE_1)
	v_cmp_ne_u32_e32 vcc_lo, 0x7f800000, v20
                                        ; implicit-def: $vgpr20
	s_wait_xcnt 0x0
	s_and_saveexec_b32 s18, vcc_lo
	s_xor_b32 s18, exec_lo, s18
; %bb.131:                              ;   in Loop: Header=BB421_4 Depth=1
	v_bfe_u32 v20, v18, 16, 1
	s_delay_alu instid0(VALU_DEP_1)
	v_add3_u32 v20, v18, v20, 0x7fff
                                        ; implicit-def: $vgpr18
; %bb.132:                              ;   in Loop: Header=BB421_4 Depth=1
	s_and_not1_saveexec_b32 s18, s18
; %bb.133:                              ;   in Loop: Header=BB421_4 Depth=1
	v_and_b32_e32 v20, 0xffff, v18
	v_or_b32_e32 v21, 0x10000, v18
	s_delay_alu instid0(VALU_DEP_2) | instskip(NEXT) | instid1(VALU_DEP_2)
	v_cmp_eq_u32_e32 vcc_lo, 0, v20
	v_cndmask_b32_e32 v20, v21, v18, vcc_lo
; %bb.134:                              ;   in Loop: Header=BB421_4 Depth=1
	s_or_b32 exec_lo, exec_lo, s18
	s_delay_alu instid0(VALU_DEP_1) | instskip(SKIP_1) | instid1(VALU_DEP_1)
	v_fma_mix_f32_bf16 v18, s2, v19, v20 op_sel:[0,0,1] op_sel_hi:[0,0,1]
	s_mov_b32 s18, exec_lo
                                        ; implicit-def: $vgpr20
	v_and_b32_e32 v19, 0x7f800000, v18
	s_delay_alu instid0(VALU_DEP_1)
	v_cmpx_ne_u32_e32 0x7f800000, v19
	s_xor_b32 s18, exec_lo, s18
; %bb.135:                              ;   in Loop: Header=BB421_4 Depth=1
	v_bfe_u32 v19, v18, 16, 1
	s_delay_alu instid0(VALU_DEP_1)
	v_add3_u32 v20, v18, v19, 0x7fff
                                        ; implicit-def: $vgpr18
; %bb.136:                              ;   in Loop: Header=BB421_4 Depth=1
	s_and_not1_saveexec_b32 s18, s18
; %bb.137:                              ;   in Loop: Header=BB421_4 Depth=1
	v_and_b32_e32 v19, 0xffff, v18
	v_or_b32_e32 v20, 0x10000, v18
	s_delay_alu instid0(VALU_DEP_2) | instskip(NEXT) | instid1(VALU_DEP_2)
	v_cmp_eq_u32_e32 vcc_lo, 0, v19
	v_cndmask_b32_e32 v20, v20, v18, vcc_lo
; %bb.138:                              ;   in Loop: Header=BB421_4 Depth=1
	s_or_b32 exec_lo, exec_lo, s18
	v_lshl_add_u64 v[18:19], s[6:7], 1, v[22:23]
	global_store_d16_hi_b16 v[28:29], v20, off offset:96
	v_lshl_add_u64 v[22:23], v[2:3], 1, v[18:19]
	global_load_u16 v20, v[22:23], off
	s_wait_loadcnt 0x0
	v_lshlrev_b32_e32 v20, 16, v20
	s_delay_alu instid0(VALU_DEP_1) | instskip(NEXT) | instid1(VALU_DEP_1)
	v_mul_f32_e32 v20, s30, v20
	v_and_b32_e32 v21, 0x7f800000, v20
	s_delay_alu instid0(VALU_DEP_1) | instskip(SKIP_2) | instid1(SALU_CYCLE_1)
	v_cmp_ne_u32_e32 vcc_lo, 0x7f800000, v21
                                        ; implicit-def: $vgpr21
	s_wait_xcnt 0x0
	s_and_saveexec_b32 s18, vcc_lo
	s_xor_b32 s18, exec_lo, s18
; %bb.139:                              ;   in Loop: Header=BB421_4 Depth=1
	v_bfe_u32 v21, v20, 16, 1
	s_delay_alu instid0(VALU_DEP_1)
	v_add3_u32 v21, v20, v21, 0x7fff
                                        ; implicit-def: $vgpr20
; %bb.140:                              ;   in Loop: Header=BB421_4 Depth=1
	s_and_not1_saveexec_b32 s18, s18
; %bb.141:                              ;   in Loop: Header=BB421_4 Depth=1
	v_and_b32_e32 v21, 0xffff, v20
	v_or_b32_e32 v26, 0x10000, v20
	s_delay_alu instid0(VALU_DEP_2) | instskip(NEXT) | instid1(VALU_DEP_2)
	v_cmp_eq_u32_e32 vcc_lo, 0, v21
	v_cndmask_b32_e32 v21, v26, v20, vcc_lo
; %bb.142:                              ;   in Loop: Header=BB421_4 Depth=1
	s_or_b32 exec_lo, exec_lo, s18
	s_delay_alu instid0(VALU_DEP_1) | instskip(SKIP_1) | instid1(VALU_DEP_1)
	v_fma_mix_f32_bf16 v16, s2, v16, v21 op_sel:[0,0,1] op_sel_hi:[0,0,1]
	s_mov_b32 s18, exec_lo
                                        ; implicit-def: $vgpr26
	v_and_b32_e32 v20, 0x7f800000, v16
	s_delay_alu instid0(VALU_DEP_1)
	v_cmpx_ne_u32_e32 0x7f800000, v20
	s_xor_b32 s18, exec_lo, s18
; %bb.143:                              ;   in Loop: Header=BB421_4 Depth=1
	v_bfe_u32 v20, v16, 16, 1
	s_delay_alu instid0(VALU_DEP_1)
	v_add3_u32 v26, v16, v20, 0x7fff
                                        ; implicit-def: $vgpr16
; %bb.144:                              ;   in Loop: Header=BB421_4 Depth=1
	s_and_not1_saveexec_b32 s18, s18
; %bb.145:                              ;   in Loop: Header=BB421_4 Depth=1
	v_and_b32_e32 v20, 0xffff, v16
	v_or_b32_e32 v21, 0x10000, v16
	s_delay_alu instid0(VALU_DEP_2) | instskip(NEXT) | instid1(VALU_DEP_2)
	v_cmp_eq_u32_e32 vcc_lo, 0, v20
	v_cndmask_b32_e32 v26, v21, v16, vcc_lo
; %bb.146:                              ;   in Loop: Header=BB421_4 Depth=1
	s_or_b32 exec_lo, exec_lo, s18
	v_lshl_add_u64 v[20:21], s[14:15], 1, v[24:25]
	s_delay_alu instid0(VALU_DEP_1) | instskip(SKIP_4) | instid1(VALU_DEP_1)
	v_lshl_add_u64 v[24:25], v[2:3], 1, v[20:21]
	global_store_d16_hi_b16 v[24:25], v26, off
	global_load_u16 v16, v[22:23], off offset:32
	s_wait_loadcnt 0x0
	v_lshlrev_b32_e32 v16, 16, v16
	v_mul_f32_e32 v16, s30, v16
	s_wait_xcnt 0x1
	s_delay_alu instid0(VALU_DEP_1) | instskip(NEXT) | instid1(VALU_DEP_1)
	v_and_b32_e32 v26, 0x7f800000, v16
	v_cmp_ne_u32_e32 vcc_lo, 0x7f800000, v26
                                        ; implicit-def: $vgpr26
	s_wait_xcnt 0x0
	s_and_saveexec_b32 s18, vcc_lo
	s_delay_alu instid0(SALU_CYCLE_1)
	s_xor_b32 s18, exec_lo, s18
; %bb.147:                              ;   in Loop: Header=BB421_4 Depth=1
	v_bfe_u32 v26, v16, 16, 1
	s_delay_alu instid0(VALU_DEP_1)
	v_add3_u32 v26, v16, v26, 0x7fff
                                        ; implicit-def: $vgpr16
; %bb.148:                              ;   in Loop: Header=BB421_4 Depth=1
	s_and_not1_saveexec_b32 s18, s18
; %bb.149:                              ;   in Loop: Header=BB421_4 Depth=1
	v_and_b32_e32 v26, 0xffff, v16
	v_or_b32_e32 v27, 0x10000, v16
	s_delay_alu instid0(VALU_DEP_2) | instskip(NEXT) | instid1(VALU_DEP_2)
	v_cmp_eq_u32_e32 vcc_lo, 0, v26
	v_cndmask_b32_e32 v26, v27, v16, vcc_lo
; %bb.150:                              ;   in Loop: Header=BB421_4 Depth=1
	s_or_b32 exec_lo, exec_lo, s18
	s_delay_alu instid0(VALU_DEP_1) | instskip(NEXT) | instid1(VALU_DEP_1)
	v_fma_mix_f32_bf16 v16, s2, v17, v26 op_sel:[0,0,1] op_sel_hi:[0,0,1]
	v_and_b32_e32 v17, 0x7f800000, v16
	s_delay_alu instid0(VALU_DEP_1) | instskip(SKIP_1) | instid1(SALU_CYCLE_1)
	v_cmp_ne_u32_e32 vcc_lo, 0x7f800000, v17
                                        ; implicit-def: $vgpr17
	s_and_saveexec_b32 s18, vcc_lo
	s_xor_b32 s18, exec_lo, s18
; %bb.151:                              ;   in Loop: Header=BB421_4 Depth=1
	v_bfe_u32 v17, v16, 16, 1
	s_delay_alu instid0(VALU_DEP_1)
	v_add3_u32 v17, v16, v17, 0x7fff
                                        ; implicit-def: $vgpr16
; %bb.152:                              ;   in Loop: Header=BB421_4 Depth=1
	s_and_not1_saveexec_b32 s18, s18
; %bb.153:                              ;   in Loop: Header=BB421_4 Depth=1
	v_and_b32_e32 v17, 0xffff, v16
	v_or_b32_e32 v26, 0x10000, v16
	s_delay_alu instid0(VALU_DEP_2) | instskip(NEXT) | instid1(VALU_DEP_2)
	v_cmp_eq_u32_e32 vcc_lo, 0, v17
	v_cndmask_b32_e32 v17, v26, v16, vcc_lo
; %bb.154:                              ;   in Loop: Header=BB421_4 Depth=1
	s_or_b32 exec_lo, exec_lo, s18
	global_store_d16_hi_b16 v[24:25], v17, off offset:32
	global_load_u16 v16, v[22:23], off offset:64
	s_wait_loadcnt 0x0
	v_lshlrev_b32_e32 v16, 16, v16
	s_delay_alu instid0(VALU_DEP_1) | instskip(SKIP_1) | instid1(VALU_DEP_1)
	v_mul_f32_e32 v16, s30, v16
	s_wait_xcnt 0x1
	v_and_b32_e32 v17, 0x7f800000, v16
	s_delay_alu instid0(VALU_DEP_1) | instskip(SKIP_2) | instid1(SALU_CYCLE_1)
	v_cmp_ne_u32_e32 vcc_lo, 0x7f800000, v17
                                        ; implicit-def: $vgpr17
	s_wait_xcnt 0x0
	s_and_saveexec_b32 s18, vcc_lo
	s_xor_b32 s18, exec_lo, s18
; %bb.155:                              ;   in Loop: Header=BB421_4 Depth=1
	v_bfe_u32 v17, v16, 16, 1
	s_delay_alu instid0(VALU_DEP_1)
	v_add3_u32 v17, v16, v17, 0x7fff
                                        ; implicit-def: $vgpr16
; %bb.156:                              ;   in Loop: Header=BB421_4 Depth=1
	s_and_not1_saveexec_b32 s18, s18
; %bb.157:                              ;   in Loop: Header=BB421_4 Depth=1
	v_and_b32_e32 v17, 0xffff, v16
	v_or_b32_e32 v26, 0x10000, v16
	s_delay_alu instid0(VALU_DEP_2) | instskip(NEXT) | instid1(VALU_DEP_2)
	v_cmp_eq_u32_e32 vcc_lo, 0, v17
	v_cndmask_b32_e32 v17, v26, v16, vcc_lo
; %bb.158:                              ;   in Loop: Header=BB421_4 Depth=1
	s_or_b32 exec_lo, exec_lo, s18
	s_delay_alu instid0(VALU_DEP_1) | instskip(NEXT) | instid1(VALU_DEP_1)
	v_fma_mix_f32_bf16 v14, s2, v14, v17 op_sel:[0,0,1] op_sel_hi:[0,0,1]
	v_and_b32_e32 v16, 0x7f800000, v14
	s_delay_alu instid0(VALU_DEP_1) | instskip(SKIP_1) | instid1(SALU_CYCLE_1)
	v_cmp_ne_u32_e32 vcc_lo, 0x7f800000, v16
                                        ; implicit-def: $vgpr16
	s_and_saveexec_b32 s18, vcc_lo
	s_xor_b32 s18, exec_lo, s18
; %bb.159:                              ;   in Loop: Header=BB421_4 Depth=1
	v_bfe_u32 v16, v14, 16, 1
	s_delay_alu instid0(VALU_DEP_1)
	v_add3_u32 v16, v14, v16, 0x7fff
                                        ; implicit-def: $vgpr14
; %bb.160:                              ;   in Loop: Header=BB421_4 Depth=1
	s_and_not1_saveexec_b32 s18, s18
; %bb.161:                              ;   in Loop: Header=BB421_4 Depth=1
	v_and_b32_e32 v16, 0xffff, v14
	v_or_b32_e32 v17, 0x10000, v14
	s_delay_alu instid0(VALU_DEP_2) | instskip(NEXT) | instid1(VALU_DEP_2)
	v_cmp_eq_u32_e32 vcc_lo, 0, v16
	v_cndmask_b32_e32 v16, v17, v14, vcc_lo
; %bb.162:                              ;   in Loop: Header=BB421_4 Depth=1
	s_or_b32 exec_lo, exec_lo, s18
	global_store_d16_hi_b16 v[24:25], v16, off offset:64
	global_load_u16 v14, v[22:23], off offset:96
	s_wait_loadcnt 0x0
	v_lshlrev_b32_e32 v14, 16, v14
	s_delay_alu instid0(VALU_DEP_1) | instskip(SKIP_1) | instid1(VALU_DEP_1)
	v_mul_f32_e32 v14, s30, v14
	s_wait_xcnt 0x1
	v_and_b32_e32 v16, 0x7f800000, v14
	s_delay_alu instid0(VALU_DEP_1) | instskip(SKIP_2) | instid1(SALU_CYCLE_1)
	v_cmp_ne_u32_e32 vcc_lo, 0x7f800000, v16
                                        ; implicit-def: $vgpr16
	s_wait_xcnt 0x0
	s_and_saveexec_b32 s18, vcc_lo
	s_xor_b32 s18, exec_lo, s18
; %bb.163:                              ;   in Loop: Header=BB421_4 Depth=1
	v_bfe_u32 v16, v14, 16, 1
	s_delay_alu instid0(VALU_DEP_1)
	v_add3_u32 v16, v14, v16, 0x7fff
                                        ; implicit-def: $vgpr14
; %bb.164:                              ;   in Loop: Header=BB421_4 Depth=1
	s_and_not1_saveexec_b32 s18, s18
; %bb.165:                              ;   in Loop: Header=BB421_4 Depth=1
	v_and_b32_e32 v16, 0xffff, v14
	v_or_b32_e32 v17, 0x10000, v14
	s_delay_alu instid0(VALU_DEP_2) | instskip(NEXT) | instid1(VALU_DEP_2)
	v_cmp_eq_u32_e32 vcc_lo, 0, v16
	v_cndmask_b32_e32 v16, v17, v14, vcc_lo
; %bb.166:                              ;   in Loop: Header=BB421_4 Depth=1
	s_or_b32 exec_lo, exec_lo, s18
	s_delay_alu instid0(VALU_DEP_1) | instskip(SKIP_1) | instid1(VALU_DEP_1)
	v_fma_mix_f32_bf16 v14, s2, v15, v16 op_sel:[0,0,1] op_sel_hi:[0,0,1]
	s_mov_b32 s18, exec_lo
                                        ; implicit-def: $vgpr16
	v_and_b32_e32 v15, 0x7f800000, v14
	s_delay_alu instid0(VALU_DEP_1)
	v_cmpx_ne_u32_e32 0x7f800000, v15
	s_xor_b32 s18, exec_lo, s18
; %bb.167:                              ;   in Loop: Header=BB421_4 Depth=1
	v_bfe_u32 v15, v14, 16, 1
	s_delay_alu instid0(VALU_DEP_1)
	v_add3_u32 v16, v14, v15, 0x7fff
                                        ; implicit-def: $vgpr14
; %bb.168:                              ;   in Loop: Header=BB421_4 Depth=1
	s_and_not1_saveexec_b32 s18, s18
; %bb.169:                              ;   in Loop: Header=BB421_4 Depth=1
	v_and_b32_e32 v15, 0xffff, v14
	v_or_b32_e32 v16, 0x10000, v14
	s_delay_alu instid0(VALU_DEP_2) | instskip(NEXT) | instid1(VALU_DEP_2)
	v_cmp_eq_u32_e32 vcc_lo, 0, v15
	v_cndmask_b32_e32 v16, v16, v14, vcc_lo
; %bb.170:                              ;   in Loop: Header=BB421_4 Depth=1
	s_or_b32 exec_lo, exec_lo, s18
	v_lshl_add_u64 v[14:15], s[6:7], 1, v[18:19]
	global_store_d16_hi_b16 v[24:25], v16, off offset:96
	v_lshl_add_u64 v[14:15], v[2:3], 1, v[14:15]
	global_load_u16 v16, v[14:15], off
	s_wait_loadcnt 0x0
	v_lshlrev_b32_e32 v16, 16, v16
	s_delay_alu instid0(VALU_DEP_1) | instskip(NEXT) | instid1(VALU_DEP_1)
	v_mul_f32_e32 v16, s30, v16
	v_and_b32_e32 v17, 0x7f800000, v16
	s_delay_alu instid0(VALU_DEP_1) | instskip(SKIP_2) | instid1(SALU_CYCLE_1)
	v_cmp_ne_u32_e32 vcc_lo, 0x7f800000, v17
                                        ; implicit-def: $vgpr17
	s_wait_xcnt 0x0
	s_and_saveexec_b32 s18, vcc_lo
	s_xor_b32 s18, exec_lo, s18
; %bb.171:                              ;   in Loop: Header=BB421_4 Depth=1
	v_bfe_u32 v17, v16, 16, 1
	s_delay_alu instid0(VALU_DEP_1)
	v_add3_u32 v17, v16, v17, 0x7fff
                                        ; implicit-def: $vgpr16
; %bb.172:                              ;   in Loop: Header=BB421_4 Depth=1
	s_and_not1_saveexec_b32 s18, s18
; %bb.173:                              ;   in Loop: Header=BB421_4 Depth=1
	v_and_b32_e32 v17, 0xffff, v16
	v_or_b32_e32 v18, 0x10000, v16
	s_delay_alu instid0(VALU_DEP_2) | instskip(NEXT) | instid1(VALU_DEP_2)
	v_cmp_eq_u32_e32 vcc_lo, 0, v17
	v_cndmask_b32_e32 v17, v18, v16, vcc_lo
; %bb.174:                              ;   in Loop: Header=BB421_4 Depth=1
	s_or_b32 exec_lo, exec_lo, s18
	s_delay_alu instid0(VALU_DEP_1) | instskip(SKIP_1) | instid1(VALU_DEP_1)
	v_fma_mix_f32_bf16 v12, s2, v12, v17 op_sel:[0,0,1] op_sel_hi:[0,0,1]
	s_mov_b32 s18, exec_lo
                                        ; implicit-def: $vgpr18
	v_and_b32_e32 v16, 0x7f800000, v12
	s_delay_alu instid0(VALU_DEP_1)
	v_cmpx_ne_u32_e32 0x7f800000, v16
	s_xor_b32 s18, exec_lo, s18
; %bb.175:                              ;   in Loop: Header=BB421_4 Depth=1
	v_bfe_u32 v16, v12, 16, 1
	s_delay_alu instid0(VALU_DEP_1)
	v_add3_u32 v18, v12, v16, 0x7fff
                                        ; implicit-def: $vgpr12
; %bb.176:                              ;   in Loop: Header=BB421_4 Depth=1
	s_and_not1_saveexec_b32 s18, s18
; %bb.177:                              ;   in Loop: Header=BB421_4 Depth=1
	v_and_b32_e32 v16, 0xffff, v12
	v_or_b32_e32 v17, 0x10000, v12
	s_delay_alu instid0(VALU_DEP_2) | instskip(NEXT) | instid1(VALU_DEP_2)
	v_cmp_eq_u32_e32 vcc_lo, 0, v16
	v_cndmask_b32_e32 v18, v17, v12, vcc_lo
; %bb.178:                              ;   in Loop: Header=BB421_4 Depth=1
	s_or_b32 exec_lo, exec_lo, s18
	v_lshl_add_u64 v[16:17], s[14:15], 1, v[20:21]
	s_delay_alu instid0(VALU_DEP_1) | instskip(SKIP_4) | instid1(VALU_DEP_1)
	v_lshl_add_u64 v[16:17], v[2:3], 1, v[16:17]
	global_store_d16_hi_b16 v[16:17], v18, off
	global_load_u16 v12, v[14:15], off offset:32
	s_wait_loadcnt 0x0
	v_lshlrev_b32_e32 v12, 16, v12
	v_mul_f32_e32 v12, s30, v12
	s_wait_xcnt 0x1
	s_delay_alu instid0(VALU_DEP_1) | instskip(NEXT) | instid1(VALU_DEP_1)
	v_and_b32_e32 v18, 0x7f800000, v12
	v_cmp_ne_u32_e32 vcc_lo, 0x7f800000, v18
                                        ; implicit-def: $vgpr18
	s_wait_xcnt 0x0
	s_and_saveexec_b32 s18, vcc_lo
	s_delay_alu instid0(SALU_CYCLE_1)
	s_xor_b32 s18, exec_lo, s18
; %bb.179:                              ;   in Loop: Header=BB421_4 Depth=1
	v_bfe_u32 v18, v12, 16, 1
	s_delay_alu instid0(VALU_DEP_1)
	v_add3_u32 v18, v12, v18, 0x7fff
                                        ; implicit-def: $vgpr12
; %bb.180:                              ;   in Loop: Header=BB421_4 Depth=1
	s_and_not1_saveexec_b32 s18, s18
; %bb.181:                              ;   in Loop: Header=BB421_4 Depth=1
	v_and_b32_e32 v18, 0xffff, v12
	v_or_b32_e32 v19, 0x10000, v12
	s_delay_alu instid0(VALU_DEP_2) | instskip(NEXT) | instid1(VALU_DEP_2)
	v_cmp_eq_u32_e32 vcc_lo, 0, v18
	v_cndmask_b32_e32 v18, v19, v12, vcc_lo
; %bb.182:                              ;   in Loop: Header=BB421_4 Depth=1
	s_or_b32 exec_lo, exec_lo, s18
	s_delay_alu instid0(VALU_DEP_1) | instskip(NEXT) | instid1(VALU_DEP_1)
	v_fma_mix_f32_bf16 v12, s2, v13, v18 op_sel:[0,0,1] op_sel_hi:[0,0,1]
	v_and_b32_e32 v13, 0x7f800000, v12
	s_delay_alu instid0(VALU_DEP_1) | instskip(SKIP_1) | instid1(SALU_CYCLE_1)
	v_cmp_ne_u32_e32 vcc_lo, 0x7f800000, v13
                                        ; implicit-def: $vgpr13
	s_and_saveexec_b32 s18, vcc_lo
	s_xor_b32 s18, exec_lo, s18
; %bb.183:                              ;   in Loop: Header=BB421_4 Depth=1
	v_bfe_u32 v13, v12, 16, 1
	s_delay_alu instid0(VALU_DEP_1)
	v_add3_u32 v13, v12, v13, 0x7fff
                                        ; implicit-def: $vgpr12
; %bb.184:                              ;   in Loop: Header=BB421_4 Depth=1
	s_and_not1_saveexec_b32 s18, s18
; %bb.185:                              ;   in Loop: Header=BB421_4 Depth=1
	v_and_b32_e32 v13, 0xffff, v12
	v_or_b32_e32 v18, 0x10000, v12
	s_delay_alu instid0(VALU_DEP_2) | instskip(NEXT) | instid1(VALU_DEP_2)
	v_cmp_eq_u32_e32 vcc_lo, 0, v13
	v_cndmask_b32_e32 v13, v18, v12, vcc_lo
; %bb.186:                              ;   in Loop: Header=BB421_4 Depth=1
	s_or_b32 exec_lo, exec_lo, s18
	global_store_d16_hi_b16 v[16:17], v13, off offset:32
	global_load_u16 v12, v[14:15], off offset:64
	s_wait_loadcnt 0x0
	v_lshlrev_b32_e32 v12, 16, v12
	s_delay_alu instid0(VALU_DEP_1) | instskip(SKIP_1) | instid1(VALU_DEP_1)
	v_mul_f32_e32 v12, s30, v12
	s_wait_xcnt 0x1
	v_and_b32_e32 v13, 0x7f800000, v12
	s_delay_alu instid0(VALU_DEP_1) | instskip(SKIP_2) | instid1(SALU_CYCLE_1)
	v_cmp_ne_u32_e32 vcc_lo, 0x7f800000, v13
                                        ; implicit-def: $vgpr13
	s_wait_xcnt 0x0
	s_and_saveexec_b32 s18, vcc_lo
	s_xor_b32 s18, exec_lo, s18
; %bb.187:                              ;   in Loop: Header=BB421_4 Depth=1
	v_bfe_u32 v13, v12, 16, 1
	s_delay_alu instid0(VALU_DEP_1)
	v_add3_u32 v13, v12, v13, 0x7fff
                                        ; implicit-def: $vgpr12
; %bb.188:                              ;   in Loop: Header=BB421_4 Depth=1
	s_and_not1_saveexec_b32 s18, s18
; %bb.189:                              ;   in Loop: Header=BB421_4 Depth=1
	v_and_b32_e32 v13, 0xffff, v12
	v_or_b32_e32 v18, 0x10000, v12
	s_delay_alu instid0(VALU_DEP_2) | instskip(NEXT) | instid1(VALU_DEP_2)
	v_cmp_eq_u32_e32 vcc_lo, 0, v13
	v_cndmask_b32_e32 v13, v18, v12, vcc_lo
; %bb.190:                              ;   in Loop: Header=BB421_4 Depth=1
	s_or_b32 exec_lo, exec_lo, s18
	s_delay_alu instid0(VALU_DEP_1) | instskip(NEXT) | instid1(VALU_DEP_1)
	v_fma_mix_f32_bf16 v10, s2, v10, v13 op_sel:[0,0,1] op_sel_hi:[0,0,1]
	v_and_b32_e32 v12, 0x7f800000, v10
	s_delay_alu instid0(VALU_DEP_1) | instskip(SKIP_1) | instid1(SALU_CYCLE_1)
	v_cmp_ne_u32_e32 vcc_lo, 0x7f800000, v12
                                        ; implicit-def: $vgpr12
	s_and_saveexec_b32 s18, vcc_lo
	s_xor_b32 s18, exec_lo, s18
; %bb.191:                              ;   in Loop: Header=BB421_4 Depth=1
	v_bfe_u32 v12, v10, 16, 1
	s_delay_alu instid0(VALU_DEP_1)
	v_add3_u32 v12, v10, v12, 0x7fff
                                        ; implicit-def: $vgpr10
; %bb.192:                              ;   in Loop: Header=BB421_4 Depth=1
	s_and_not1_saveexec_b32 s18, s18
; %bb.193:                              ;   in Loop: Header=BB421_4 Depth=1
	v_and_b32_e32 v12, 0xffff, v10
	v_or_b32_e32 v13, 0x10000, v10
	s_delay_alu instid0(VALU_DEP_2) | instskip(NEXT) | instid1(VALU_DEP_2)
	v_cmp_eq_u32_e32 vcc_lo, 0, v12
	v_cndmask_b32_e32 v12, v13, v10, vcc_lo
; %bb.194:                              ;   in Loop: Header=BB421_4 Depth=1
	s_or_b32 exec_lo, exec_lo, s18
	global_store_d16_hi_b16 v[16:17], v12, off offset:64
	global_load_u16 v10, v[14:15], off offset:96
	s_wait_loadcnt 0x0
	v_lshlrev_b32_e32 v10, 16, v10
	s_delay_alu instid0(VALU_DEP_1) | instskip(SKIP_1) | instid1(VALU_DEP_1)
	v_mul_f32_e32 v10, s30, v10
	s_wait_xcnt 0x1
	v_and_b32_e32 v12, 0x7f800000, v10
	s_delay_alu instid0(VALU_DEP_1) | instskip(SKIP_2) | instid1(SALU_CYCLE_1)
	v_cmp_ne_u32_e32 vcc_lo, 0x7f800000, v12
                                        ; implicit-def: $vgpr12
	s_wait_xcnt 0x0
	s_and_saveexec_b32 s18, vcc_lo
	s_xor_b32 s18, exec_lo, s18
; %bb.195:                              ;   in Loop: Header=BB421_4 Depth=1
	v_bfe_u32 v12, v10, 16, 1
	s_delay_alu instid0(VALU_DEP_1)
	v_add3_u32 v12, v10, v12, 0x7fff
                                        ; implicit-def: $vgpr10
; %bb.196:                              ;   in Loop: Header=BB421_4 Depth=1
	s_and_not1_saveexec_b32 s18, s18
; %bb.197:                              ;   in Loop: Header=BB421_4 Depth=1
	v_and_b32_e32 v12, 0xffff, v10
	v_or_b32_e32 v13, 0x10000, v10
	s_delay_alu instid0(VALU_DEP_2) | instskip(NEXT) | instid1(VALU_DEP_2)
	v_cmp_eq_u32_e32 vcc_lo, 0, v12
	v_cndmask_b32_e32 v12, v13, v10, vcc_lo
; %bb.198:                              ;   in Loop: Header=BB421_4 Depth=1
	s_or_b32 exec_lo, exec_lo, s18
	s_delay_alu instid0(VALU_DEP_1) | instskip(NEXT) | instid1(VALU_DEP_1)
	v_fma_mix_f32_bf16 v10, s2, v11, v12 op_sel:[0,0,1] op_sel_hi:[0,0,1]
	v_and_b32_e32 v11, 0x7f800000, v10
	s_delay_alu instid0(VALU_DEP_1) | instskip(SKIP_1) | instid1(SALU_CYCLE_1)
	v_cmp_ne_u32_e32 vcc_lo, 0x7f800000, v11
                                        ; implicit-def: $vgpr11
	s_and_saveexec_b32 s18, vcc_lo
	s_xor_b32 s18, exec_lo, s18
; %bb.199:                              ;   in Loop: Header=BB421_4 Depth=1
	v_bfe_u32 v11, v10, 16, 1
	s_delay_alu instid0(VALU_DEP_1)
	v_add3_u32 v11, v10, v11, 0x7fff
                                        ; implicit-def: $vgpr10
; %bb.200:                              ;   in Loop: Header=BB421_4 Depth=1
	s_and_not1_saveexec_b32 s18, s18
	s_cbranch_execz .LBB421_2
; %bb.201:                              ;   in Loop: Header=BB421_4 Depth=1
	v_and_b32_e32 v11, 0xffff, v10
	v_or_b32_e32 v12, 0x10000, v10
	s_delay_alu instid0(VALU_DEP_2) | instskip(NEXT) | instid1(VALU_DEP_2)
	v_cmp_eq_u32_e32 vcc_lo, 0, v11
	v_cndmask_b32_e32 v11, v12, v10, vcc_lo
	s_branch .LBB421_2
.LBB421_202:
	s_sendmsg sendmsg(MSG_DEALLOC_VGPRS)
	s_endpgm
	.section	.rodata,"a",@progbits
	.p2align	6, 0x0
	.amdhsa_kernel _ZN12_GLOBAL__N_127rocblas_gemm_batched_kernelIfLi16ELi16ELi64ELi64ELi4ELi64ELi4ELi4ELi64ELc84ELc84EK16rocblas_bfloat16S2_S1_EEvlllT_PT11_llS5_llS3_PT12_llPT13_lli
		.amdhsa_group_segment_fixed_size 2048
		.amdhsa_private_segment_fixed_size 0
		.amdhsa_kernarg_size 140
		.amdhsa_user_sgpr_count 2
		.amdhsa_user_sgpr_dispatch_ptr 0
		.amdhsa_user_sgpr_queue_ptr 0
		.amdhsa_user_sgpr_kernarg_segment_ptr 1
		.amdhsa_user_sgpr_dispatch_id 0
		.amdhsa_user_sgpr_kernarg_preload_length 0
		.amdhsa_user_sgpr_kernarg_preload_offset 0
		.amdhsa_user_sgpr_private_segment_size 0
		.amdhsa_wavefront_size32 1
		.amdhsa_uses_dynamic_stack 0
		.amdhsa_enable_private_segment 0
		.amdhsa_system_sgpr_workgroup_id_x 1
		.amdhsa_system_sgpr_workgroup_id_y 1
		.amdhsa_system_sgpr_workgroup_id_z 1
		.amdhsa_system_sgpr_workgroup_info 0
		.amdhsa_system_vgpr_workitem_id 1
		.amdhsa_next_free_vgpr 70
		.amdhsa_next_free_sgpr 38
		.amdhsa_named_barrier_count 0
		.amdhsa_reserve_vcc 1
		.amdhsa_float_round_mode_32 0
		.amdhsa_float_round_mode_16_64 0
		.amdhsa_float_denorm_mode_32 3
		.amdhsa_float_denorm_mode_16_64 3
		.amdhsa_fp16_overflow 0
		.amdhsa_memory_ordered 1
		.amdhsa_forward_progress 1
		.amdhsa_inst_pref_size 55
		.amdhsa_round_robin_scheduling 0
		.amdhsa_exception_fp_ieee_invalid_op 0
		.amdhsa_exception_fp_denorm_src 0
		.amdhsa_exception_fp_ieee_div_zero 0
		.amdhsa_exception_fp_ieee_overflow 0
		.amdhsa_exception_fp_ieee_underflow 0
		.amdhsa_exception_fp_ieee_inexact 0
		.amdhsa_exception_int_div_zero 0
	.end_amdhsa_kernel
	.section	.text._ZN12_GLOBAL__N_127rocblas_gemm_batched_kernelIfLi16ELi16ELi64ELi64ELi4ELi64ELi4ELi4ELi64ELc84ELc84EK16rocblas_bfloat16S2_S1_EEvlllT_PT11_llS5_llS3_PT12_llPT13_lli,"axG",@progbits,_ZN12_GLOBAL__N_127rocblas_gemm_batched_kernelIfLi16ELi16ELi64ELi64ELi4ELi64ELi4ELi4ELi64ELc84ELc84EK16rocblas_bfloat16S2_S1_EEvlllT_PT11_llS5_llS3_PT12_llPT13_lli,comdat
.Lfunc_end421:
	.size	_ZN12_GLOBAL__N_127rocblas_gemm_batched_kernelIfLi16ELi16ELi64ELi64ELi4ELi64ELi4ELi4ELi64ELc84ELc84EK16rocblas_bfloat16S2_S1_EEvlllT_PT11_llS5_llS3_PT12_llPT13_lli, .Lfunc_end421-_ZN12_GLOBAL__N_127rocblas_gemm_batched_kernelIfLi16ELi16ELi64ELi64ELi4ELi64ELi4ELi4ELi64ELc84ELc84EK16rocblas_bfloat16S2_S1_EEvlllT_PT11_llS5_llS3_PT12_llPT13_lli
                                        ; -- End function
	.set _ZN12_GLOBAL__N_127rocblas_gemm_batched_kernelIfLi16ELi16ELi64ELi64ELi4ELi64ELi4ELi4ELi64ELc84ELc84EK16rocblas_bfloat16S2_S1_EEvlllT_PT11_llS5_llS3_PT12_llPT13_lli.num_vgpr, 70
	.set _ZN12_GLOBAL__N_127rocblas_gemm_batched_kernelIfLi16ELi16ELi64ELi64ELi4ELi64ELi4ELi4ELi64ELc84ELc84EK16rocblas_bfloat16S2_S1_EEvlllT_PT11_llS5_llS3_PT12_llPT13_lli.num_agpr, 0
	.set _ZN12_GLOBAL__N_127rocblas_gemm_batched_kernelIfLi16ELi16ELi64ELi64ELi4ELi64ELi4ELi4ELi64ELc84ELc84EK16rocblas_bfloat16S2_S1_EEvlllT_PT11_llS5_llS3_PT12_llPT13_lli.numbered_sgpr, 38
	.set _ZN12_GLOBAL__N_127rocblas_gemm_batched_kernelIfLi16ELi16ELi64ELi64ELi4ELi64ELi4ELi4ELi64ELc84ELc84EK16rocblas_bfloat16S2_S1_EEvlllT_PT11_llS5_llS3_PT12_llPT13_lli.num_named_barrier, 0
	.set _ZN12_GLOBAL__N_127rocblas_gemm_batched_kernelIfLi16ELi16ELi64ELi64ELi4ELi64ELi4ELi4ELi64ELc84ELc84EK16rocblas_bfloat16S2_S1_EEvlllT_PT11_llS5_llS3_PT12_llPT13_lli.private_seg_size, 0
	.set _ZN12_GLOBAL__N_127rocblas_gemm_batched_kernelIfLi16ELi16ELi64ELi64ELi4ELi64ELi4ELi4ELi64ELc84ELc84EK16rocblas_bfloat16S2_S1_EEvlllT_PT11_llS5_llS3_PT12_llPT13_lli.uses_vcc, 1
	.set _ZN12_GLOBAL__N_127rocblas_gemm_batched_kernelIfLi16ELi16ELi64ELi64ELi4ELi64ELi4ELi4ELi64ELc84ELc84EK16rocblas_bfloat16S2_S1_EEvlllT_PT11_llS5_llS3_PT12_llPT13_lli.uses_flat_scratch, 0
	.set _ZN12_GLOBAL__N_127rocblas_gemm_batched_kernelIfLi16ELi16ELi64ELi64ELi4ELi64ELi4ELi4ELi64ELc84ELc84EK16rocblas_bfloat16S2_S1_EEvlllT_PT11_llS5_llS3_PT12_llPT13_lli.has_dyn_sized_stack, 0
	.set _ZN12_GLOBAL__N_127rocblas_gemm_batched_kernelIfLi16ELi16ELi64ELi64ELi4ELi64ELi4ELi4ELi64ELc84ELc84EK16rocblas_bfloat16S2_S1_EEvlllT_PT11_llS5_llS3_PT12_llPT13_lli.has_recursion, 0
	.set _ZN12_GLOBAL__N_127rocblas_gemm_batched_kernelIfLi16ELi16ELi64ELi64ELi4ELi64ELi4ELi4ELi64ELc84ELc84EK16rocblas_bfloat16S2_S1_EEvlllT_PT11_llS5_llS3_PT12_llPT13_lli.has_indirect_call, 0
	.section	.AMDGPU.csdata,"",@progbits
; Kernel info:
; codeLenInByte = 6916
; TotalNumSgprs: 40
; NumVgprs: 70
; ScratchSize: 0
; MemoryBound: 0
; FloatMode: 240
; IeeeMode: 1
; LDSByteSize: 2048 bytes/workgroup (compile time only)
; SGPRBlocks: 0
; VGPRBlocks: 4
; NumSGPRsForWavesPerEU: 40
; NumVGPRsForWavesPerEU: 70
; NamedBarCnt: 0
; Occupancy: 12
; WaveLimiterHint : 0
; COMPUTE_PGM_RSRC2:SCRATCH_EN: 0
; COMPUTE_PGM_RSRC2:USER_SGPR: 2
; COMPUTE_PGM_RSRC2:TRAP_HANDLER: 0
; COMPUTE_PGM_RSRC2:TGID_X_EN: 1
; COMPUTE_PGM_RSRC2:TGID_Y_EN: 1
; COMPUTE_PGM_RSRC2:TGID_Z_EN: 1
; COMPUTE_PGM_RSRC2:TIDIG_COMP_CNT: 1
	.section	.text._ZN12_GLOBAL__N_127rocblas_gemm_batched_kernelIfLi16ELi16ELi64ELi64ELi4ELi64ELi4ELi4ELi64ELc67ELc67EK16rocblas_bfloat16S2_S1_EEvlllT_PT11_llS5_llS3_PT12_llPT13_lli,"axG",@progbits,_ZN12_GLOBAL__N_127rocblas_gemm_batched_kernelIfLi16ELi16ELi64ELi64ELi4ELi64ELi4ELi4ELi64ELc67ELc67EK16rocblas_bfloat16S2_S1_EEvlllT_PT11_llS5_llS3_PT12_llPT13_lli,comdat
	.globl	_ZN12_GLOBAL__N_127rocblas_gemm_batched_kernelIfLi16ELi16ELi64ELi64ELi4ELi64ELi4ELi4ELi64ELc67ELc67EK16rocblas_bfloat16S2_S1_EEvlllT_PT11_llS5_llS3_PT12_llPT13_lli ; -- Begin function _ZN12_GLOBAL__N_127rocblas_gemm_batched_kernelIfLi16ELi16ELi64ELi64ELi4ELi64ELi4ELi4ELi64ELc67ELc67EK16rocblas_bfloat16S2_S1_EEvlllT_PT11_llS5_llS3_PT12_llPT13_lli
	.p2align	8
	.type	_ZN12_GLOBAL__N_127rocblas_gemm_batched_kernelIfLi16ELi16ELi64ELi64ELi4ELi64ELi4ELi4ELi64ELc67ELc67EK16rocblas_bfloat16S2_S1_EEvlllT_PT11_llS5_llS3_PT12_llPT13_lli,@function
_ZN12_GLOBAL__N_127rocblas_gemm_batched_kernelIfLi16ELi16ELi64ELi64ELi4ELi64ELi4ELi4ELi64ELc67ELc67EK16rocblas_bfloat16S2_S1_EEvlllT_PT11_llS5_llS3_PT12_llPT13_lli: ; @_ZN12_GLOBAL__N_127rocblas_gemm_batched_kernelIfLi16ELi16ELi64ELi64ELi4ELi64ELi4ELi4ELi64ELc67ELc67EK16rocblas_bfloat16S2_S1_EEvlllT_PT11_llS5_llS3_PT12_llPT13_lli
; %bb.0:
	s_load_b32 s3, s[0:1], 0x88
	s_bfe_u32 s2, ttmp6, 0x40014
	s_lshr_b32 s4, ttmp7, 16
	s_add_co_i32 s2, s2, 1
	s_bfe_u32 s6, ttmp6, 0x40008
	s_mul_i32 s5, s4, s2
	s_getreg_b32 s2, hwreg(HW_REG_IB_STS2, 6, 4)
	s_add_co_i32 s6, s6, s5
	s_cmp_eq_u32 s2, 0
	s_mov_b32 s29, 0
	s_cselect_b32 s28, s4, s6
	s_wait_kmcnt 0x0
	s_cmp_ge_i32 s28, s3
	s_cbranch_scc1 .LBB422_202
; %bb.1:
	v_bfe_u32 v4, v0, 10, 10
	v_and_b32_e32 v2, 0x3ff, v0
	s_bfe_u32 s30, ttmp6, 0x4000c
	s_bfe_u32 s33, ttmp6, 0x40010
	s_clause 0x2
	s_load_b256 s[12:19], s[0:1], 0x20
	s_load_b128 s[24:27], s[0:1], 0x40
	s_load_b128 s[20:23], s[0:1], 0x78
	v_lshlrev_b32_e32 v16, 4, v4
	s_add_co_i32 s30, s30, 1
	s_and_b32 s34, ttmp7, 0xffff
	s_add_co_i32 s33, s33, 1
	s_and_b32 s31, ttmp6, 15
	s_mul_i32 s30, ttmp9, s30
	s_mul_i32 s33, s34, s33
	s_bfe_u32 s35, ttmp6, 0x40004
	v_dual_add_nc_u32 v3, v16, v2 :: v_dual_mov_b32 v5, 0
	s_add_co_i32 s31, s31, s30
	s_add_co_i32 s35, s35, s33
	s_load_b256 s[4:11], s[0:1], 0x58
	s_cmp_eq_u32 s2, 0
	v_and_b32_e32 v17, 63, v3
	s_cselect_b32 s30, ttmp9, s31
	s_cselect_b32 s2, s34, s35
	s_ashr_i32 s31, s30, 31
	s_lshl_b32 s36, s2, 6
	s_lshl_b64 s[34:35], s[30:31], 6
	s_mov_b32 s37, s29
	v_dual_mov_b32 v7, s35 :: v_dual_bitop2_b32 v6, s34, v17 bitop3:0x54
	v_add_nc_u64_e32 v[8:9], s[36:37], v[4:5]
	v_dual_lshrrev_b32 v10, 2, v3 :: v_dual_bitop2_b32 v4, 3, v0 bitop3:0x40
	v_mov_b32_e32 v11, v5
	s_wait_kmcnt 0x0
	v_mul_u64_e32 v[6:7], s[14:15], v[6:7]
	s_load_b32 s30, s[0:1], 0x50
	v_lshlrev_b32_e32 v36, 2, v2
	v_mul_u64_e32 v[0:1], s[20:21], v[8:9]
	s_wait_xcnt 0x0
	s_load_b96 s[0:2], s[0:1], 0x10
	v_mul_u64_e32 v[12:13], s[6:7], v[8:9]
	v_lshlrev_b32_e32 v8, 2, v4
	v_mad_nc_u64_u32 v[14:15], s24, v4, v[10:11]
	v_dual_lshrrev_b32 v9, 6, v3 :: v_dual_lshlrev_b32 v11, 2, v17
	v_mov_b32_e32 v3, v5
	v_add_nc_u32_e32 v37, 0x400, v16
	s_delay_alu instid0(VALU_DEP_3) | instskip(NEXT) | instid1(VALU_DEP_3)
	v_lshl_or_b32 v34, v9, 8, v11
	v_add_nc_u64_e32 v[2:3], s[34:35], v[2:3]
	v_mad_u32 v15, s25, v4, v15
	v_lshl_or_b32 v4, v10, 4, v8
	s_wait_kmcnt 0x0
	s_cmp_eq_f32 s30, 0
	s_delay_alu instid0(VALU_DEP_1)
	v_add_nc_u32_e32 v35, 0x400, v4
	v_lshlrev_b32_e32 v4, 1, v9
	s_cselect_b32 s31, -1, 0
	s_lshl_b64 s[14:15], s[20:21], 4
	v_cmp_gt_i64_e64 s20, s[0:1], 0
	v_add_nc_u64_e32 v[8:9], s[36:37], v[14:15]
	s_lshl_b64 s[6:7], s[6:7], 4
	s_lshl_b64 s[16:17], s[16:17], 1
	v_lshl_add_u64 v[10:11], v[6:7], 1, v[4:5]
	s_delay_alu instid0(VALU_DEP_2) | instskip(NEXT) | instid1(VALU_DEP_2)
	v_lshl_add_u64 v[6:7], v[8:9], 1, s[18:19]
	v_add_nc_u64_e32 v[8:9], s[12:13], v[10:11]
	v_lshl_add_u64 v[4:5], v[12:13], 1, s[4:5]
	s_lshl_b64 s[4:5], s[26:27], 1
	s_lshl_b64 s[12:13], s[24:25], 3
	s_branch .LBB422_4
.LBB422_2:                              ;   in Loop: Header=BB422_4 Depth=1
	s_or_b32 exec_lo, exec_lo, s18
	global_store_d16_hi_b16 v[16:17], v11, off offset:96
.LBB422_3:                              ;   in Loop: Header=BB422_4 Depth=1
	s_add_co_i32 s28, s28, 0x10000
	s_delay_alu instid0(SALU_CYCLE_1)
	s_cmp_lt_i32 s28, s3
	s_cbranch_scc0 .LBB422_202
.LBB422_4:                              ; =>This Loop Header: Depth=1
                                        ;     Child Loop BB422_6 Depth 2
	v_dual_mov_b32 v25, 0 :: v_dual_mov_b32 v24, 0
	v_dual_mov_b32 v23, 0 :: v_dual_mov_b32 v22, 0
	;; [unrolled: 1-line block ×4, first 2 shown]
	s_wait_xcnt 0x0
	v_dual_mov_b32 v17, 0 :: v_dual_mov_b32 v16, 0
	v_dual_mov_b32 v15, 0 :: v_dual_mov_b32 v14, 0
	v_dual_mov_b32 v13, 0 :: v_dual_mov_b32 v12, 0
	v_dual_mov_b32 v11, 0 :: v_dual_mov_b32 v10, 0
	s_and_not1_b32 vcc_lo, exec_lo, s20
	s_cbranch_vccnz .LBB422_7
; %bb.5:                                ;   in Loop: Header=BB422_4 Depth=1
	v_mad_nc_u64_u32 v[26:27], s4, s28, v[6:7]
	v_mad_nc_u64_u32 v[28:29], s16, s28, v[8:9]
	v_mov_b32_e32 v10, 0
	s_mov_b64 s[18:19], 0
	s_delay_alu instid0(VALU_DEP_1)
	v_dual_mov_b32 v11, v10 :: v_dual_mov_b32 v12, v10
	v_dual_mov_b32 v13, v10 :: v_dual_mov_b32 v14, v10
	v_mad_u32 v27, s5, s28, v27
	v_mad_u32 v29, s17, s28, v29
	v_dual_mov_b32 v15, v10 :: v_dual_mov_b32 v16, v10
	v_dual_mov_b32 v17, v10 :: v_dual_mov_b32 v18, v10
	;; [unrolled: 1-line block ×5, first 2 shown]
	v_mov_b32_e32 v25, v10
.LBB422_6:                              ;   Parent Loop BB422_4 Depth=1
                                        ; =>  This Inner Loop Header: Depth=2
	global_load_u16 v30, v[28:29], off
	global_load_u16 v31, v[26:27], off
	s_add_nc_u64 s[18:19], s[18:19], 4
	s_wait_xcnt 0x0
	v_add_nc_u64_e32 v[26:27], s[12:13], v[26:27]
	v_cmp_lt_i64_e64 s21, s[18:19], s[0:1]
	v_add_nc_u64_e32 v[28:29], 8, v[28:29]
	s_and_b32 vcc_lo, exec_lo, s21
	s_wait_loadcnt 0x0
	v_dual_lshlrev_b32 v30, 16, v30 :: v_dual_lshlrev_b32 v31, 16, v31
	ds_store_b32 v34, v30
	ds_store_b32 v35, v31
	s_wait_dscnt 0x0
	s_barrier_signal -1
	s_barrier_wait -1
	ds_load_b128 v[30:33], v37
	ds_load_2addr_b32 v[50:51], v36 offset1:16
	ds_load_2addr_b32 v[52:53], v36 offset0:32 offset1:48
	ds_load_b128 v[38:41], v37 offset:256
	ds_load_b128 v[42:45], v37 offset:512
	;; [unrolled: 1-line block ×3, first 2 shown]
	ds_load_2addr_b32 v[54:55], v36 offset0:64 offset1:80
	ds_load_2addr_b32 v[56:57], v36 offset0:96 offset1:112
	;; [unrolled: 1-line block ×6, first 2 shown]
	s_wait_dscnt 0x0
	s_barrier_signal -1
	s_barrier_wait -1
	v_mov_b32_e32 v66, v33
	v_pk_fma_f32 v[24:25], v[50:51], v[30:31], v[24:25] op_sel_hi:[1,0,1]
	v_pk_fma_f32 v[22:23], v[52:53], v[30:31], v[22:23] op_sel_hi:[1,0,1]
	v_pk_fma_f32 v[20:21], v[50:51], v[38:39], v[20:21] op_sel_hi:[1,0,1]
	v_pk_fma_f32 v[16:17], v[50:51], v[42:43], v[16:17] op_sel_hi:[1,0,1]
	v_pk_fma_f32 v[12:13], v[50:51], v[46:47], v[12:13] op_sel_hi:[1,0,1]
	v_pk_fma_f32 v[18:19], v[52:53], v[38:39], v[18:19] op_sel_hi:[1,0,1]
	v_pk_fma_f32 v[14:15], v[52:53], v[42:43], v[14:15] op_sel_hi:[1,0,1]
	v_pk_fma_f32 v[10:11], v[52:53], v[46:47], v[10:11] op_sel_hi:[1,0,1]
	v_pk_fma_f32 v[24:25], v[54:55], v[30:31], v[24:25] op_sel:[0,1,0]
	v_pk_fma_f32 v[22:23], v[56:57], v[30:31], v[22:23] op_sel:[0,1,0]
	;; [unrolled: 1-line block ×8, first 2 shown]
	v_dual_mov_b32 v50, v41 :: v_dual_mov_b32 v52, v45
	v_mov_b32_e32 v68, v49
	v_pk_fma_f32 v[24:25], v[58:59], v[32:33], v[24:25] op_sel_hi:[1,0,1]
	v_pk_fma_f32 v[22:23], v[60:61], v[32:33], v[22:23] op_sel_hi:[1,0,1]
	;; [unrolled: 1-line block ×16, first 2 shown]
	s_cbranch_vccnz .LBB422_6
.LBB422_7:                              ;   in Loop: Header=BB422_4 Depth=1
	s_mul_u64 s[18:19], s[22:23], s[28:29]
	s_and_not1_b32 vcc_lo, exec_lo, s31
	s_lshl_b64 s[18:19], s[18:19], 1
	s_delay_alu instid0(SALU_CYCLE_1)
	s_add_nc_u64 s[18:19], s[10:11], s[18:19]
	s_cbranch_vccnz .LBB422_73
; %bb.8:                                ;   in Loop: Header=BB422_4 Depth=1
	v_mul_f32_e32 v26, s2, v24
	s_mov_b32 s21, exec_lo
                                        ; implicit-def: $vgpr30
	s_delay_alu instid0(VALU_DEP_1) | instskip(NEXT) | instid1(VALU_DEP_1)
	v_and_b32_e32 v27, 0x7f800000, v26
	v_cmpx_ne_u32_e32 0x7f800000, v27
	s_xor_b32 s21, exec_lo, s21
; %bb.9:                                ;   in Loop: Header=BB422_4 Depth=1
	v_bfe_u32 v27, v26, 16, 1
	s_delay_alu instid0(VALU_DEP_1)
	v_add3_u32 v30, v26, v27, 0x7fff
                                        ; implicit-def: $vgpr26
; %bb.10:                               ;   in Loop: Header=BB422_4 Depth=1
	s_and_not1_saveexec_b32 s21, s21
; %bb.11:                               ;   in Loop: Header=BB422_4 Depth=1
	v_and_b32_e32 v27, 0xffff, v26
	v_or_b32_e32 v28, 0x10000, v26
	s_delay_alu instid0(VALU_DEP_2) | instskip(NEXT) | instid1(VALU_DEP_2)
	v_cmp_eq_u32_e32 vcc_lo, 0, v27
	v_cndmask_b32_e32 v30, v28, v26, vcc_lo
; %bb.12:                               ;   in Loop: Header=BB422_4 Depth=1
	s_or_b32 exec_lo, exec_lo, s21
	v_mul_f32_e32 v31, s2, v25
	v_lshl_add_u64 v[26:27], v[0:1], 1, s[18:19]
	s_delay_alu instid0(VALU_DEP_2) | instskip(NEXT) | instid1(VALU_DEP_2)
	v_and_b32_e32 v32, 0x7f800000, v31
	v_lshl_add_u64 v[28:29], v[2:3], 1, v[26:27]
	s_delay_alu instid0(VALU_DEP_2) | instskip(SKIP_3) | instid1(SALU_CYCLE_1)
	v_cmp_ne_u32_e32 vcc_lo, 0x7f800000, v32
	global_store_d16_hi_b16 v[28:29], v30, off
                                        ; implicit-def: $vgpr32
	s_wait_xcnt 0x0
	s_and_saveexec_b32 s21, vcc_lo
	s_xor_b32 s21, exec_lo, s21
; %bb.13:                               ;   in Loop: Header=BB422_4 Depth=1
	v_bfe_u32 v30, v31, 16, 1
	s_delay_alu instid0(VALU_DEP_1)
	v_add3_u32 v32, v31, v30, 0x7fff
                                        ; implicit-def: $vgpr31
; %bb.14:                               ;   in Loop: Header=BB422_4 Depth=1
	s_and_not1_saveexec_b32 s21, s21
; %bb.15:                               ;   in Loop: Header=BB422_4 Depth=1
	v_and_b32_e32 v30, 0xffff, v31
	v_or_b32_e32 v32, 0x10000, v31
	s_delay_alu instid0(VALU_DEP_2) | instskip(NEXT) | instid1(VALU_DEP_2)
	v_cmp_eq_u32_e32 vcc_lo, 0, v30
	v_cndmask_b32_e32 v32, v32, v31, vcc_lo
; %bb.16:                               ;   in Loop: Header=BB422_4 Depth=1
	s_or_b32 exec_lo, exec_lo, s21
	v_mul_f32_e32 v30, s2, v22
	global_store_d16_hi_b16 v[28:29], v32, off offset:32
	v_and_b32_e32 v31, 0x7f800000, v30
	s_delay_alu instid0(VALU_DEP_1) | instskip(SKIP_2) | instid1(SALU_CYCLE_1)
	v_cmp_ne_u32_e32 vcc_lo, 0x7f800000, v31
                                        ; implicit-def: $vgpr31
	s_wait_xcnt 0x0
	s_and_saveexec_b32 s21, vcc_lo
	s_xor_b32 s21, exec_lo, s21
; %bb.17:                               ;   in Loop: Header=BB422_4 Depth=1
	v_bfe_u32 v31, v30, 16, 1
	s_delay_alu instid0(VALU_DEP_1)
	v_add3_u32 v31, v30, v31, 0x7fff
                                        ; implicit-def: $vgpr30
; %bb.18:                               ;   in Loop: Header=BB422_4 Depth=1
	s_and_not1_saveexec_b32 s21, s21
; %bb.19:                               ;   in Loop: Header=BB422_4 Depth=1
	v_and_b32_e32 v31, 0xffff, v30
	v_or_b32_e32 v32, 0x10000, v30
	s_delay_alu instid0(VALU_DEP_2) | instskip(NEXT) | instid1(VALU_DEP_2)
	v_cmp_eq_u32_e32 vcc_lo, 0, v31
	v_cndmask_b32_e32 v31, v32, v30, vcc_lo
; %bb.20:                               ;   in Loop: Header=BB422_4 Depth=1
	s_or_b32 exec_lo, exec_lo, s21
	v_mul_f32_e32 v30, s2, v23
	global_store_d16_hi_b16 v[28:29], v31, off offset:64
	v_and_b32_e32 v32, 0x7f800000, v30
	s_delay_alu instid0(VALU_DEP_1) | instskip(SKIP_2) | instid1(SALU_CYCLE_1)
	v_cmp_ne_u32_e32 vcc_lo, 0x7f800000, v32
                                        ; implicit-def: $vgpr32
	s_wait_xcnt 0x0
	s_and_saveexec_b32 s21, vcc_lo
	s_xor_b32 s21, exec_lo, s21
; %bb.21:                               ;   in Loop: Header=BB422_4 Depth=1
	v_bfe_u32 v31, v30, 16, 1
	s_delay_alu instid0(VALU_DEP_1)
	v_add3_u32 v32, v30, v31, 0x7fff
                                        ; implicit-def: $vgpr30
; %bb.22:                               ;   in Loop: Header=BB422_4 Depth=1
	s_and_not1_saveexec_b32 s21, s21
; %bb.23:                               ;   in Loop: Header=BB422_4 Depth=1
	v_and_b32_e32 v31, 0xffff, v30
	v_or_b32_e32 v32, 0x10000, v30
	s_delay_alu instid0(VALU_DEP_2) | instskip(NEXT) | instid1(VALU_DEP_2)
	v_cmp_eq_u32_e32 vcc_lo, 0, v31
	v_cndmask_b32_e32 v32, v32, v30, vcc_lo
; %bb.24:                               ;   in Loop: Header=BB422_4 Depth=1
	s_or_b32 exec_lo, exec_lo, s21
	v_mul_f32_e32 v31, s2, v20
	global_store_d16_hi_b16 v[28:29], v32, off offset:96
	v_and_b32_e32 v30, 0x7f800000, v31
	s_delay_alu instid0(VALU_DEP_1) | instskip(SKIP_2) | instid1(SALU_CYCLE_1)
	v_cmp_ne_u32_e32 vcc_lo, 0x7f800000, v30
                                        ; implicit-def: $vgpr30
	s_wait_xcnt 0x0
	s_and_saveexec_b32 s21, vcc_lo
	s_xor_b32 s21, exec_lo, s21
; %bb.25:                               ;   in Loop: Header=BB422_4 Depth=1
	v_bfe_u32 v28, v31, 16, 1
	s_delay_alu instid0(VALU_DEP_1)
	v_add3_u32 v30, v31, v28, 0x7fff
                                        ; implicit-def: $vgpr31
; %bb.26:                               ;   in Loop: Header=BB422_4 Depth=1
	s_and_not1_saveexec_b32 s21, s21
; %bb.27:                               ;   in Loop: Header=BB422_4 Depth=1
	v_and_b32_e32 v28, 0xffff, v31
	v_or_b32_e32 v29, 0x10000, v31
	s_delay_alu instid0(VALU_DEP_2) | instskip(NEXT) | instid1(VALU_DEP_2)
	v_cmp_eq_u32_e32 vcc_lo, 0, v28
	v_cndmask_b32_e32 v30, v29, v31, vcc_lo
; %bb.28:                               ;   in Loop: Header=BB422_4 Depth=1
	s_or_b32 exec_lo, exec_lo, s21
	v_mul_f32_e32 v31, s2, v21
	v_lshl_add_u64 v[26:27], s[14:15], 1, v[26:27]
	s_delay_alu instid0(VALU_DEP_2) | instskip(NEXT) | instid1(VALU_DEP_2)
	v_and_b32_e32 v32, 0x7f800000, v31
	v_lshl_add_u64 v[28:29], v[2:3], 1, v[26:27]
	s_delay_alu instid0(VALU_DEP_2) | instskip(SKIP_3) | instid1(SALU_CYCLE_1)
	v_cmp_ne_u32_e32 vcc_lo, 0x7f800000, v32
	global_store_d16_hi_b16 v[28:29], v30, off
                                        ; implicit-def: $vgpr32
	s_wait_xcnt 0x0
	s_and_saveexec_b32 s21, vcc_lo
	s_xor_b32 s21, exec_lo, s21
; %bb.29:                               ;   in Loop: Header=BB422_4 Depth=1
	v_bfe_u32 v30, v31, 16, 1
	s_delay_alu instid0(VALU_DEP_1)
	v_add3_u32 v32, v31, v30, 0x7fff
                                        ; implicit-def: $vgpr31
; %bb.30:                               ;   in Loop: Header=BB422_4 Depth=1
	s_and_not1_saveexec_b32 s21, s21
; %bb.31:                               ;   in Loop: Header=BB422_4 Depth=1
	v_and_b32_e32 v30, 0xffff, v31
	v_or_b32_e32 v32, 0x10000, v31
	s_delay_alu instid0(VALU_DEP_2) | instskip(NEXT) | instid1(VALU_DEP_2)
	v_cmp_eq_u32_e32 vcc_lo, 0, v30
	v_cndmask_b32_e32 v32, v32, v31, vcc_lo
; %bb.32:                               ;   in Loop: Header=BB422_4 Depth=1
	s_or_b32 exec_lo, exec_lo, s21
	v_mul_f32_e32 v30, s2, v18
	global_store_d16_hi_b16 v[28:29], v32, off offset:32
	v_and_b32_e32 v31, 0x7f800000, v30
	s_delay_alu instid0(VALU_DEP_1) | instskip(SKIP_2) | instid1(SALU_CYCLE_1)
	v_cmp_ne_u32_e32 vcc_lo, 0x7f800000, v31
                                        ; implicit-def: $vgpr31
	s_wait_xcnt 0x0
	s_and_saveexec_b32 s21, vcc_lo
	s_xor_b32 s21, exec_lo, s21
; %bb.33:                               ;   in Loop: Header=BB422_4 Depth=1
	v_bfe_u32 v31, v30, 16, 1
	s_delay_alu instid0(VALU_DEP_1)
	v_add3_u32 v31, v30, v31, 0x7fff
                                        ; implicit-def: $vgpr30
; %bb.34:                               ;   in Loop: Header=BB422_4 Depth=1
	s_and_not1_saveexec_b32 s21, s21
; %bb.35:                               ;   in Loop: Header=BB422_4 Depth=1
	v_and_b32_e32 v31, 0xffff, v30
	v_or_b32_e32 v32, 0x10000, v30
	s_delay_alu instid0(VALU_DEP_2) | instskip(NEXT) | instid1(VALU_DEP_2)
	v_cmp_eq_u32_e32 vcc_lo, 0, v31
	v_cndmask_b32_e32 v31, v32, v30, vcc_lo
; %bb.36:                               ;   in Loop: Header=BB422_4 Depth=1
	s_or_b32 exec_lo, exec_lo, s21
	v_mul_f32_e32 v30, s2, v19
	global_store_d16_hi_b16 v[28:29], v31, off offset:64
	v_and_b32_e32 v32, 0x7f800000, v30
	s_delay_alu instid0(VALU_DEP_1) | instskip(SKIP_2) | instid1(SALU_CYCLE_1)
	v_cmp_ne_u32_e32 vcc_lo, 0x7f800000, v32
                                        ; implicit-def: $vgpr32
	s_wait_xcnt 0x0
	s_and_saveexec_b32 s21, vcc_lo
	s_xor_b32 s21, exec_lo, s21
; %bb.37:                               ;   in Loop: Header=BB422_4 Depth=1
	v_bfe_u32 v31, v30, 16, 1
	s_delay_alu instid0(VALU_DEP_1)
	v_add3_u32 v32, v30, v31, 0x7fff
                                        ; implicit-def: $vgpr30
; %bb.38:                               ;   in Loop: Header=BB422_4 Depth=1
	s_and_not1_saveexec_b32 s21, s21
; %bb.39:                               ;   in Loop: Header=BB422_4 Depth=1
	v_and_b32_e32 v31, 0xffff, v30
	v_or_b32_e32 v32, 0x10000, v30
	s_delay_alu instid0(VALU_DEP_2) | instskip(NEXT) | instid1(VALU_DEP_2)
	v_cmp_eq_u32_e32 vcc_lo, 0, v31
	v_cndmask_b32_e32 v32, v32, v30, vcc_lo
; %bb.40:                               ;   in Loop: Header=BB422_4 Depth=1
	s_or_b32 exec_lo, exec_lo, s21
	v_mul_f32_e32 v31, s2, v16
	global_store_d16_hi_b16 v[28:29], v32, off offset:96
	v_and_b32_e32 v30, 0x7f800000, v31
	s_delay_alu instid0(VALU_DEP_1) | instskip(SKIP_2) | instid1(SALU_CYCLE_1)
	v_cmp_ne_u32_e32 vcc_lo, 0x7f800000, v30
                                        ; implicit-def: $vgpr30
	s_wait_xcnt 0x0
	s_and_saveexec_b32 s21, vcc_lo
	s_xor_b32 s21, exec_lo, s21
; %bb.41:                               ;   in Loop: Header=BB422_4 Depth=1
	v_bfe_u32 v28, v31, 16, 1
	s_delay_alu instid0(VALU_DEP_1)
	v_add3_u32 v30, v31, v28, 0x7fff
                                        ; implicit-def: $vgpr31
; %bb.42:                               ;   in Loop: Header=BB422_4 Depth=1
	s_and_not1_saveexec_b32 s21, s21
; %bb.43:                               ;   in Loop: Header=BB422_4 Depth=1
	v_and_b32_e32 v28, 0xffff, v31
	v_or_b32_e32 v29, 0x10000, v31
	s_delay_alu instid0(VALU_DEP_2) | instskip(NEXT) | instid1(VALU_DEP_2)
	v_cmp_eq_u32_e32 vcc_lo, 0, v28
	v_cndmask_b32_e32 v30, v29, v31, vcc_lo
; %bb.44:                               ;   in Loop: Header=BB422_4 Depth=1
	s_or_b32 exec_lo, exec_lo, s21
	v_mul_f32_e32 v31, s2, v17
	v_lshl_add_u64 v[26:27], s[14:15], 1, v[26:27]
	s_delay_alu instid0(VALU_DEP_2) | instskip(NEXT) | instid1(VALU_DEP_2)
	v_and_b32_e32 v32, 0x7f800000, v31
	v_lshl_add_u64 v[28:29], v[2:3], 1, v[26:27]
	s_delay_alu instid0(VALU_DEP_2) | instskip(SKIP_3) | instid1(SALU_CYCLE_1)
	v_cmp_ne_u32_e32 vcc_lo, 0x7f800000, v32
	global_store_d16_hi_b16 v[28:29], v30, off
                                        ; implicit-def: $vgpr32
	s_wait_xcnt 0x0
	s_and_saveexec_b32 s21, vcc_lo
	s_xor_b32 s21, exec_lo, s21
; %bb.45:                               ;   in Loop: Header=BB422_4 Depth=1
	v_bfe_u32 v30, v31, 16, 1
	s_delay_alu instid0(VALU_DEP_1)
	v_add3_u32 v32, v31, v30, 0x7fff
                                        ; implicit-def: $vgpr31
; %bb.46:                               ;   in Loop: Header=BB422_4 Depth=1
	s_and_not1_saveexec_b32 s21, s21
; %bb.47:                               ;   in Loop: Header=BB422_4 Depth=1
	v_and_b32_e32 v30, 0xffff, v31
	v_or_b32_e32 v32, 0x10000, v31
	s_delay_alu instid0(VALU_DEP_2) | instskip(NEXT) | instid1(VALU_DEP_2)
	v_cmp_eq_u32_e32 vcc_lo, 0, v30
	v_cndmask_b32_e32 v32, v32, v31, vcc_lo
; %bb.48:                               ;   in Loop: Header=BB422_4 Depth=1
	s_or_b32 exec_lo, exec_lo, s21
	v_mul_f32_e32 v30, s2, v14
	global_store_d16_hi_b16 v[28:29], v32, off offset:32
	v_and_b32_e32 v31, 0x7f800000, v30
	s_delay_alu instid0(VALU_DEP_1) | instskip(SKIP_2) | instid1(SALU_CYCLE_1)
	v_cmp_ne_u32_e32 vcc_lo, 0x7f800000, v31
                                        ; implicit-def: $vgpr31
	s_wait_xcnt 0x0
	s_and_saveexec_b32 s21, vcc_lo
	s_xor_b32 s21, exec_lo, s21
; %bb.49:                               ;   in Loop: Header=BB422_4 Depth=1
	v_bfe_u32 v31, v30, 16, 1
	s_delay_alu instid0(VALU_DEP_1)
	v_add3_u32 v31, v30, v31, 0x7fff
                                        ; implicit-def: $vgpr30
; %bb.50:                               ;   in Loop: Header=BB422_4 Depth=1
	s_and_not1_saveexec_b32 s21, s21
; %bb.51:                               ;   in Loop: Header=BB422_4 Depth=1
	v_and_b32_e32 v31, 0xffff, v30
	v_or_b32_e32 v32, 0x10000, v30
	s_delay_alu instid0(VALU_DEP_2) | instskip(NEXT) | instid1(VALU_DEP_2)
	v_cmp_eq_u32_e32 vcc_lo, 0, v31
	v_cndmask_b32_e32 v31, v32, v30, vcc_lo
; %bb.52:                               ;   in Loop: Header=BB422_4 Depth=1
	s_or_b32 exec_lo, exec_lo, s21
	v_mul_f32_e32 v30, s2, v15
	s_mov_b32 s21, exec_lo
	global_store_d16_hi_b16 v[28:29], v31, off offset:64
                                        ; implicit-def: $vgpr31
	v_and_b32_e32 v32, 0x7f800000, v30
	s_wait_xcnt 0x0
	s_delay_alu instid0(VALU_DEP_1)
	v_cmpx_ne_u32_e32 0x7f800000, v32
	s_xor_b32 s21, exec_lo, s21
; %bb.53:                               ;   in Loop: Header=BB422_4 Depth=1
	v_bfe_u32 v31, v30, 16, 1
	s_delay_alu instid0(VALU_DEP_1)
	v_add3_u32 v31, v30, v31, 0x7fff
                                        ; implicit-def: $vgpr30
; %bb.54:                               ;   in Loop: Header=BB422_4 Depth=1
	s_and_not1_saveexec_b32 s21, s21
; %bb.55:                               ;   in Loop: Header=BB422_4 Depth=1
	v_and_b32_e32 v31, 0xffff, v30
	v_or_b32_e32 v32, 0x10000, v30
	s_delay_alu instid0(VALU_DEP_2) | instskip(NEXT) | instid1(VALU_DEP_2)
	v_cmp_eq_u32_e32 vcc_lo, 0, v31
	v_cndmask_b32_e32 v31, v32, v30, vcc_lo
; %bb.56:                               ;   in Loop: Header=BB422_4 Depth=1
	s_or_b32 exec_lo, exec_lo, s21
	v_mul_f32_e32 v30, s2, v12
	s_mov_b32 s21, exec_lo
	global_store_d16_hi_b16 v[28:29], v31, off offset:96
                                        ; implicit-def: $vgpr28
	v_and_b32_e32 v32, 0x7f800000, v30
	s_wait_xcnt 0x0
	s_delay_alu instid0(VALU_DEP_1)
	v_cmpx_ne_u32_e32 0x7f800000, v32
	s_xor_b32 s21, exec_lo, s21
; %bb.57:                               ;   in Loop: Header=BB422_4 Depth=1
	v_bfe_u32 v28, v30, 16, 1
	s_delay_alu instid0(VALU_DEP_1)
	v_add3_u32 v28, v30, v28, 0x7fff
                                        ; implicit-def: $vgpr30
; %bb.58:                               ;   in Loop: Header=BB422_4 Depth=1
	s_and_not1_saveexec_b32 s21, s21
; %bb.59:                               ;   in Loop: Header=BB422_4 Depth=1
	v_and_b32_e32 v28, 0xffff, v30
	v_or_b32_e32 v29, 0x10000, v30
	s_delay_alu instid0(VALU_DEP_2) | instskip(NEXT) | instid1(VALU_DEP_2)
	v_cmp_eq_u32_e32 vcc_lo, 0, v28
	v_cndmask_b32_e32 v28, v29, v30, vcc_lo
; %bb.60:                               ;   in Loop: Header=BB422_4 Depth=1
	s_or_b32 exec_lo, exec_lo, s21
	v_mul_f32_e32 v29, s2, v13
	v_lshl_add_u64 v[26:27], s[14:15], 1, v[26:27]
	s_delay_alu instid0(VALU_DEP_2) | instskip(NEXT) | instid1(VALU_DEP_2)
	v_and_b32_e32 v30, 0x7f800000, v29
	v_lshl_add_u64 v[26:27], v[2:3], 1, v[26:27]
	s_delay_alu instid0(VALU_DEP_2) | instskip(SKIP_3) | instid1(SALU_CYCLE_1)
	v_cmp_ne_u32_e32 vcc_lo, 0x7f800000, v30
	global_store_d16_hi_b16 v[26:27], v28, off
                                        ; implicit-def: $vgpr30
	s_wait_xcnt 0x0
	s_and_saveexec_b32 s21, vcc_lo
	s_xor_b32 s21, exec_lo, s21
; %bb.61:                               ;   in Loop: Header=BB422_4 Depth=1
	v_bfe_u32 v28, v29, 16, 1
	s_delay_alu instid0(VALU_DEP_1)
	v_add3_u32 v30, v29, v28, 0x7fff
                                        ; implicit-def: $vgpr29
; %bb.62:                               ;   in Loop: Header=BB422_4 Depth=1
	s_and_not1_saveexec_b32 s21, s21
; %bb.63:                               ;   in Loop: Header=BB422_4 Depth=1
	v_and_b32_e32 v28, 0xffff, v29
	v_or_b32_e32 v30, 0x10000, v29
	s_delay_alu instid0(VALU_DEP_2) | instskip(NEXT) | instid1(VALU_DEP_2)
	v_cmp_eq_u32_e32 vcc_lo, 0, v28
	v_cndmask_b32_e32 v30, v30, v29, vcc_lo
; %bb.64:                               ;   in Loop: Header=BB422_4 Depth=1
	s_or_b32 exec_lo, exec_lo, s21
	v_mul_f32_e32 v28, s2, v10
	global_store_d16_hi_b16 v[26:27], v30, off offset:32
	v_and_b32_e32 v29, 0x7f800000, v28
	s_delay_alu instid0(VALU_DEP_1) | instskip(SKIP_2) | instid1(SALU_CYCLE_1)
	v_cmp_ne_u32_e32 vcc_lo, 0x7f800000, v29
                                        ; implicit-def: $vgpr29
	s_wait_xcnt 0x0
	s_and_saveexec_b32 s21, vcc_lo
	s_xor_b32 s21, exec_lo, s21
; %bb.65:                               ;   in Loop: Header=BB422_4 Depth=1
	v_bfe_u32 v29, v28, 16, 1
	s_delay_alu instid0(VALU_DEP_1)
	v_add3_u32 v29, v28, v29, 0x7fff
                                        ; implicit-def: $vgpr28
; %bb.66:                               ;   in Loop: Header=BB422_4 Depth=1
	s_and_not1_saveexec_b32 s21, s21
; %bb.67:                               ;   in Loop: Header=BB422_4 Depth=1
	v_and_b32_e32 v29, 0xffff, v28
	v_or_b32_e32 v30, 0x10000, v28
	s_delay_alu instid0(VALU_DEP_2) | instskip(NEXT) | instid1(VALU_DEP_2)
	v_cmp_eq_u32_e32 vcc_lo, 0, v29
	v_cndmask_b32_e32 v29, v30, v28, vcc_lo
; %bb.68:                               ;   in Loop: Header=BB422_4 Depth=1
	s_or_b32 exec_lo, exec_lo, s21
	v_mul_f32_e32 v28, s2, v11
	s_mov_b32 s21, exec_lo
	global_store_d16_hi_b16 v[26:27], v29, off offset:64
                                        ; implicit-def: $vgpr29
	v_and_b32_e32 v30, 0x7f800000, v28
	s_wait_xcnt 0x0
	s_delay_alu instid0(VALU_DEP_1)
	v_cmpx_ne_u32_e32 0x7f800000, v30
	s_xor_b32 s21, exec_lo, s21
; %bb.69:                               ;   in Loop: Header=BB422_4 Depth=1
	v_bfe_u32 v29, v28, 16, 1
	s_delay_alu instid0(VALU_DEP_1)
	v_add3_u32 v29, v28, v29, 0x7fff
                                        ; implicit-def: $vgpr28
; %bb.70:                               ;   in Loop: Header=BB422_4 Depth=1
	s_and_not1_saveexec_b32 s21, s21
; %bb.71:                               ;   in Loop: Header=BB422_4 Depth=1
	v_and_b32_e32 v29, 0xffff, v28
	v_or_b32_e32 v30, 0x10000, v28
	s_delay_alu instid0(VALU_DEP_2) | instskip(NEXT) | instid1(VALU_DEP_2)
	v_cmp_eq_u32_e32 vcc_lo, 0, v29
	v_cndmask_b32_e32 v29, v30, v28, vcc_lo
; %bb.72:                               ;   in Loop: Header=BB422_4 Depth=1
	s_or_b32 exec_lo, exec_lo, s21
	global_store_d16_hi_b16 v[26:27], v29, off offset:96
	s_branch .LBB422_3
.LBB422_73:                             ;   in Loop: Header=BB422_4 Depth=1
	s_cbranch_execz .LBB422_3
; %bb.74:                               ;   in Loop: Header=BB422_4 Depth=1
	s_mul_u64 s[24:25], s[8:9], s[28:29]
	s_wait_xcnt 0x0
	v_lshl_add_u64 v[26:27], s[24:25], 1, v[4:5]
	s_delay_alu instid0(VALU_DEP_1) | instskip(SKIP_3) | instid1(VALU_DEP_1)
	v_lshl_add_u64 v[30:31], v[2:3], 1, v[26:27]
	global_load_u16 v28, v[30:31], off
	s_wait_loadcnt 0x0
	v_lshlrev_b32_e32 v28, 16, v28
	v_mul_f32_e32 v28, s30, v28
	s_delay_alu instid0(VALU_DEP_1) | instskip(NEXT) | instid1(VALU_DEP_1)
	v_and_b32_e32 v29, 0x7f800000, v28
	v_cmp_ne_u32_e32 vcc_lo, 0x7f800000, v29
                                        ; implicit-def: $vgpr29
	s_wait_xcnt 0x0
	s_and_saveexec_b32 s21, vcc_lo
	s_delay_alu instid0(SALU_CYCLE_1)
	s_xor_b32 s21, exec_lo, s21
; %bb.75:                               ;   in Loop: Header=BB422_4 Depth=1
	v_bfe_u32 v29, v28, 16, 1
	s_delay_alu instid0(VALU_DEP_1)
	v_add3_u32 v29, v28, v29, 0x7fff
                                        ; implicit-def: $vgpr28
; %bb.76:                               ;   in Loop: Header=BB422_4 Depth=1
	s_and_not1_saveexec_b32 s21, s21
; %bb.77:                               ;   in Loop: Header=BB422_4 Depth=1
	v_and_b32_e32 v29, 0xffff, v28
	v_or_b32_e32 v32, 0x10000, v28
	s_delay_alu instid0(VALU_DEP_2) | instskip(NEXT) | instid1(VALU_DEP_2)
	v_cmp_eq_u32_e32 vcc_lo, 0, v29
	v_cndmask_b32_e32 v29, v32, v28, vcc_lo
; %bb.78:                               ;   in Loop: Header=BB422_4 Depth=1
	s_or_b32 exec_lo, exec_lo, s21
	s_delay_alu instid0(VALU_DEP_1) | instskip(SKIP_1) | instid1(VALU_DEP_1)
	v_fma_mix_f32_bf16 v24, s2, v24, v29 op_sel:[0,0,1] op_sel_hi:[0,0,1]
	s_mov_b32 s21, exec_lo
                                        ; implicit-def: $vgpr38
	v_and_b32_e32 v28, 0x7f800000, v24
	s_delay_alu instid0(VALU_DEP_1)
	v_cmpx_ne_u32_e32 0x7f800000, v28
	s_xor_b32 s21, exec_lo, s21
; %bb.79:                               ;   in Loop: Header=BB422_4 Depth=1
	v_bfe_u32 v28, v24, 16, 1
	s_delay_alu instid0(VALU_DEP_1)
	v_add3_u32 v38, v24, v28, 0x7fff
                                        ; implicit-def: $vgpr24
; %bb.80:                               ;   in Loop: Header=BB422_4 Depth=1
	s_and_not1_saveexec_b32 s21, s21
; %bb.81:                               ;   in Loop: Header=BB422_4 Depth=1
	v_and_b32_e32 v28, 0xffff, v24
	v_or_b32_e32 v29, 0x10000, v24
	s_delay_alu instid0(VALU_DEP_2) | instskip(NEXT) | instid1(VALU_DEP_2)
	v_cmp_eq_u32_e32 vcc_lo, 0, v28
	v_cndmask_b32_e32 v38, v29, v24, vcc_lo
; %bb.82:                               ;   in Loop: Header=BB422_4 Depth=1
	s_or_b32 exec_lo, exec_lo, s21
	v_lshl_add_u64 v[28:29], v[0:1], 1, s[18:19]
	s_delay_alu instid0(VALU_DEP_1) | instskip(SKIP_4) | instid1(VALU_DEP_1)
	v_lshl_add_u64 v[32:33], v[2:3], 1, v[28:29]
	global_store_d16_hi_b16 v[32:33], v38, off
	global_load_u16 v24, v[30:31], off offset:32
	s_wait_loadcnt 0x0
	v_lshlrev_b32_e32 v24, 16, v24
	v_mul_f32_e32 v24, s30, v24
	s_wait_xcnt 0x1
	s_delay_alu instid0(VALU_DEP_1) | instskip(NEXT) | instid1(VALU_DEP_1)
	v_and_b32_e32 v38, 0x7f800000, v24
	v_cmp_ne_u32_e32 vcc_lo, 0x7f800000, v38
                                        ; implicit-def: $vgpr38
	s_wait_xcnt 0x0
	s_and_saveexec_b32 s18, vcc_lo
	s_delay_alu instid0(SALU_CYCLE_1)
	s_xor_b32 s18, exec_lo, s18
; %bb.83:                               ;   in Loop: Header=BB422_4 Depth=1
	v_bfe_u32 v38, v24, 16, 1
	s_delay_alu instid0(VALU_DEP_1)
	v_add3_u32 v38, v24, v38, 0x7fff
                                        ; implicit-def: $vgpr24
; %bb.84:                               ;   in Loop: Header=BB422_4 Depth=1
	s_and_not1_saveexec_b32 s18, s18
; %bb.85:                               ;   in Loop: Header=BB422_4 Depth=1
	v_and_b32_e32 v38, 0xffff, v24
	v_or_b32_e32 v39, 0x10000, v24
	s_delay_alu instid0(VALU_DEP_2) | instskip(NEXT) | instid1(VALU_DEP_2)
	v_cmp_eq_u32_e32 vcc_lo, 0, v38
	v_cndmask_b32_e32 v38, v39, v24, vcc_lo
; %bb.86:                               ;   in Loop: Header=BB422_4 Depth=1
	s_or_b32 exec_lo, exec_lo, s18
	s_delay_alu instid0(VALU_DEP_1) | instskip(NEXT) | instid1(VALU_DEP_1)
	v_fma_mix_f32_bf16 v24, s2, v25, v38 op_sel:[0,0,1] op_sel_hi:[0,0,1]
	v_and_b32_e32 v25, 0x7f800000, v24
	s_delay_alu instid0(VALU_DEP_1) | instskip(SKIP_1) | instid1(SALU_CYCLE_1)
	v_cmp_ne_u32_e32 vcc_lo, 0x7f800000, v25
                                        ; implicit-def: $vgpr25
	s_and_saveexec_b32 s18, vcc_lo
	s_xor_b32 s18, exec_lo, s18
; %bb.87:                               ;   in Loop: Header=BB422_4 Depth=1
	v_bfe_u32 v25, v24, 16, 1
	s_delay_alu instid0(VALU_DEP_1)
	v_add3_u32 v25, v24, v25, 0x7fff
                                        ; implicit-def: $vgpr24
; %bb.88:                               ;   in Loop: Header=BB422_4 Depth=1
	s_and_not1_saveexec_b32 s18, s18
; %bb.89:                               ;   in Loop: Header=BB422_4 Depth=1
	v_and_b32_e32 v25, 0xffff, v24
	v_or_b32_e32 v38, 0x10000, v24
	s_delay_alu instid0(VALU_DEP_2) | instskip(NEXT) | instid1(VALU_DEP_2)
	v_cmp_eq_u32_e32 vcc_lo, 0, v25
	v_cndmask_b32_e32 v25, v38, v24, vcc_lo
; %bb.90:                               ;   in Loop: Header=BB422_4 Depth=1
	s_or_b32 exec_lo, exec_lo, s18
	global_store_d16_hi_b16 v[32:33], v25, off offset:32
	global_load_u16 v24, v[30:31], off offset:64
	s_wait_loadcnt 0x0
	v_lshlrev_b32_e32 v24, 16, v24
	s_delay_alu instid0(VALU_DEP_1) | instskip(SKIP_1) | instid1(VALU_DEP_1)
	v_mul_f32_e32 v24, s30, v24
	s_wait_xcnt 0x1
	v_and_b32_e32 v25, 0x7f800000, v24
	s_delay_alu instid0(VALU_DEP_1) | instskip(SKIP_2) | instid1(SALU_CYCLE_1)
	v_cmp_ne_u32_e32 vcc_lo, 0x7f800000, v25
                                        ; implicit-def: $vgpr25
	s_wait_xcnt 0x0
	s_and_saveexec_b32 s18, vcc_lo
	s_xor_b32 s18, exec_lo, s18
; %bb.91:                               ;   in Loop: Header=BB422_4 Depth=1
	v_bfe_u32 v25, v24, 16, 1
	s_delay_alu instid0(VALU_DEP_1)
	v_add3_u32 v25, v24, v25, 0x7fff
                                        ; implicit-def: $vgpr24
; %bb.92:                               ;   in Loop: Header=BB422_4 Depth=1
	s_and_not1_saveexec_b32 s18, s18
; %bb.93:                               ;   in Loop: Header=BB422_4 Depth=1
	v_and_b32_e32 v25, 0xffff, v24
	v_or_b32_e32 v38, 0x10000, v24
	s_delay_alu instid0(VALU_DEP_2) | instskip(NEXT) | instid1(VALU_DEP_2)
	v_cmp_eq_u32_e32 vcc_lo, 0, v25
	v_cndmask_b32_e32 v25, v38, v24, vcc_lo
; %bb.94:                               ;   in Loop: Header=BB422_4 Depth=1
	s_or_b32 exec_lo, exec_lo, s18
	s_delay_alu instid0(VALU_DEP_1) | instskip(NEXT) | instid1(VALU_DEP_1)
	v_fma_mix_f32_bf16 v22, s2, v22, v25 op_sel:[0,0,1] op_sel_hi:[0,0,1]
	v_and_b32_e32 v24, 0x7f800000, v22
	s_delay_alu instid0(VALU_DEP_1) | instskip(SKIP_1) | instid1(SALU_CYCLE_1)
	v_cmp_ne_u32_e32 vcc_lo, 0x7f800000, v24
                                        ; implicit-def: $vgpr24
	s_and_saveexec_b32 s18, vcc_lo
	s_xor_b32 s18, exec_lo, s18
; %bb.95:                               ;   in Loop: Header=BB422_4 Depth=1
	v_bfe_u32 v24, v22, 16, 1
	s_delay_alu instid0(VALU_DEP_1)
	v_add3_u32 v24, v22, v24, 0x7fff
                                        ; implicit-def: $vgpr22
; %bb.96:                               ;   in Loop: Header=BB422_4 Depth=1
	s_and_not1_saveexec_b32 s18, s18
; %bb.97:                               ;   in Loop: Header=BB422_4 Depth=1
	v_and_b32_e32 v24, 0xffff, v22
	v_or_b32_e32 v25, 0x10000, v22
	s_delay_alu instid0(VALU_DEP_2) | instskip(NEXT) | instid1(VALU_DEP_2)
	v_cmp_eq_u32_e32 vcc_lo, 0, v24
	v_cndmask_b32_e32 v24, v25, v22, vcc_lo
; %bb.98:                               ;   in Loop: Header=BB422_4 Depth=1
	s_or_b32 exec_lo, exec_lo, s18
	global_store_d16_hi_b16 v[32:33], v24, off offset:64
	global_load_u16 v22, v[30:31], off offset:96
	s_wait_loadcnt 0x0
	v_lshlrev_b32_e32 v22, 16, v22
	s_delay_alu instid0(VALU_DEP_1) | instskip(SKIP_1) | instid1(VALU_DEP_1)
	v_mul_f32_e32 v22, s30, v22
	s_wait_xcnt 0x1
	v_and_b32_e32 v24, 0x7f800000, v22
	s_delay_alu instid0(VALU_DEP_1) | instskip(SKIP_2) | instid1(SALU_CYCLE_1)
	v_cmp_ne_u32_e32 vcc_lo, 0x7f800000, v24
                                        ; implicit-def: $vgpr24
	s_wait_xcnt 0x0
	s_and_saveexec_b32 s18, vcc_lo
	s_xor_b32 s18, exec_lo, s18
; %bb.99:                               ;   in Loop: Header=BB422_4 Depth=1
	v_bfe_u32 v24, v22, 16, 1
	s_delay_alu instid0(VALU_DEP_1)
	v_add3_u32 v24, v22, v24, 0x7fff
                                        ; implicit-def: $vgpr22
; %bb.100:                              ;   in Loop: Header=BB422_4 Depth=1
	s_and_not1_saveexec_b32 s18, s18
; %bb.101:                              ;   in Loop: Header=BB422_4 Depth=1
	v_and_b32_e32 v24, 0xffff, v22
	v_or_b32_e32 v25, 0x10000, v22
	s_delay_alu instid0(VALU_DEP_2) | instskip(NEXT) | instid1(VALU_DEP_2)
	v_cmp_eq_u32_e32 vcc_lo, 0, v24
	v_cndmask_b32_e32 v24, v25, v22, vcc_lo
; %bb.102:                              ;   in Loop: Header=BB422_4 Depth=1
	s_or_b32 exec_lo, exec_lo, s18
	s_delay_alu instid0(VALU_DEP_1) | instskip(SKIP_1) | instid1(VALU_DEP_1)
	v_fma_mix_f32_bf16 v22, s2, v23, v24 op_sel:[0,0,1] op_sel_hi:[0,0,1]
	s_mov_b32 s18, exec_lo
                                        ; implicit-def: $vgpr24
	v_and_b32_e32 v23, 0x7f800000, v22
	s_delay_alu instid0(VALU_DEP_1)
	v_cmpx_ne_u32_e32 0x7f800000, v23
	s_xor_b32 s18, exec_lo, s18
; %bb.103:                              ;   in Loop: Header=BB422_4 Depth=1
	v_bfe_u32 v23, v22, 16, 1
	s_delay_alu instid0(VALU_DEP_1)
	v_add3_u32 v24, v22, v23, 0x7fff
                                        ; implicit-def: $vgpr22
; %bb.104:                              ;   in Loop: Header=BB422_4 Depth=1
	s_and_not1_saveexec_b32 s18, s18
; %bb.105:                              ;   in Loop: Header=BB422_4 Depth=1
	v_and_b32_e32 v23, 0xffff, v22
	v_or_b32_e32 v24, 0x10000, v22
	s_delay_alu instid0(VALU_DEP_2) | instskip(NEXT) | instid1(VALU_DEP_2)
	v_cmp_eq_u32_e32 vcc_lo, 0, v23
	v_cndmask_b32_e32 v24, v24, v22, vcc_lo
; %bb.106:                              ;   in Loop: Header=BB422_4 Depth=1
	s_or_b32 exec_lo, exec_lo, s18
	v_lshl_add_u64 v[22:23], s[6:7], 1, v[26:27]
	global_store_d16_hi_b16 v[32:33], v24, off offset:96
	v_lshl_add_u64 v[26:27], v[2:3], 1, v[22:23]
	global_load_u16 v24, v[26:27], off
	s_wait_loadcnt 0x0
	v_lshlrev_b32_e32 v24, 16, v24
	s_delay_alu instid0(VALU_DEP_1) | instskip(NEXT) | instid1(VALU_DEP_1)
	v_mul_f32_e32 v24, s30, v24
	v_and_b32_e32 v25, 0x7f800000, v24
	s_delay_alu instid0(VALU_DEP_1) | instskip(SKIP_2) | instid1(SALU_CYCLE_1)
	v_cmp_ne_u32_e32 vcc_lo, 0x7f800000, v25
                                        ; implicit-def: $vgpr25
	s_wait_xcnt 0x0
	s_and_saveexec_b32 s18, vcc_lo
	s_xor_b32 s18, exec_lo, s18
; %bb.107:                              ;   in Loop: Header=BB422_4 Depth=1
	v_bfe_u32 v25, v24, 16, 1
	s_delay_alu instid0(VALU_DEP_1)
	v_add3_u32 v25, v24, v25, 0x7fff
                                        ; implicit-def: $vgpr24
; %bb.108:                              ;   in Loop: Header=BB422_4 Depth=1
	s_and_not1_saveexec_b32 s18, s18
; %bb.109:                              ;   in Loop: Header=BB422_4 Depth=1
	v_and_b32_e32 v25, 0xffff, v24
	v_or_b32_e32 v30, 0x10000, v24
	s_delay_alu instid0(VALU_DEP_2) | instskip(NEXT) | instid1(VALU_DEP_2)
	v_cmp_eq_u32_e32 vcc_lo, 0, v25
	v_cndmask_b32_e32 v25, v30, v24, vcc_lo
; %bb.110:                              ;   in Loop: Header=BB422_4 Depth=1
	s_or_b32 exec_lo, exec_lo, s18
	s_delay_alu instid0(VALU_DEP_1) | instskip(SKIP_1) | instid1(VALU_DEP_1)
	v_fma_mix_f32_bf16 v20, s2, v20, v25 op_sel:[0,0,1] op_sel_hi:[0,0,1]
	s_mov_b32 s18, exec_lo
                                        ; implicit-def: $vgpr30
	v_and_b32_e32 v24, 0x7f800000, v20
	s_delay_alu instid0(VALU_DEP_1)
	v_cmpx_ne_u32_e32 0x7f800000, v24
	s_xor_b32 s18, exec_lo, s18
; %bb.111:                              ;   in Loop: Header=BB422_4 Depth=1
	v_bfe_u32 v24, v20, 16, 1
	s_delay_alu instid0(VALU_DEP_1)
	v_add3_u32 v30, v20, v24, 0x7fff
                                        ; implicit-def: $vgpr20
; %bb.112:                              ;   in Loop: Header=BB422_4 Depth=1
	s_and_not1_saveexec_b32 s18, s18
; %bb.113:                              ;   in Loop: Header=BB422_4 Depth=1
	v_and_b32_e32 v24, 0xffff, v20
	v_or_b32_e32 v25, 0x10000, v20
	s_delay_alu instid0(VALU_DEP_2) | instskip(NEXT) | instid1(VALU_DEP_2)
	v_cmp_eq_u32_e32 vcc_lo, 0, v24
	v_cndmask_b32_e32 v30, v25, v20, vcc_lo
; %bb.114:                              ;   in Loop: Header=BB422_4 Depth=1
	s_or_b32 exec_lo, exec_lo, s18
	v_lshl_add_u64 v[24:25], s[14:15], 1, v[28:29]
	s_delay_alu instid0(VALU_DEP_1) | instskip(SKIP_4) | instid1(VALU_DEP_1)
	v_lshl_add_u64 v[28:29], v[2:3], 1, v[24:25]
	global_store_d16_hi_b16 v[28:29], v30, off
	global_load_u16 v20, v[26:27], off offset:32
	s_wait_loadcnt 0x0
	v_lshlrev_b32_e32 v20, 16, v20
	v_mul_f32_e32 v20, s30, v20
	s_wait_xcnt 0x1
	s_delay_alu instid0(VALU_DEP_1) | instskip(NEXT) | instid1(VALU_DEP_1)
	v_and_b32_e32 v30, 0x7f800000, v20
	v_cmp_ne_u32_e32 vcc_lo, 0x7f800000, v30
                                        ; implicit-def: $vgpr30
	s_wait_xcnt 0x0
	s_and_saveexec_b32 s18, vcc_lo
	s_delay_alu instid0(SALU_CYCLE_1)
	s_xor_b32 s18, exec_lo, s18
; %bb.115:                              ;   in Loop: Header=BB422_4 Depth=1
	v_bfe_u32 v30, v20, 16, 1
	s_delay_alu instid0(VALU_DEP_1)
	v_add3_u32 v30, v20, v30, 0x7fff
                                        ; implicit-def: $vgpr20
; %bb.116:                              ;   in Loop: Header=BB422_4 Depth=1
	s_and_not1_saveexec_b32 s18, s18
; %bb.117:                              ;   in Loop: Header=BB422_4 Depth=1
	v_and_b32_e32 v30, 0xffff, v20
	v_or_b32_e32 v31, 0x10000, v20
	s_delay_alu instid0(VALU_DEP_2) | instskip(NEXT) | instid1(VALU_DEP_2)
	v_cmp_eq_u32_e32 vcc_lo, 0, v30
	v_cndmask_b32_e32 v30, v31, v20, vcc_lo
; %bb.118:                              ;   in Loop: Header=BB422_4 Depth=1
	s_or_b32 exec_lo, exec_lo, s18
	s_delay_alu instid0(VALU_DEP_1) | instskip(NEXT) | instid1(VALU_DEP_1)
	v_fma_mix_f32_bf16 v20, s2, v21, v30 op_sel:[0,0,1] op_sel_hi:[0,0,1]
	v_and_b32_e32 v21, 0x7f800000, v20
	s_delay_alu instid0(VALU_DEP_1) | instskip(SKIP_1) | instid1(SALU_CYCLE_1)
	v_cmp_ne_u32_e32 vcc_lo, 0x7f800000, v21
                                        ; implicit-def: $vgpr21
	s_and_saveexec_b32 s18, vcc_lo
	s_xor_b32 s18, exec_lo, s18
; %bb.119:                              ;   in Loop: Header=BB422_4 Depth=1
	v_bfe_u32 v21, v20, 16, 1
	s_delay_alu instid0(VALU_DEP_1)
	v_add3_u32 v21, v20, v21, 0x7fff
                                        ; implicit-def: $vgpr20
; %bb.120:                              ;   in Loop: Header=BB422_4 Depth=1
	s_and_not1_saveexec_b32 s18, s18
; %bb.121:                              ;   in Loop: Header=BB422_4 Depth=1
	v_and_b32_e32 v21, 0xffff, v20
	v_or_b32_e32 v30, 0x10000, v20
	s_delay_alu instid0(VALU_DEP_2) | instskip(NEXT) | instid1(VALU_DEP_2)
	v_cmp_eq_u32_e32 vcc_lo, 0, v21
	v_cndmask_b32_e32 v21, v30, v20, vcc_lo
; %bb.122:                              ;   in Loop: Header=BB422_4 Depth=1
	s_or_b32 exec_lo, exec_lo, s18
	global_store_d16_hi_b16 v[28:29], v21, off offset:32
	global_load_u16 v20, v[26:27], off offset:64
	s_wait_loadcnt 0x0
	v_lshlrev_b32_e32 v20, 16, v20
	s_delay_alu instid0(VALU_DEP_1) | instskip(SKIP_1) | instid1(VALU_DEP_1)
	v_mul_f32_e32 v20, s30, v20
	s_wait_xcnt 0x1
	v_and_b32_e32 v21, 0x7f800000, v20
	s_delay_alu instid0(VALU_DEP_1) | instskip(SKIP_2) | instid1(SALU_CYCLE_1)
	v_cmp_ne_u32_e32 vcc_lo, 0x7f800000, v21
                                        ; implicit-def: $vgpr21
	s_wait_xcnt 0x0
	s_and_saveexec_b32 s18, vcc_lo
	s_xor_b32 s18, exec_lo, s18
; %bb.123:                              ;   in Loop: Header=BB422_4 Depth=1
	v_bfe_u32 v21, v20, 16, 1
	s_delay_alu instid0(VALU_DEP_1)
	v_add3_u32 v21, v20, v21, 0x7fff
                                        ; implicit-def: $vgpr20
; %bb.124:                              ;   in Loop: Header=BB422_4 Depth=1
	s_and_not1_saveexec_b32 s18, s18
; %bb.125:                              ;   in Loop: Header=BB422_4 Depth=1
	v_and_b32_e32 v21, 0xffff, v20
	v_or_b32_e32 v30, 0x10000, v20
	s_delay_alu instid0(VALU_DEP_2) | instskip(NEXT) | instid1(VALU_DEP_2)
	v_cmp_eq_u32_e32 vcc_lo, 0, v21
	v_cndmask_b32_e32 v21, v30, v20, vcc_lo
; %bb.126:                              ;   in Loop: Header=BB422_4 Depth=1
	s_or_b32 exec_lo, exec_lo, s18
	s_delay_alu instid0(VALU_DEP_1) | instskip(NEXT) | instid1(VALU_DEP_1)
	v_fma_mix_f32_bf16 v18, s2, v18, v21 op_sel:[0,0,1] op_sel_hi:[0,0,1]
	v_and_b32_e32 v20, 0x7f800000, v18
	s_delay_alu instid0(VALU_DEP_1) | instskip(SKIP_1) | instid1(SALU_CYCLE_1)
	v_cmp_ne_u32_e32 vcc_lo, 0x7f800000, v20
                                        ; implicit-def: $vgpr20
	s_and_saveexec_b32 s18, vcc_lo
	s_xor_b32 s18, exec_lo, s18
; %bb.127:                              ;   in Loop: Header=BB422_4 Depth=1
	v_bfe_u32 v20, v18, 16, 1
	s_delay_alu instid0(VALU_DEP_1)
	v_add3_u32 v20, v18, v20, 0x7fff
                                        ; implicit-def: $vgpr18
; %bb.128:                              ;   in Loop: Header=BB422_4 Depth=1
	s_and_not1_saveexec_b32 s18, s18
; %bb.129:                              ;   in Loop: Header=BB422_4 Depth=1
	v_and_b32_e32 v20, 0xffff, v18
	v_or_b32_e32 v21, 0x10000, v18
	s_delay_alu instid0(VALU_DEP_2) | instskip(NEXT) | instid1(VALU_DEP_2)
	v_cmp_eq_u32_e32 vcc_lo, 0, v20
	v_cndmask_b32_e32 v20, v21, v18, vcc_lo
; %bb.130:                              ;   in Loop: Header=BB422_4 Depth=1
	s_or_b32 exec_lo, exec_lo, s18
	global_store_d16_hi_b16 v[28:29], v20, off offset:64
	global_load_u16 v18, v[26:27], off offset:96
	s_wait_loadcnt 0x0
	v_lshlrev_b32_e32 v18, 16, v18
	s_delay_alu instid0(VALU_DEP_1) | instskip(SKIP_1) | instid1(VALU_DEP_1)
	v_mul_f32_e32 v18, s30, v18
	s_wait_xcnt 0x1
	v_and_b32_e32 v20, 0x7f800000, v18
	s_delay_alu instid0(VALU_DEP_1) | instskip(SKIP_2) | instid1(SALU_CYCLE_1)
	v_cmp_ne_u32_e32 vcc_lo, 0x7f800000, v20
                                        ; implicit-def: $vgpr20
	s_wait_xcnt 0x0
	s_and_saveexec_b32 s18, vcc_lo
	s_xor_b32 s18, exec_lo, s18
; %bb.131:                              ;   in Loop: Header=BB422_4 Depth=1
	v_bfe_u32 v20, v18, 16, 1
	s_delay_alu instid0(VALU_DEP_1)
	v_add3_u32 v20, v18, v20, 0x7fff
                                        ; implicit-def: $vgpr18
; %bb.132:                              ;   in Loop: Header=BB422_4 Depth=1
	s_and_not1_saveexec_b32 s18, s18
; %bb.133:                              ;   in Loop: Header=BB422_4 Depth=1
	v_and_b32_e32 v20, 0xffff, v18
	v_or_b32_e32 v21, 0x10000, v18
	s_delay_alu instid0(VALU_DEP_2) | instskip(NEXT) | instid1(VALU_DEP_2)
	v_cmp_eq_u32_e32 vcc_lo, 0, v20
	v_cndmask_b32_e32 v20, v21, v18, vcc_lo
; %bb.134:                              ;   in Loop: Header=BB422_4 Depth=1
	s_or_b32 exec_lo, exec_lo, s18
	s_delay_alu instid0(VALU_DEP_1) | instskip(SKIP_1) | instid1(VALU_DEP_1)
	v_fma_mix_f32_bf16 v18, s2, v19, v20 op_sel:[0,0,1] op_sel_hi:[0,0,1]
	s_mov_b32 s18, exec_lo
                                        ; implicit-def: $vgpr20
	v_and_b32_e32 v19, 0x7f800000, v18
	s_delay_alu instid0(VALU_DEP_1)
	v_cmpx_ne_u32_e32 0x7f800000, v19
	s_xor_b32 s18, exec_lo, s18
; %bb.135:                              ;   in Loop: Header=BB422_4 Depth=1
	v_bfe_u32 v19, v18, 16, 1
	s_delay_alu instid0(VALU_DEP_1)
	v_add3_u32 v20, v18, v19, 0x7fff
                                        ; implicit-def: $vgpr18
; %bb.136:                              ;   in Loop: Header=BB422_4 Depth=1
	s_and_not1_saveexec_b32 s18, s18
; %bb.137:                              ;   in Loop: Header=BB422_4 Depth=1
	v_and_b32_e32 v19, 0xffff, v18
	v_or_b32_e32 v20, 0x10000, v18
	s_delay_alu instid0(VALU_DEP_2) | instskip(NEXT) | instid1(VALU_DEP_2)
	v_cmp_eq_u32_e32 vcc_lo, 0, v19
	v_cndmask_b32_e32 v20, v20, v18, vcc_lo
; %bb.138:                              ;   in Loop: Header=BB422_4 Depth=1
	s_or_b32 exec_lo, exec_lo, s18
	v_lshl_add_u64 v[18:19], s[6:7], 1, v[22:23]
	global_store_d16_hi_b16 v[28:29], v20, off offset:96
	v_lshl_add_u64 v[22:23], v[2:3], 1, v[18:19]
	global_load_u16 v20, v[22:23], off
	s_wait_loadcnt 0x0
	v_lshlrev_b32_e32 v20, 16, v20
	s_delay_alu instid0(VALU_DEP_1) | instskip(NEXT) | instid1(VALU_DEP_1)
	v_mul_f32_e32 v20, s30, v20
	v_and_b32_e32 v21, 0x7f800000, v20
	s_delay_alu instid0(VALU_DEP_1) | instskip(SKIP_2) | instid1(SALU_CYCLE_1)
	v_cmp_ne_u32_e32 vcc_lo, 0x7f800000, v21
                                        ; implicit-def: $vgpr21
	s_wait_xcnt 0x0
	s_and_saveexec_b32 s18, vcc_lo
	s_xor_b32 s18, exec_lo, s18
; %bb.139:                              ;   in Loop: Header=BB422_4 Depth=1
	v_bfe_u32 v21, v20, 16, 1
	s_delay_alu instid0(VALU_DEP_1)
	v_add3_u32 v21, v20, v21, 0x7fff
                                        ; implicit-def: $vgpr20
; %bb.140:                              ;   in Loop: Header=BB422_4 Depth=1
	s_and_not1_saveexec_b32 s18, s18
; %bb.141:                              ;   in Loop: Header=BB422_4 Depth=1
	v_and_b32_e32 v21, 0xffff, v20
	v_or_b32_e32 v26, 0x10000, v20
	s_delay_alu instid0(VALU_DEP_2) | instskip(NEXT) | instid1(VALU_DEP_2)
	v_cmp_eq_u32_e32 vcc_lo, 0, v21
	v_cndmask_b32_e32 v21, v26, v20, vcc_lo
; %bb.142:                              ;   in Loop: Header=BB422_4 Depth=1
	s_or_b32 exec_lo, exec_lo, s18
	s_delay_alu instid0(VALU_DEP_1) | instskip(SKIP_1) | instid1(VALU_DEP_1)
	v_fma_mix_f32_bf16 v16, s2, v16, v21 op_sel:[0,0,1] op_sel_hi:[0,0,1]
	s_mov_b32 s18, exec_lo
                                        ; implicit-def: $vgpr26
	v_and_b32_e32 v20, 0x7f800000, v16
	s_delay_alu instid0(VALU_DEP_1)
	v_cmpx_ne_u32_e32 0x7f800000, v20
	s_xor_b32 s18, exec_lo, s18
; %bb.143:                              ;   in Loop: Header=BB422_4 Depth=1
	v_bfe_u32 v20, v16, 16, 1
	s_delay_alu instid0(VALU_DEP_1)
	v_add3_u32 v26, v16, v20, 0x7fff
                                        ; implicit-def: $vgpr16
; %bb.144:                              ;   in Loop: Header=BB422_4 Depth=1
	s_and_not1_saveexec_b32 s18, s18
; %bb.145:                              ;   in Loop: Header=BB422_4 Depth=1
	v_and_b32_e32 v20, 0xffff, v16
	v_or_b32_e32 v21, 0x10000, v16
	s_delay_alu instid0(VALU_DEP_2) | instskip(NEXT) | instid1(VALU_DEP_2)
	v_cmp_eq_u32_e32 vcc_lo, 0, v20
	v_cndmask_b32_e32 v26, v21, v16, vcc_lo
; %bb.146:                              ;   in Loop: Header=BB422_4 Depth=1
	s_or_b32 exec_lo, exec_lo, s18
	v_lshl_add_u64 v[20:21], s[14:15], 1, v[24:25]
	s_delay_alu instid0(VALU_DEP_1) | instskip(SKIP_4) | instid1(VALU_DEP_1)
	v_lshl_add_u64 v[24:25], v[2:3], 1, v[20:21]
	global_store_d16_hi_b16 v[24:25], v26, off
	global_load_u16 v16, v[22:23], off offset:32
	s_wait_loadcnt 0x0
	v_lshlrev_b32_e32 v16, 16, v16
	v_mul_f32_e32 v16, s30, v16
	s_wait_xcnt 0x1
	s_delay_alu instid0(VALU_DEP_1) | instskip(NEXT) | instid1(VALU_DEP_1)
	v_and_b32_e32 v26, 0x7f800000, v16
	v_cmp_ne_u32_e32 vcc_lo, 0x7f800000, v26
                                        ; implicit-def: $vgpr26
	s_wait_xcnt 0x0
	s_and_saveexec_b32 s18, vcc_lo
	s_delay_alu instid0(SALU_CYCLE_1)
	s_xor_b32 s18, exec_lo, s18
; %bb.147:                              ;   in Loop: Header=BB422_4 Depth=1
	v_bfe_u32 v26, v16, 16, 1
	s_delay_alu instid0(VALU_DEP_1)
	v_add3_u32 v26, v16, v26, 0x7fff
                                        ; implicit-def: $vgpr16
; %bb.148:                              ;   in Loop: Header=BB422_4 Depth=1
	s_and_not1_saveexec_b32 s18, s18
; %bb.149:                              ;   in Loop: Header=BB422_4 Depth=1
	v_and_b32_e32 v26, 0xffff, v16
	v_or_b32_e32 v27, 0x10000, v16
	s_delay_alu instid0(VALU_DEP_2) | instskip(NEXT) | instid1(VALU_DEP_2)
	v_cmp_eq_u32_e32 vcc_lo, 0, v26
	v_cndmask_b32_e32 v26, v27, v16, vcc_lo
; %bb.150:                              ;   in Loop: Header=BB422_4 Depth=1
	s_or_b32 exec_lo, exec_lo, s18
	s_delay_alu instid0(VALU_DEP_1) | instskip(NEXT) | instid1(VALU_DEP_1)
	v_fma_mix_f32_bf16 v16, s2, v17, v26 op_sel:[0,0,1] op_sel_hi:[0,0,1]
	v_and_b32_e32 v17, 0x7f800000, v16
	s_delay_alu instid0(VALU_DEP_1) | instskip(SKIP_1) | instid1(SALU_CYCLE_1)
	v_cmp_ne_u32_e32 vcc_lo, 0x7f800000, v17
                                        ; implicit-def: $vgpr17
	s_and_saveexec_b32 s18, vcc_lo
	s_xor_b32 s18, exec_lo, s18
; %bb.151:                              ;   in Loop: Header=BB422_4 Depth=1
	v_bfe_u32 v17, v16, 16, 1
	s_delay_alu instid0(VALU_DEP_1)
	v_add3_u32 v17, v16, v17, 0x7fff
                                        ; implicit-def: $vgpr16
; %bb.152:                              ;   in Loop: Header=BB422_4 Depth=1
	s_and_not1_saveexec_b32 s18, s18
; %bb.153:                              ;   in Loop: Header=BB422_4 Depth=1
	v_and_b32_e32 v17, 0xffff, v16
	v_or_b32_e32 v26, 0x10000, v16
	s_delay_alu instid0(VALU_DEP_2) | instskip(NEXT) | instid1(VALU_DEP_2)
	v_cmp_eq_u32_e32 vcc_lo, 0, v17
	v_cndmask_b32_e32 v17, v26, v16, vcc_lo
; %bb.154:                              ;   in Loop: Header=BB422_4 Depth=1
	s_or_b32 exec_lo, exec_lo, s18
	global_store_d16_hi_b16 v[24:25], v17, off offset:32
	global_load_u16 v16, v[22:23], off offset:64
	s_wait_loadcnt 0x0
	v_lshlrev_b32_e32 v16, 16, v16
	s_delay_alu instid0(VALU_DEP_1) | instskip(SKIP_1) | instid1(VALU_DEP_1)
	v_mul_f32_e32 v16, s30, v16
	s_wait_xcnt 0x1
	v_and_b32_e32 v17, 0x7f800000, v16
	s_delay_alu instid0(VALU_DEP_1) | instskip(SKIP_2) | instid1(SALU_CYCLE_1)
	v_cmp_ne_u32_e32 vcc_lo, 0x7f800000, v17
                                        ; implicit-def: $vgpr17
	s_wait_xcnt 0x0
	s_and_saveexec_b32 s18, vcc_lo
	s_xor_b32 s18, exec_lo, s18
; %bb.155:                              ;   in Loop: Header=BB422_4 Depth=1
	v_bfe_u32 v17, v16, 16, 1
	s_delay_alu instid0(VALU_DEP_1)
	v_add3_u32 v17, v16, v17, 0x7fff
                                        ; implicit-def: $vgpr16
; %bb.156:                              ;   in Loop: Header=BB422_4 Depth=1
	s_and_not1_saveexec_b32 s18, s18
; %bb.157:                              ;   in Loop: Header=BB422_4 Depth=1
	v_and_b32_e32 v17, 0xffff, v16
	v_or_b32_e32 v26, 0x10000, v16
	s_delay_alu instid0(VALU_DEP_2) | instskip(NEXT) | instid1(VALU_DEP_2)
	v_cmp_eq_u32_e32 vcc_lo, 0, v17
	v_cndmask_b32_e32 v17, v26, v16, vcc_lo
; %bb.158:                              ;   in Loop: Header=BB422_4 Depth=1
	s_or_b32 exec_lo, exec_lo, s18
	s_delay_alu instid0(VALU_DEP_1) | instskip(NEXT) | instid1(VALU_DEP_1)
	v_fma_mix_f32_bf16 v14, s2, v14, v17 op_sel:[0,0,1] op_sel_hi:[0,0,1]
	v_and_b32_e32 v16, 0x7f800000, v14
	s_delay_alu instid0(VALU_DEP_1) | instskip(SKIP_1) | instid1(SALU_CYCLE_1)
	v_cmp_ne_u32_e32 vcc_lo, 0x7f800000, v16
                                        ; implicit-def: $vgpr16
	s_and_saveexec_b32 s18, vcc_lo
	s_xor_b32 s18, exec_lo, s18
; %bb.159:                              ;   in Loop: Header=BB422_4 Depth=1
	v_bfe_u32 v16, v14, 16, 1
	s_delay_alu instid0(VALU_DEP_1)
	v_add3_u32 v16, v14, v16, 0x7fff
                                        ; implicit-def: $vgpr14
; %bb.160:                              ;   in Loop: Header=BB422_4 Depth=1
	s_and_not1_saveexec_b32 s18, s18
; %bb.161:                              ;   in Loop: Header=BB422_4 Depth=1
	v_and_b32_e32 v16, 0xffff, v14
	v_or_b32_e32 v17, 0x10000, v14
	s_delay_alu instid0(VALU_DEP_2) | instskip(NEXT) | instid1(VALU_DEP_2)
	v_cmp_eq_u32_e32 vcc_lo, 0, v16
	v_cndmask_b32_e32 v16, v17, v14, vcc_lo
; %bb.162:                              ;   in Loop: Header=BB422_4 Depth=1
	s_or_b32 exec_lo, exec_lo, s18
	global_store_d16_hi_b16 v[24:25], v16, off offset:64
	global_load_u16 v14, v[22:23], off offset:96
	s_wait_loadcnt 0x0
	v_lshlrev_b32_e32 v14, 16, v14
	s_delay_alu instid0(VALU_DEP_1) | instskip(SKIP_1) | instid1(VALU_DEP_1)
	v_mul_f32_e32 v14, s30, v14
	s_wait_xcnt 0x1
	v_and_b32_e32 v16, 0x7f800000, v14
	s_delay_alu instid0(VALU_DEP_1) | instskip(SKIP_2) | instid1(SALU_CYCLE_1)
	v_cmp_ne_u32_e32 vcc_lo, 0x7f800000, v16
                                        ; implicit-def: $vgpr16
	s_wait_xcnt 0x0
	s_and_saveexec_b32 s18, vcc_lo
	s_xor_b32 s18, exec_lo, s18
; %bb.163:                              ;   in Loop: Header=BB422_4 Depth=1
	v_bfe_u32 v16, v14, 16, 1
	s_delay_alu instid0(VALU_DEP_1)
	v_add3_u32 v16, v14, v16, 0x7fff
                                        ; implicit-def: $vgpr14
; %bb.164:                              ;   in Loop: Header=BB422_4 Depth=1
	s_and_not1_saveexec_b32 s18, s18
; %bb.165:                              ;   in Loop: Header=BB422_4 Depth=1
	v_and_b32_e32 v16, 0xffff, v14
	v_or_b32_e32 v17, 0x10000, v14
	s_delay_alu instid0(VALU_DEP_2) | instskip(NEXT) | instid1(VALU_DEP_2)
	v_cmp_eq_u32_e32 vcc_lo, 0, v16
	v_cndmask_b32_e32 v16, v17, v14, vcc_lo
; %bb.166:                              ;   in Loop: Header=BB422_4 Depth=1
	s_or_b32 exec_lo, exec_lo, s18
	s_delay_alu instid0(VALU_DEP_1) | instskip(SKIP_1) | instid1(VALU_DEP_1)
	v_fma_mix_f32_bf16 v14, s2, v15, v16 op_sel:[0,0,1] op_sel_hi:[0,0,1]
	s_mov_b32 s18, exec_lo
                                        ; implicit-def: $vgpr16
	v_and_b32_e32 v15, 0x7f800000, v14
	s_delay_alu instid0(VALU_DEP_1)
	v_cmpx_ne_u32_e32 0x7f800000, v15
	s_xor_b32 s18, exec_lo, s18
; %bb.167:                              ;   in Loop: Header=BB422_4 Depth=1
	v_bfe_u32 v15, v14, 16, 1
	s_delay_alu instid0(VALU_DEP_1)
	v_add3_u32 v16, v14, v15, 0x7fff
                                        ; implicit-def: $vgpr14
; %bb.168:                              ;   in Loop: Header=BB422_4 Depth=1
	s_and_not1_saveexec_b32 s18, s18
; %bb.169:                              ;   in Loop: Header=BB422_4 Depth=1
	v_and_b32_e32 v15, 0xffff, v14
	v_or_b32_e32 v16, 0x10000, v14
	s_delay_alu instid0(VALU_DEP_2) | instskip(NEXT) | instid1(VALU_DEP_2)
	v_cmp_eq_u32_e32 vcc_lo, 0, v15
	v_cndmask_b32_e32 v16, v16, v14, vcc_lo
; %bb.170:                              ;   in Loop: Header=BB422_4 Depth=1
	s_or_b32 exec_lo, exec_lo, s18
	v_lshl_add_u64 v[14:15], s[6:7], 1, v[18:19]
	global_store_d16_hi_b16 v[24:25], v16, off offset:96
	v_lshl_add_u64 v[14:15], v[2:3], 1, v[14:15]
	global_load_u16 v16, v[14:15], off
	s_wait_loadcnt 0x0
	v_lshlrev_b32_e32 v16, 16, v16
	s_delay_alu instid0(VALU_DEP_1) | instskip(NEXT) | instid1(VALU_DEP_1)
	v_mul_f32_e32 v16, s30, v16
	v_and_b32_e32 v17, 0x7f800000, v16
	s_delay_alu instid0(VALU_DEP_1) | instskip(SKIP_2) | instid1(SALU_CYCLE_1)
	v_cmp_ne_u32_e32 vcc_lo, 0x7f800000, v17
                                        ; implicit-def: $vgpr17
	s_wait_xcnt 0x0
	s_and_saveexec_b32 s18, vcc_lo
	s_xor_b32 s18, exec_lo, s18
; %bb.171:                              ;   in Loop: Header=BB422_4 Depth=1
	v_bfe_u32 v17, v16, 16, 1
	s_delay_alu instid0(VALU_DEP_1)
	v_add3_u32 v17, v16, v17, 0x7fff
                                        ; implicit-def: $vgpr16
; %bb.172:                              ;   in Loop: Header=BB422_4 Depth=1
	s_and_not1_saveexec_b32 s18, s18
; %bb.173:                              ;   in Loop: Header=BB422_4 Depth=1
	v_and_b32_e32 v17, 0xffff, v16
	v_or_b32_e32 v18, 0x10000, v16
	s_delay_alu instid0(VALU_DEP_2) | instskip(NEXT) | instid1(VALU_DEP_2)
	v_cmp_eq_u32_e32 vcc_lo, 0, v17
	v_cndmask_b32_e32 v17, v18, v16, vcc_lo
; %bb.174:                              ;   in Loop: Header=BB422_4 Depth=1
	s_or_b32 exec_lo, exec_lo, s18
	s_delay_alu instid0(VALU_DEP_1) | instskip(SKIP_1) | instid1(VALU_DEP_1)
	v_fma_mix_f32_bf16 v12, s2, v12, v17 op_sel:[0,0,1] op_sel_hi:[0,0,1]
	s_mov_b32 s18, exec_lo
                                        ; implicit-def: $vgpr18
	v_and_b32_e32 v16, 0x7f800000, v12
	s_delay_alu instid0(VALU_DEP_1)
	v_cmpx_ne_u32_e32 0x7f800000, v16
	s_xor_b32 s18, exec_lo, s18
; %bb.175:                              ;   in Loop: Header=BB422_4 Depth=1
	v_bfe_u32 v16, v12, 16, 1
	s_delay_alu instid0(VALU_DEP_1)
	v_add3_u32 v18, v12, v16, 0x7fff
                                        ; implicit-def: $vgpr12
; %bb.176:                              ;   in Loop: Header=BB422_4 Depth=1
	s_and_not1_saveexec_b32 s18, s18
; %bb.177:                              ;   in Loop: Header=BB422_4 Depth=1
	v_and_b32_e32 v16, 0xffff, v12
	v_or_b32_e32 v17, 0x10000, v12
	s_delay_alu instid0(VALU_DEP_2) | instskip(NEXT) | instid1(VALU_DEP_2)
	v_cmp_eq_u32_e32 vcc_lo, 0, v16
	v_cndmask_b32_e32 v18, v17, v12, vcc_lo
; %bb.178:                              ;   in Loop: Header=BB422_4 Depth=1
	s_or_b32 exec_lo, exec_lo, s18
	v_lshl_add_u64 v[16:17], s[14:15], 1, v[20:21]
	s_delay_alu instid0(VALU_DEP_1) | instskip(SKIP_4) | instid1(VALU_DEP_1)
	v_lshl_add_u64 v[16:17], v[2:3], 1, v[16:17]
	global_store_d16_hi_b16 v[16:17], v18, off
	global_load_u16 v12, v[14:15], off offset:32
	s_wait_loadcnt 0x0
	v_lshlrev_b32_e32 v12, 16, v12
	v_mul_f32_e32 v12, s30, v12
	s_wait_xcnt 0x1
	s_delay_alu instid0(VALU_DEP_1) | instskip(NEXT) | instid1(VALU_DEP_1)
	v_and_b32_e32 v18, 0x7f800000, v12
	v_cmp_ne_u32_e32 vcc_lo, 0x7f800000, v18
                                        ; implicit-def: $vgpr18
	s_wait_xcnt 0x0
	s_and_saveexec_b32 s18, vcc_lo
	s_delay_alu instid0(SALU_CYCLE_1)
	s_xor_b32 s18, exec_lo, s18
; %bb.179:                              ;   in Loop: Header=BB422_4 Depth=1
	v_bfe_u32 v18, v12, 16, 1
	s_delay_alu instid0(VALU_DEP_1)
	v_add3_u32 v18, v12, v18, 0x7fff
                                        ; implicit-def: $vgpr12
; %bb.180:                              ;   in Loop: Header=BB422_4 Depth=1
	s_and_not1_saveexec_b32 s18, s18
; %bb.181:                              ;   in Loop: Header=BB422_4 Depth=1
	v_and_b32_e32 v18, 0xffff, v12
	v_or_b32_e32 v19, 0x10000, v12
	s_delay_alu instid0(VALU_DEP_2) | instskip(NEXT) | instid1(VALU_DEP_2)
	v_cmp_eq_u32_e32 vcc_lo, 0, v18
	v_cndmask_b32_e32 v18, v19, v12, vcc_lo
; %bb.182:                              ;   in Loop: Header=BB422_4 Depth=1
	s_or_b32 exec_lo, exec_lo, s18
	s_delay_alu instid0(VALU_DEP_1) | instskip(NEXT) | instid1(VALU_DEP_1)
	v_fma_mix_f32_bf16 v12, s2, v13, v18 op_sel:[0,0,1] op_sel_hi:[0,0,1]
	v_and_b32_e32 v13, 0x7f800000, v12
	s_delay_alu instid0(VALU_DEP_1) | instskip(SKIP_1) | instid1(SALU_CYCLE_1)
	v_cmp_ne_u32_e32 vcc_lo, 0x7f800000, v13
                                        ; implicit-def: $vgpr13
	s_and_saveexec_b32 s18, vcc_lo
	s_xor_b32 s18, exec_lo, s18
; %bb.183:                              ;   in Loop: Header=BB422_4 Depth=1
	v_bfe_u32 v13, v12, 16, 1
	s_delay_alu instid0(VALU_DEP_1)
	v_add3_u32 v13, v12, v13, 0x7fff
                                        ; implicit-def: $vgpr12
; %bb.184:                              ;   in Loop: Header=BB422_4 Depth=1
	s_and_not1_saveexec_b32 s18, s18
; %bb.185:                              ;   in Loop: Header=BB422_4 Depth=1
	v_and_b32_e32 v13, 0xffff, v12
	v_or_b32_e32 v18, 0x10000, v12
	s_delay_alu instid0(VALU_DEP_2) | instskip(NEXT) | instid1(VALU_DEP_2)
	v_cmp_eq_u32_e32 vcc_lo, 0, v13
	v_cndmask_b32_e32 v13, v18, v12, vcc_lo
; %bb.186:                              ;   in Loop: Header=BB422_4 Depth=1
	s_or_b32 exec_lo, exec_lo, s18
	global_store_d16_hi_b16 v[16:17], v13, off offset:32
	global_load_u16 v12, v[14:15], off offset:64
	s_wait_loadcnt 0x0
	v_lshlrev_b32_e32 v12, 16, v12
	s_delay_alu instid0(VALU_DEP_1) | instskip(SKIP_1) | instid1(VALU_DEP_1)
	v_mul_f32_e32 v12, s30, v12
	s_wait_xcnt 0x1
	v_and_b32_e32 v13, 0x7f800000, v12
	s_delay_alu instid0(VALU_DEP_1) | instskip(SKIP_2) | instid1(SALU_CYCLE_1)
	v_cmp_ne_u32_e32 vcc_lo, 0x7f800000, v13
                                        ; implicit-def: $vgpr13
	s_wait_xcnt 0x0
	s_and_saveexec_b32 s18, vcc_lo
	s_xor_b32 s18, exec_lo, s18
; %bb.187:                              ;   in Loop: Header=BB422_4 Depth=1
	v_bfe_u32 v13, v12, 16, 1
	s_delay_alu instid0(VALU_DEP_1)
	v_add3_u32 v13, v12, v13, 0x7fff
                                        ; implicit-def: $vgpr12
; %bb.188:                              ;   in Loop: Header=BB422_4 Depth=1
	s_and_not1_saveexec_b32 s18, s18
; %bb.189:                              ;   in Loop: Header=BB422_4 Depth=1
	v_and_b32_e32 v13, 0xffff, v12
	v_or_b32_e32 v18, 0x10000, v12
	s_delay_alu instid0(VALU_DEP_2) | instskip(NEXT) | instid1(VALU_DEP_2)
	v_cmp_eq_u32_e32 vcc_lo, 0, v13
	v_cndmask_b32_e32 v13, v18, v12, vcc_lo
; %bb.190:                              ;   in Loop: Header=BB422_4 Depth=1
	s_or_b32 exec_lo, exec_lo, s18
	s_delay_alu instid0(VALU_DEP_1) | instskip(NEXT) | instid1(VALU_DEP_1)
	v_fma_mix_f32_bf16 v10, s2, v10, v13 op_sel:[0,0,1] op_sel_hi:[0,0,1]
	v_and_b32_e32 v12, 0x7f800000, v10
	s_delay_alu instid0(VALU_DEP_1) | instskip(SKIP_1) | instid1(SALU_CYCLE_1)
	v_cmp_ne_u32_e32 vcc_lo, 0x7f800000, v12
                                        ; implicit-def: $vgpr12
	s_and_saveexec_b32 s18, vcc_lo
	s_xor_b32 s18, exec_lo, s18
; %bb.191:                              ;   in Loop: Header=BB422_4 Depth=1
	v_bfe_u32 v12, v10, 16, 1
	s_delay_alu instid0(VALU_DEP_1)
	v_add3_u32 v12, v10, v12, 0x7fff
                                        ; implicit-def: $vgpr10
; %bb.192:                              ;   in Loop: Header=BB422_4 Depth=1
	s_and_not1_saveexec_b32 s18, s18
; %bb.193:                              ;   in Loop: Header=BB422_4 Depth=1
	v_and_b32_e32 v12, 0xffff, v10
	v_or_b32_e32 v13, 0x10000, v10
	s_delay_alu instid0(VALU_DEP_2) | instskip(NEXT) | instid1(VALU_DEP_2)
	v_cmp_eq_u32_e32 vcc_lo, 0, v12
	v_cndmask_b32_e32 v12, v13, v10, vcc_lo
; %bb.194:                              ;   in Loop: Header=BB422_4 Depth=1
	s_or_b32 exec_lo, exec_lo, s18
	global_store_d16_hi_b16 v[16:17], v12, off offset:64
	global_load_u16 v10, v[14:15], off offset:96
	s_wait_loadcnt 0x0
	v_lshlrev_b32_e32 v10, 16, v10
	s_delay_alu instid0(VALU_DEP_1) | instskip(SKIP_1) | instid1(VALU_DEP_1)
	v_mul_f32_e32 v10, s30, v10
	s_wait_xcnt 0x1
	v_and_b32_e32 v12, 0x7f800000, v10
	s_delay_alu instid0(VALU_DEP_1) | instskip(SKIP_2) | instid1(SALU_CYCLE_1)
	v_cmp_ne_u32_e32 vcc_lo, 0x7f800000, v12
                                        ; implicit-def: $vgpr12
	s_wait_xcnt 0x0
	s_and_saveexec_b32 s18, vcc_lo
	s_xor_b32 s18, exec_lo, s18
; %bb.195:                              ;   in Loop: Header=BB422_4 Depth=1
	v_bfe_u32 v12, v10, 16, 1
	s_delay_alu instid0(VALU_DEP_1)
	v_add3_u32 v12, v10, v12, 0x7fff
                                        ; implicit-def: $vgpr10
; %bb.196:                              ;   in Loop: Header=BB422_4 Depth=1
	s_and_not1_saveexec_b32 s18, s18
; %bb.197:                              ;   in Loop: Header=BB422_4 Depth=1
	v_and_b32_e32 v12, 0xffff, v10
	v_or_b32_e32 v13, 0x10000, v10
	s_delay_alu instid0(VALU_DEP_2) | instskip(NEXT) | instid1(VALU_DEP_2)
	v_cmp_eq_u32_e32 vcc_lo, 0, v12
	v_cndmask_b32_e32 v12, v13, v10, vcc_lo
; %bb.198:                              ;   in Loop: Header=BB422_4 Depth=1
	s_or_b32 exec_lo, exec_lo, s18
	s_delay_alu instid0(VALU_DEP_1) | instskip(NEXT) | instid1(VALU_DEP_1)
	v_fma_mix_f32_bf16 v10, s2, v11, v12 op_sel:[0,0,1] op_sel_hi:[0,0,1]
	v_and_b32_e32 v11, 0x7f800000, v10
	s_delay_alu instid0(VALU_DEP_1) | instskip(SKIP_1) | instid1(SALU_CYCLE_1)
	v_cmp_ne_u32_e32 vcc_lo, 0x7f800000, v11
                                        ; implicit-def: $vgpr11
	s_and_saveexec_b32 s18, vcc_lo
	s_xor_b32 s18, exec_lo, s18
; %bb.199:                              ;   in Loop: Header=BB422_4 Depth=1
	v_bfe_u32 v11, v10, 16, 1
	s_delay_alu instid0(VALU_DEP_1)
	v_add3_u32 v11, v10, v11, 0x7fff
                                        ; implicit-def: $vgpr10
; %bb.200:                              ;   in Loop: Header=BB422_4 Depth=1
	s_and_not1_saveexec_b32 s18, s18
	s_cbranch_execz .LBB422_2
; %bb.201:                              ;   in Loop: Header=BB422_4 Depth=1
	v_and_b32_e32 v11, 0xffff, v10
	v_or_b32_e32 v12, 0x10000, v10
	s_delay_alu instid0(VALU_DEP_2) | instskip(NEXT) | instid1(VALU_DEP_2)
	v_cmp_eq_u32_e32 vcc_lo, 0, v11
	v_cndmask_b32_e32 v11, v12, v10, vcc_lo
	s_branch .LBB422_2
.LBB422_202:
	s_sendmsg sendmsg(MSG_DEALLOC_VGPRS)
	s_endpgm
	.section	.rodata,"a",@progbits
	.p2align	6, 0x0
	.amdhsa_kernel _ZN12_GLOBAL__N_127rocblas_gemm_batched_kernelIfLi16ELi16ELi64ELi64ELi4ELi64ELi4ELi4ELi64ELc67ELc67EK16rocblas_bfloat16S2_S1_EEvlllT_PT11_llS5_llS3_PT12_llPT13_lli
		.amdhsa_group_segment_fixed_size 2048
		.amdhsa_private_segment_fixed_size 0
		.amdhsa_kernarg_size 140
		.amdhsa_user_sgpr_count 2
		.amdhsa_user_sgpr_dispatch_ptr 0
		.amdhsa_user_sgpr_queue_ptr 0
		.amdhsa_user_sgpr_kernarg_segment_ptr 1
		.amdhsa_user_sgpr_dispatch_id 0
		.amdhsa_user_sgpr_kernarg_preload_length 0
		.amdhsa_user_sgpr_kernarg_preload_offset 0
		.amdhsa_user_sgpr_private_segment_size 0
		.amdhsa_wavefront_size32 1
		.amdhsa_uses_dynamic_stack 0
		.amdhsa_enable_private_segment 0
		.amdhsa_system_sgpr_workgroup_id_x 1
		.amdhsa_system_sgpr_workgroup_id_y 1
		.amdhsa_system_sgpr_workgroup_id_z 1
		.amdhsa_system_sgpr_workgroup_info 0
		.amdhsa_system_vgpr_workitem_id 1
		.amdhsa_next_free_vgpr 70
		.amdhsa_next_free_sgpr 38
		.amdhsa_named_barrier_count 0
		.amdhsa_reserve_vcc 1
		.amdhsa_float_round_mode_32 0
		.amdhsa_float_round_mode_16_64 0
		.amdhsa_float_denorm_mode_32 3
		.amdhsa_float_denorm_mode_16_64 3
		.amdhsa_fp16_overflow 0
		.amdhsa_memory_ordered 1
		.amdhsa_forward_progress 1
		.amdhsa_inst_pref_size 55
		.amdhsa_round_robin_scheduling 0
		.amdhsa_exception_fp_ieee_invalid_op 0
		.amdhsa_exception_fp_denorm_src 0
		.amdhsa_exception_fp_ieee_div_zero 0
		.amdhsa_exception_fp_ieee_overflow 0
		.amdhsa_exception_fp_ieee_underflow 0
		.amdhsa_exception_fp_ieee_inexact 0
		.amdhsa_exception_int_div_zero 0
	.end_amdhsa_kernel
	.section	.text._ZN12_GLOBAL__N_127rocblas_gemm_batched_kernelIfLi16ELi16ELi64ELi64ELi4ELi64ELi4ELi4ELi64ELc67ELc67EK16rocblas_bfloat16S2_S1_EEvlllT_PT11_llS5_llS3_PT12_llPT13_lli,"axG",@progbits,_ZN12_GLOBAL__N_127rocblas_gemm_batched_kernelIfLi16ELi16ELi64ELi64ELi4ELi64ELi4ELi4ELi64ELc67ELc67EK16rocblas_bfloat16S2_S1_EEvlllT_PT11_llS5_llS3_PT12_llPT13_lli,comdat
.Lfunc_end422:
	.size	_ZN12_GLOBAL__N_127rocblas_gemm_batched_kernelIfLi16ELi16ELi64ELi64ELi4ELi64ELi4ELi4ELi64ELc67ELc67EK16rocblas_bfloat16S2_S1_EEvlllT_PT11_llS5_llS3_PT12_llPT13_lli, .Lfunc_end422-_ZN12_GLOBAL__N_127rocblas_gemm_batched_kernelIfLi16ELi16ELi64ELi64ELi4ELi64ELi4ELi4ELi64ELc67ELc67EK16rocblas_bfloat16S2_S1_EEvlllT_PT11_llS5_llS3_PT12_llPT13_lli
                                        ; -- End function
	.set _ZN12_GLOBAL__N_127rocblas_gemm_batched_kernelIfLi16ELi16ELi64ELi64ELi4ELi64ELi4ELi4ELi64ELc67ELc67EK16rocblas_bfloat16S2_S1_EEvlllT_PT11_llS5_llS3_PT12_llPT13_lli.num_vgpr, 70
	.set _ZN12_GLOBAL__N_127rocblas_gemm_batched_kernelIfLi16ELi16ELi64ELi64ELi4ELi64ELi4ELi4ELi64ELc67ELc67EK16rocblas_bfloat16S2_S1_EEvlllT_PT11_llS5_llS3_PT12_llPT13_lli.num_agpr, 0
	.set _ZN12_GLOBAL__N_127rocblas_gemm_batched_kernelIfLi16ELi16ELi64ELi64ELi4ELi64ELi4ELi4ELi64ELc67ELc67EK16rocblas_bfloat16S2_S1_EEvlllT_PT11_llS5_llS3_PT12_llPT13_lli.numbered_sgpr, 38
	.set _ZN12_GLOBAL__N_127rocblas_gemm_batched_kernelIfLi16ELi16ELi64ELi64ELi4ELi64ELi4ELi4ELi64ELc67ELc67EK16rocblas_bfloat16S2_S1_EEvlllT_PT11_llS5_llS3_PT12_llPT13_lli.num_named_barrier, 0
	.set _ZN12_GLOBAL__N_127rocblas_gemm_batched_kernelIfLi16ELi16ELi64ELi64ELi4ELi64ELi4ELi4ELi64ELc67ELc67EK16rocblas_bfloat16S2_S1_EEvlllT_PT11_llS5_llS3_PT12_llPT13_lli.private_seg_size, 0
	.set _ZN12_GLOBAL__N_127rocblas_gemm_batched_kernelIfLi16ELi16ELi64ELi64ELi4ELi64ELi4ELi4ELi64ELc67ELc67EK16rocblas_bfloat16S2_S1_EEvlllT_PT11_llS5_llS3_PT12_llPT13_lli.uses_vcc, 1
	.set _ZN12_GLOBAL__N_127rocblas_gemm_batched_kernelIfLi16ELi16ELi64ELi64ELi4ELi64ELi4ELi4ELi64ELc67ELc67EK16rocblas_bfloat16S2_S1_EEvlllT_PT11_llS5_llS3_PT12_llPT13_lli.uses_flat_scratch, 0
	.set _ZN12_GLOBAL__N_127rocblas_gemm_batched_kernelIfLi16ELi16ELi64ELi64ELi4ELi64ELi4ELi4ELi64ELc67ELc67EK16rocblas_bfloat16S2_S1_EEvlllT_PT11_llS5_llS3_PT12_llPT13_lli.has_dyn_sized_stack, 0
	.set _ZN12_GLOBAL__N_127rocblas_gemm_batched_kernelIfLi16ELi16ELi64ELi64ELi4ELi64ELi4ELi4ELi64ELc67ELc67EK16rocblas_bfloat16S2_S1_EEvlllT_PT11_llS5_llS3_PT12_llPT13_lli.has_recursion, 0
	.set _ZN12_GLOBAL__N_127rocblas_gemm_batched_kernelIfLi16ELi16ELi64ELi64ELi4ELi64ELi4ELi4ELi64ELc67ELc67EK16rocblas_bfloat16S2_S1_EEvlllT_PT11_llS5_llS3_PT12_llPT13_lli.has_indirect_call, 0
	.section	.AMDGPU.csdata,"",@progbits
; Kernel info:
; codeLenInByte = 6916
; TotalNumSgprs: 40
; NumVgprs: 70
; ScratchSize: 0
; MemoryBound: 0
; FloatMode: 240
; IeeeMode: 1
; LDSByteSize: 2048 bytes/workgroup (compile time only)
; SGPRBlocks: 0
; VGPRBlocks: 4
; NumSGPRsForWavesPerEU: 40
; NumVGPRsForWavesPerEU: 70
; NamedBarCnt: 0
; Occupancy: 12
; WaveLimiterHint : 0
; COMPUTE_PGM_RSRC2:SCRATCH_EN: 0
; COMPUTE_PGM_RSRC2:USER_SGPR: 2
; COMPUTE_PGM_RSRC2:TRAP_HANDLER: 0
; COMPUTE_PGM_RSRC2:TGID_X_EN: 1
; COMPUTE_PGM_RSRC2:TGID_Y_EN: 1
; COMPUTE_PGM_RSRC2:TGID_Z_EN: 1
; COMPUTE_PGM_RSRC2:TIDIG_COMP_CNT: 1
	.section	.text._ZN12_GLOBAL__N_127rocblas_gemm_batched_kernelIfLi16ELi16ELi64ELi64ELi4ELi64ELi4ELi4ELi64ELc67ELc78EK16rocblas_bfloat16S2_S1_EEvlllT_PT11_llS5_llS3_PT12_llPT13_lli,"axG",@progbits,_ZN12_GLOBAL__N_127rocblas_gemm_batched_kernelIfLi16ELi16ELi64ELi64ELi4ELi64ELi4ELi4ELi64ELc67ELc78EK16rocblas_bfloat16S2_S1_EEvlllT_PT11_llS5_llS3_PT12_llPT13_lli,comdat
	.globl	_ZN12_GLOBAL__N_127rocblas_gemm_batched_kernelIfLi16ELi16ELi64ELi64ELi4ELi64ELi4ELi4ELi64ELc67ELc78EK16rocblas_bfloat16S2_S1_EEvlllT_PT11_llS5_llS3_PT12_llPT13_lli ; -- Begin function _ZN12_GLOBAL__N_127rocblas_gemm_batched_kernelIfLi16ELi16ELi64ELi64ELi4ELi64ELi4ELi4ELi64ELc67ELc78EK16rocblas_bfloat16S2_S1_EEvlllT_PT11_llS5_llS3_PT12_llPT13_lli
	.p2align	8
	.type	_ZN12_GLOBAL__N_127rocblas_gemm_batched_kernelIfLi16ELi16ELi64ELi64ELi4ELi64ELi4ELi4ELi64ELc67ELc78EK16rocblas_bfloat16S2_S1_EEvlllT_PT11_llS5_llS3_PT12_llPT13_lli,@function
_ZN12_GLOBAL__N_127rocblas_gemm_batched_kernelIfLi16ELi16ELi64ELi64ELi4ELi64ELi4ELi4ELi64ELc67ELc78EK16rocblas_bfloat16S2_S1_EEvlllT_PT11_llS5_llS3_PT12_llPT13_lli: ; @_ZN12_GLOBAL__N_127rocblas_gemm_batched_kernelIfLi16ELi16ELi64ELi64ELi4ELi64ELi4ELi4ELi64ELc67ELc78EK16rocblas_bfloat16S2_S1_EEvlllT_PT11_llS5_llS3_PT12_llPT13_lli
; %bb.0:
	s_load_b32 s3, s[0:1], 0x88
	s_bfe_u32 s2, ttmp6, 0x40014
	s_lshr_b32 s4, ttmp7, 16
	s_add_co_i32 s2, s2, 1
	s_bfe_u32 s6, ttmp6, 0x40008
	s_mul_i32 s5, s4, s2
	s_getreg_b32 s2, hwreg(HW_REG_IB_STS2, 6, 4)
	s_add_co_i32 s6, s6, s5
	s_cmp_eq_u32 s2, 0
	s_mov_b32 s29, 0
	s_cselect_b32 s28, s4, s6
	s_wait_kmcnt 0x0
	s_cmp_ge_i32 s28, s3
	s_cbranch_scc1 .LBB423_202
; %bb.1:
	s_bfe_u32 s21, ttmp6, 0x4000c
	s_bfe_u32 s23, ttmp6, 0x40010
	s_and_b32 s22, ttmp7, 0xffff
	s_add_co_i32 s21, s21, 1
	s_add_co_i32 s23, s23, 1
	v_bfe_u32 v4, v0, 10, 10
	s_and_b32 s20, ttmp6, 15
	s_mul_i32 s21, ttmp9, s21
	s_mul_i32 s23, s22, s23
	s_bfe_u32 s30, ttmp6, 0x40004
	s_add_co_i32 s20, s20, s21
	s_add_co_i32 s30, s30, s23
	s_cmp_eq_u32 s2, 0
	v_and_b32_e32 v6, 0x3ff, v0
	v_dual_lshlrev_b32 v1, 4, v4 :: v_dual_mov_b32 v5, 0
	s_cselect_b32 s34, ttmp9, s20
	s_clause 0x2
	s_load_b256 s[12:19], s[0:1], 0x20
	s_load_b128 s[24:27], s[0:1], 0x40
	s_load_b256 s[4:11], s[0:1], 0x58
	s_cselect_b32 s2, s22, s30
	s_ashr_i32 s35, s34, 31
	v_mov_b32_e32 v9, v5
	s_lshl_b64 s[34:35], s[34:35], 6
	v_add_nc_u32_e32 v7, v1, v6
	s_lshl_b32 s36, s2, 6
	s_mov_b32 s37, s29
	s_clause 0x1
	s_load_b32 s30, s[0:1], 0x50
	s_load_b128 s[20:23], s[0:1], 0x78
	v_lshrrev_b32_e32 v8, 2, v7
	v_add_nc_u64_e32 v[12:13], s[36:37], v[4:5]
	s_wait_xcnt 0x0
	s_load_b96 s[0:2], s[0:1], 0x10
	v_add_nc_u32_e32 v37, 0x400, v1
	v_lshlrev_b32_e32 v36, 2, v6
	v_add_nc_u64_e32 v[2:3], s[36:37], v[8:9]
	v_and_b32_e32 v9, 63, v7
	s_wait_kmcnt 0x0
	v_mul_u64_e32 v[16:17], s[6:7], v[12:13]
	s_delay_alu instid0(VALU_DEP_3) | instskip(NEXT) | instid1(VALU_DEP_3)
	v_mul_u64_e32 v[10:11], s[24:25], v[2:3]
	v_dual_mov_b32 v3, s35 :: v_dual_bitop2_b32 v2, s34, v9 bitop3:0x54
	v_dual_lshlrev_b32 v9, 2, v9 :: v_dual_bitop2_b32 v0, 3, v0 bitop3:0x40
	s_cmp_eq_f32 s30, 0
	s_delay_alu instid0(VALU_DEP_2) | instskip(SKIP_1) | instid1(VALU_DEP_3)
	v_mul_u64_e32 v[14:15], s[14:15], v[2:3]
	v_mul_u64_e32 v[2:3], s[20:21], v[12:13]
	v_dual_lshrrev_b32 v13, 6, v7 :: v_dual_lshlrev_b32 v12, 2, v0
	v_dual_mov_b32 v7, v5 :: v_dual_lshlrev_b32 v4, 1, v0
	s_cselect_b32 s24, -1, 0
	s_delay_alu instid0(VALU_DEP_2) | instskip(NEXT) | instid1(VALU_DEP_3)
	v_lshl_or_b32 v34, v13, 8, v9
	v_lshl_or_b32 v0, v8, 4, v12
	s_lshl_b64 s[14:15], s[20:21], 4
	s_delay_alu instid0(VALU_DEP_1) | instskip(SKIP_3) | instid1(VALU_DEP_2)
	v_add_nc_u32_e32 v35, 0x400, v0
	v_add_nc_u64_e32 v[0:1], s[34:35], v[6:7]
	v_lshl_add_u64 v[8:9], v[10:11], 1, v[4:5]
	v_lshlrev_b32_e32 v4, 1, v13
	v_add_nc_u64_e32 v[6:7], s[18:19], v[8:9]
	v_cmp_gt_i64_e64 s18, s[0:1], 0
	s_delay_alu instid0(VALU_DEP_3) | instskip(SKIP_3) | instid1(VALU_DEP_2)
	v_lshl_add_u64 v[10:11], v[14:15], 1, v[4:5]
	v_lshl_add_u64 v[4:5], v[16:17], 1, s[4:5]
	s_lshl_b64 s[4:5], s[6:7], 4
	s_lshl_b64 s[6:7], s[26:27], 1
	v_add_nc_u64_e32 v[8:9], s[12:13], v[10:11]
	s_lshl_b64 s[12:13], s[16:17], 1
	s_branch .LBB423_4
.LBB423_2:                              ;   in Loop: Header=BB423_4 Depth=1
	s_or_b32 exec_lo, exec_lo, s16
	global_store_d16_hi_b16 v[16:17], v11, off offset:96
.LBB423_3:                              ;   in Loop: Header=BB423_4 Depth=1
	s_add_co_i32 s28, s28, 0x10000
	s_delay_alu instid0(SALU_CYCLE_1)
	s_cmp_lt_i32 s28, s3
	s_cbranch_scc0 .LBB423_202
.LBB423_4:                              ; =>This Loop Header: Depth=1
                                        ;     Child Loop BB423_6 Depth 2
	v_dual_mov_b32 v25, 0 :: v_dual_mov_b32 v24, 0
	v_dual_mov_b32 v23, 0 :: v_dual_mov_b32 v22, 0
	;; [unrolled: 1-line block ×4, first 2 shown]
	s_wait_xcnt 0x0
	v_dual_mov_b32 v17, 0 :: v_dual_mov_b32 v16, 0
	v_dual_mov_b32 v15, 0 :: v_dual_mov_b32 v14, 0
	;; [unrolled: 1-line block ×4, first 2 shown]
	s_and_not1_b32 vcc_lo, exec_lo, s18
	s_cbranch_vccnz .LBB423_7
; %bb.5:                                ;   in Loop: Header=BB423_4 Depth=1
	v_mad_nc_u64_u32 v[26:27], s6, s28, v[6:7]
	v_mad_nc_u64_u32 v[28:29], s12, s28, v[8:9]
	v_mov_b32_e32 v10, 0
	s_mov_b64 s[16:17], 0
	s_delay_alu instid0(VALU_DEP_1)
	v_dual_mov_b32 v11, v10 :: v_dual_mov_b32 v12, v10
	v_dual_mov_b32 v13, v10 :: v_dual_mov_b32 v14, v10
	v_mad_u32 v27, s7, s28, v27
	v_mad_u32 v29, s13, s28, v29
	v_dual_mov_b32 v15, v10 :: v_dual_mov_b32 v16, v10
	v_dual_mov_b32 v17, v10 :: v_dual_mov_b32 v18, v10
	;; [unrolled: 1-line block ×5, first 2 shown]
	v_mov_b32_e32 v25, v10
.LBB423_6:                              ;   Parent Loop BB423_4 Depth=1
                                        ; =>  This Inner Loop Header: Depth=2
	global_load_u16 v30, v[28:29], off
	global_load_u16 v31, v[26:27], off
	s_add_nc_u64 s[16:17], s[16:17], 4
	s_wait_xcnt 0x0
	v_add_nc_u64_e32 v[26:27], 8, v[26:27]
	v_cmp_lt_i64_e64 s19, s[16:17], s[0:1]
	v_add_nc_u64_e32 v[28:29], 8, v[28:29]
	s_and_b32 vcc_lo, exec_lo, s19
	s_wait_loadcnt 0x0
	v_dual_lshlrev_b32 v30, 16, v30 :: v_dual_lshlrev_b32 v31, 16, v31
	ds_store_b32 v34, v30
	ds_store_b32 v35, v31
	s_wait_dscnt 0x0
	s_barrier_signal -1
	s_barrier_wait -1
	ds_load_b128 v[30:33], v37
	ds_load_2addr_b32 v[50:51], v36 offset1:16
	ds_load_2addr_b32 v[52:53], v36 offset0:32 offset1:48
	ds_load_b128 v[38:41], v37 offset:256
	ds_load_b128 v[42:45], v37 offset:512
	;; [unrolled: 1-line block ×3, first 2 shown]
	ds_load_2addr_b32 v[54:55], v36 offset0:64 offset1:80
	ds_load_2addr_b32 v[56:57], v36 offset0:96 offset1:112
	ds_load_2addr_b32 v[58:59], v36 offset0:128 offset1:144
	ds_load_2addr_b32 v[60:61], v36 offset0:160 offset1:176
	ds_load_2addr_b32 v[62:63], v36 offset0:192 offset1:208
	ds_load_2addr_b32 v[64:65], v36 offset0:224 offset1:240
	s_wait_dscnt 0x0
	s_barrier_signal -1
	s_barrier_wait -1
	v_mov_b32_e32 v66, v33
	v_pk_fma_f32 v[24:25], v[50:51], v[30:31], v[24:25] op_sel_hi:[1,0,1]
	v_pk_fma_f32 v[22:23], v[52:53], v[30:31], v[22:23] op_sel_hi:[1,0,1]
	;; [unrolled: 1-line block ×8, first 2 shown]
	v_pk_fma_f32 v[24:25], v[54:55], v[30:31], v[24:25] op_sel:[0,1,0]
	v_pk_fma_f32 v[22:23], v[56:57], v[30:31], v[22:23] op_sel:[0,1,0]
	;; [unrolled: 1-line block ×8, first 2 shown]
	v_dual_mov_b32 v50, v41 :: v_dual_mov_b32 v52, v45
	v_mov_b32_e32 v68, v49
	v_pk_fma_f32 v[24:25], v[58:59], v[32:33], v[24:25] op_sel_hi:[1,0,1]
	v_pk_fma_f32 v[22:23], v[60:61], v[32:33], v[22:23] op_sel_hi:[1,0,1]
	;; [unrolled: 1-line block ×16, first 2 shown]
	s_cbranch_vccnz .LBB423_6
.LBB423_7:                              ;   in Loop: Header=BB423_4 Depth=1
	s_mul_u64 s[16:17], s[22:23], s[28:29]
	s_and_not1_b32 vcc_lo, exec_lo, s24
	s_lshl_b64 s[16:17], s[16:17], 1
	s_delay_alu instid0(SALU_CYCLE_1)
	s_add_nc_u64 s[16:17], s[10:11], s[16:17]
	s_cbranch_vccnz .LBB423_73
; %bb.8:                                ;   in Loop: Header=BB423_4 Depth=1
	v_mul_f32_e32 v26, s2, v24
	s_mov_b32 s19, exec_lo
                                        ; implicit-def: $vgpr30
	s_delay_alu instid0(VALU_DEP_1) | instskip(NEXT) | instid1(VALU_DEP_1)
	v_and_b32_e32 v27, 0x7f800000, v26
	v_cmpx_ne_u32_e32 0x7f800000, v27
	s_xor_b32 s19, exec_lo, s19
; %bb.9:                                ;   in Loop: Header=BB423_4 Depth=1
	v_bfe_u32 v27, v26, 16, 1
	s_delay_alu instid0(VALU_DEP_1)
	v_add3_u32 v30, v26, v27, 0x7fff
                                        ; implicit-def: $vgpr26
; %bb.10:                               ;   in Loop: Header=BB423_4 Depth=1
	s_and_not1_saveexec_b32 s19, s19
; %bb.11:                               ;   in Loop: Header=BB423_4 Depth=1
	v_and_b32_e32 v27, 0xffff, v26
	v_or_b32_e32 v28, 0x10000, v26
	s_delay_alu instid0(VALU_DEP_2) | instskip(NEXT) | instid1(VALU_DEP_2)
	v_cmp_eq_u32_e32 vcc_lo, 0, v27
	v_cndmask_b32_e32 v30, v28, v26, vcc_lo
; %bb.12:                               ;   in Loop: Header=BB423_4 Depth=1
	s_or_b32 exec_lo, exec_lo, s19
	v_mul_f32_e32 v31, s2, v25
	v_lshl_add_u64 v[26:27], v[2:3], 1, s[16:17]
	s_delay_alu instid0(VALU_DEP_2) | instskip(NEXT) | instid1(VALU_DEP_2)
	v_and_b32_e32 v32, 0x7f800000, v31
	v_lshl_add_u64 v[28:29], v[0:1], 1, v[26:27]
	s_delay_alu instid0(VALU_DEP_2) | instskip(SKIP_3) | instid1(SALU_CYCLE_1)
	v_cmp_ne_u32_e32 vcc_lo, 0x7f800000, v32
	global_store_d16_hi_b16 v[28:29], v30, off
                                        ; implicit-def: $vgpr32
	s_wait_xcnt 0x0
	s_and_saveexec_b32 s19, vcc_lo
	s_xor_b32 s19, exec_lo, s19
; %bb.13:                               ;   in Loop: Header=BB423_4 Depth=1
	v_bfe_u32 v30, v31, 16, 1
	s_delay_alu instid0(VALU_DEP_1)
	v_add3_u32 v32, v31, v30, 0x7fff
                                        ; implicit-def: $vgpr31
; %bb.14:                               ;   in Loop: Header=BB423_4 Depth=1
	s_and_not1_saveexec_b32 s19, s19
; %bb.15:                               ;   in Loop: Header=BB423_4 Depth=1
	v_and_b32_e32 v30, 0xffff, v31
	v_or_b32_e32 v32, 0x10000, v31
	s_delay_alu instid0(VALU_DEP_2) | instskip(NEXT) | instid1(VALU_DEP_2)
	v_cmp_eq_u32_e32 vcc_lo, 0, v30
	v_cndmask_b32_e32 v32, v32, v31, vcc_lo
; %bb.16:                               ;   in Loop: Header=BB423_4 Depth=1
	s_or_b32 exec_lo, exec_lo, s19
	v_mul_f32_e32 v30, s2, v22
	global_store_d16_hi_b16 v[28:29], v32, off offset:32
	v_and_b32_e32 v31, 0x7f800000, v30
	s_delay_alu instid0(VALU_DEP_1) | instskip(SKIP_2) | instid1(SALU_CYCLE_1)
	v_cmp_ne_u32_e32 vcc_lo, 0x7f800000, v31
                                        ; implicit-def: $vgpr31
	s_wait_xcnt 0x0
	s_and_saveexec_b32 s19, vcc_lo
	s_xor_b32 s19, exec_lo, s19
; %bb.17:                               ;   in Loop: Header=BB423_4 Depth=1
	v_bfe_u32 v31, v30, 16, 1
	s_delay_alu instid0(VALU_DEP_1)
	v_add3_u32 v31, v30, v31, 0x7fff
                                        ; implicit-def: $vgpr30
; %bb.18:                               ;   in Loop: Header=BB423_4 Depth=1
	s_and_not1_saveexec_b32 s19, s19
; %bb.19:                               ;   in Loop: Header=BB423_4 Depth=1
	v_and_b32_e32 v31, 0xffff, v30
	v_or_b32_e32 v32, 0x10000, v30
	s_delay_alu instid0(VALU_DEP_2) | instskip(NEXT) | instid1(VALU_DEP_2)
	v_cmp_eq_u32_e32 vcc_lo, 0, v31
	v_cndmask_b32_e32 v31, v32, v30, vcc_lo
; %bb.20:                               ;   in Loop: Header=BB423_4 Depth=1
	s_or_b32 exec_lo, exec_lo, s19
	v_mul_f32_e32 v30, s2, v23
	global_store_d16_hi_b16 v[28:29], v31, off offset:64
	v_and_b32_e32 v32, 0x7f800000, v30
	s_delay_alu instid0(VALU_DEP_1) | instskip(SKIP_2) | instid1(SALU_CYCLE_1)
	v_cmp_ne_u32_e32 vcc_lo, 0x7f800000, v32
                                        ; implicit-def: $vgpr32
	s_wait_xcnt 0x0
	s_and_saveexec_b32 s19, vcc_lo
	s_xor_b32 s19, exec_lo, s19
; %bb.21:                               ;   in Loop: Header=BB423_4 Depth=1
	v_bfe_u32 v31, v30, 16, 1
	s_delay_alu instid0(VALU_DEP_1)
	v_add3_u32 v32, v30, v31, 0x7fff
                                        ; implicit-def: $vgpr30
; %bb.22:                               ;   in Loop: Header=BB423_4 Depth=1
	s_and_not1_saveexec_b32 s19, s19
; %bb.23:                               ;   in Loop: Header=BB423_4 Depth=1
	v_and_b32_e32 v31, 0xffff, v30
	v_or_b32_e32 v32, 0x10000, v30
	s_delay_alu instid0(VALU_DEP_2) | instskip(NEXT) | instid1(VALU_DEP_2)
	v_cmp_eq_u32_e32 vcc_lo, 0, v31
	v_cndmask_b32_e32 v32, v32, v30, vcc_lo
; %bb.24:                               ;   in Loop: Header=BB423_4 Depth=1
	s_or_b32 exec_lo, exec_lo, s19
	v_mul_f32_e32 v31, s2, v20
	global_store_d16_hi_b16 v[28:29], v32, off offset:96
	v_and_b32_e32 v30, 0x7f800000, v31
	s_delay_alu instid0(VALU_DEP_1) | instskip(SKIP_2) | instid1(SALU_CYCLE_1)
	v_cmp_ne_u32_e32 vcc_lo, 0x7f800000, v30
                                        ; implicit-def: $vgpr30
	s_wait_xcnt 0x0
	s_and_saveexec_b32 s19, vcc_lo
	s_xor_b32 s19, exec_lo, s19
; %bb.25:                               ;   in Loop: Header=BB423_4 Depth=1
	v_bfe_u32 v28, v31, 16, 1
	s_delay_alu instid0(VALU_DEP_1)
	v_add3_u32 v30, v31, v28, 0x7fff
                                        ; implicit-def: $vgpr31
; %bb.26:                               ;   in Loop: Header=BB423_4 Depth=1
	s_and_not1_saveexec_b32 s19, s19
; %bb.27:                               ;   in Loop: Header=BB423_4 Depth=1
	v_and_b32_e32 v28, 0xffff, v31
	v_or_b32_e32 v29, 0x10000, v31
	s_delay_alu instid0(VALU_DEP_2) | instskip(NEXT) | instid1(VALU_DEP_2)
	v_cmp_eq_u32_e32 vcc_lo, 0, v28
	v_cndmask_b32_e32 v30, v29, v31, vcc_lo
; %bb.28:                               ;   in Loop: Header=BB423_4 Depth=1
	s_or_b32 exec_lo, exec_lo, s19
	v_mul_f32_e32 v31, s2, v21
	v_lshl_add_u64 v[26:27], s[14:15], 1, v[26:27]
	s_delay_alu instid0(VALU_DEP_2) | instskip(NEXT) | instid1(VALU_DEP_2)
	v_and_b32_e32 v32, 0x7f800000, v31
	v_lshl_add_u64 v[28:29], v[0:1], 1, v[26:27]
	s_delay_alu instid0(VALU_DEP_2) | instskip(SKIP_3) | instid1(SALU_CYCLE_1)
	v_cmp_ne_u32_e32 vcc_lo, 0x7f800000, v32
	global_store_d16_hi_b16 v[28:29], v30, off
                                        ; implicit-def: $vgpr32
	s_wait_xcnt 0x0
	s_and_saveexec_b32 s19, vcc_lo
	s_xor_b32 s19, exec_lo, s19
; %bb.29:                               ;   in Loop: Header=BB423_4 Depth=1
	v_bfe_u32 v30, v31, 16, 1
	s_delay_alu instid0(VALU_DEP_1)
	v_add3_u32 v32, v31, v30, 0x7fff
                                        ; implicit-def: $vgpr31
; %bb.30:                               ;   in Loop: Header=BB423_4 Depth=1
	s_and_not1_saveexec_b32 s19, s19
; %bb.31:                               ;   in Loop: Header=BB423_4 Depth=1
	v_and_b32_e32 v30, 0xffff, v31
	v_or_b32_e32 v32, 0x10000, v31
	s_delay_alu instid0(VALU_DEP_2) | instskip(NEXT) | instid1(VALU_DEP_2)
	v_cmp_eq_u32_e32 vcc_lo, 0, v30
	v_cndmask_b32_e32 v32, v32, v31, vcc_lo
; %bb.32:                               ;   in Loop: Header=BB423_4 Depth=1
	s_or_b32 exec_lo, exec_lo, s19
	v_mul_f32_e32 v30, s2, v18
	global_store_d16_hi_b16 v[28:29], v32, off offset:32
	v_and_b32_e32 v31, 0x7f800000, v30
	s_delay_alu instid0(VALU_DEP_1) | instskip(SKIP_2) | instid1(SALU_CYCLE_1)
	v_cmp_ne_u32_e32 vcc_lo, 0x7f800000, v31
                                        ; implicit-def: $vgpr31
	s_wait_xcnt 0x0
	s_and_saveexec_b32 s19, vcc_lo
	s_xor_b32 s19, exec_lo, s19
; %bb.33:                               ;   in Loop: Header=BB423_4 Depth=1
	v_bfe_u32 v31, v30, 16, 1
	s_delay_alu instid0(VALU_DEP_1)
	v_add3_u32 v31, v30, v31, 0x7fff
                                        ; implicit-def: $vgpr30
; %bb.34:                               ;   in Loop: Header=BB423_4 Depth=1
	s_and_not1_saveexec_b32 s19, s19
; %bb.35:                               ;   in Loop: Header=BB423_4 Depth=1
	v_and_b32_e32 v31, 0xffff, v30
	v_or_b32_e32 v32, 0x10000, v30
	s_delay_alu instid0(VALU_DEP_2) | instskip(NEXT) | instid1(VALU_DEP_2)
	v_cmp_eq_u32_e32 vcc_lo, 0, v31
	v_cndmask_b32_e32 v31, v32, v30, vcc_lo
; %bb.36:                               ;   in Loop: Header=BB423_4 Depth=1
	s_or_b32 exec_lo, exec_lo, s19
	v_mul_f32_e32 v30, s2, v19
	global_store_d16_hi_b16 v[28:29], v31, off offset:64
	v_and_b32_e32 v32, 0x7f800000, v30
	s_delay_alu instid0(VALU_DEP_1) | instskip(SKIP_2) | instid1(SALU_CYCLE_1)
	v_cmp_ne_u32_e32 vcc_lo, 0x7f800000, v32
                                        ; implicit-def: $vgpr32
	s_wait_xcnt 0x0
	s_and_saveexec_b32 s19, vcc_lo
	s_xor_b32 s19, exec_lo, s19
; %bb.37:                               ;   in Loop: Header=BB423_4 Depth=1
	v_bfe_u32 v31, v30, 16, 1
	s_delay_alu instid0(VALU_DEP_1)
	v_add3_u32 v32, v30, v31, 0x7fff
                                        ; implicit-def: $vgpr30
; %bb.38:                               ;   in Loop: Header=BB423_4 Depth=1
	s_and_not1_saveexec_b32 s19, s19
; %bb.39:                               ;   in Loop: Header=BB423_4 Depth=1
	v_and_b32_e32 v31, 0xffff, v30
	v_or_b32_e32 v32, 0x10000, v30
	s_delay_alu instid0(VALU_DEP_2) | instskip(NEXT) | instid1(VALU_DEP_2)
	v_cmp_eq_u32_e32 vcc_lo, 0, v31
	v_cndmask_b32_e32 v32, v32, v30, vcc_lo
; %bb.40:                               ;   in Loop: Header=BB423_4 Depth=1
	s_or_b32 exec_lo, exec_lo, s19
	v_mul_f32_e32 v31, s2, v16
	global_store_d16_hi_b16 v[28:29], v32, off offset:96
	v_and_b32_e32 v30, 0x7f800000, v31
	s_delay_alu instid0(VALU_DEP_1) | instskip(SKIP_2) | instid1(SALU_CYCLE_1)
	v_cmp_ne_u32_e32 vcc_lo, 0x7f800000, v30
                                        ; implicit-def: $vgpr30
	s_wait_xcnt 0x0
	s_and_saveexec_b32 s19, vcc_lo
	s_xor_b32 s19, exec_lo, s19
; %bb.41:                               ;   in Loop: Header=BB423_4 Depth=1
	v_bfe_u32 v28, v31, 16, 1
	s_delay_alu instid0(VALU_DEP_1)
	v_add3_u32 v30, v31, v28, 0x7fff
                                        ; implicit-def: $vgpr31
; %bb.42:                               ;   in Loop: Header=BB423_4 Depth=1
	s_and_not1_saveexec_b32 s19, s19
; %bb.43:                               ;   in Loop: Header=BB423_4 Depth=1
	v_and_b32_e32 v28, 0xffff, v31
	v_or_b32_e32 v29, 0x10000, v31
	s_delay_alu instid0(VALU_DEP_2) | instskip(NEXT) | instid1(VALU_DEP_2)
	v_cmp_eq_u32_e32 vcc_lo, 0, v28
	v_cndmask_b32_e32 v30, v29, v31, vcc_lo
; %bb.44:                               ;   in Loop: Header=BB423_4 Depth=1
	s_or_b32 exec_lo, exec_lo, s19
	v_mul_f32_e32 v31, s2, v17
	v_lshl_add_u64 v[26:27], s[14:15], 1, v[26:27]
	s_delay_alu instid0(VALU_DEP_2) | instskip(NEXT) | instid1(VALU_DEP_2)
	v_and_b32_e32 v32, 0x7f800000, v31
	v_lshl_add_u64 v[28:29], v[0:1], 1, v[26:27]
	s_delay_alu instid0(VALU_DEP_2) | instskip(SKIP_3) | instid1(SALU_CYCLE_1)
	v_cmp_ne_u32_e32 vcc_lo, 0x7f800000, v32
	global_store_d16_hi_b16 v[28:29], v30, off
                                        ; implicit-def: $vgpr32
	s_wait_xcnt 0x0
	s_and_saveexec_b32 s19, vcc_lo
	s_xor_b32 s19, exec_lo, s19
; %bb.45:                               ;   in Loop: Header=BB423_4 Depth=1
	v_bfe_u32 v30, v31, 16, 1
	s_delay_alu instid0(VALU_DEP_1)
	v_add3_u32 v32, v31, v30, 0x7fff
                                        ; implicit-def: $vgpr31
; %bb.46:                               ;   in Loop: Header=BB423_4 Depth=1
	s_and_not1_saveexec_b32 s19, s19
; %bb.47:                               ;   in Loop: Header=BB423_4 Depth=1
	v_and_b32_e32 v30, 0xffff, v31
	v_or_b32_e32 v32, 0x10000, v31
	s_delay_alu instid0(VALU_DEP_2) | instskip(NEXT) | instid1(VALU_DEP_2)
	v_cmp_eq_u32_e32 vcc_lo, 0, v30
	v_cndmask_b32_e32 v32, v32, v31, vcc_lo
; %bb.48:                               ;   in Loop: Header=BB423_4 Depth=1
	s_or_b32 exec_lo, exec_lo, s19
	v_mul_f32_e32 v30, s2, v14
	global_store_d16_hi_b16 v[28:29], v32, off offset:32
	v_and_b32_e32 v31, 0x7f800000, v30
	s_delay_alu instid0(VALU_DEP_1) | instskip(SKIP_2) | instid1(SALU_CYCLE_1)
	v_cmp_ne_u32_e32 vcc_lo, 0x7f800000, v31
                                        ; implicit-def: $vgpr31
	s_wait_xcnt 0x0
	s_and_saveexec_b32 s19, vcc_lo
	s_xor_b32 s19, exec_lo, s19
; %bb.49:                               ;   in Loop: Header=BB423_4 Depth=1
	v_bfe_u32 v31, v30, 16, 1
	s_delay_alu instid0(VALU_DEP_1)
	v_add3_u32 v31, v30, v31, 0x7fff
                                        ; implicit-def: $vgpr30
; %bb.50:                               ;   in Loop: Header=BB423_4 Depth=1
	s_and_not1_saveexec_b32 s19, s19
; %bb.51:                               ;   in Loop: Header=BB423_4 Depth=1
	v_and_b32_e32 v31, 0xffff, v30
	v_or_b32_e32 v32, 0x10000, v30
	s_delay_alu instid0(VALU_DEP_2) | instskip(NEXT) | instid1(VALU_DEP_2)
	v_cmp_eq_u32_e32 vcc_lo, 0, v31
	v_cndmask_b32_e32 v31, v32, v30, vcc_lo
; %bb.52:                               ;   in Loop: Header=BB423_4 Depth=1
	s_or_b32 exec_lo, exec_lo, s19
	v_mul_f32_e32 v30, s2, v15
	s_mov_b32 s19, exec_lo
	global_store_d16_hi_b16 v[28:29], v31, off offset:64
                                        ; implicit-def: $vgpr31
	v_and_b32_e32 v32, 0x7f800000, v30
	s_wait_xcnt 0x0
	s_delay_alu instid0(VALU_DEP_1)
	v_cmpx_ne_u32_e32 0x7f800000, v32
	s_xor_b32 s19, exec_lo, s19
; %bb.53:                               ;   in Loop: Header=BB423_4 Depth=1
	v_bfe_u32 v31, v30, 16, 1
	s_delay_alu instid0(VALU_DEP_1)
	v_add3_u32 v31, v30, v31, 0x7fff
                                        ; implicit-def: $vgpr30
; %bb.54:                               ;   in Loop: Header=BB423_4 Depth=1
	s_and_not1_saveexec_b32 s19, s19
; %bb.55:                               ;   in Loop: Header=BB423_4 Depth=1
	v_and_b32_e32 v31, 0xffff, v30
	v_or_b32_e32 v32, 0x10000, v30
	s_delay_alu instid0(VALU_DEP_2) | instskip(NEXT) | instid1(VALU_DEP_2)
	v_cmp_eq_u32_e32 vcc_lo, 0, v31
	v_cndmask_b32_e32 v31, v32, v30, vcc_lo
; %bb.56:                               ;   in Loop: Header=BB423_4 Depth=1
	s_or_b32 exec_lo, exec_lo, s19
	v_mul_f32_e32 v30, s2, v12
	s_mov_b32 s19, exec_lo
	global_store_d16_hi_b16 v[28:29], v31, off offset:96
                                        ; implicit-def: $vgpr28
	v_and_b32_e32 v32, 0x7f800000, v30
	s_wait_xcnt 0x0
	s_delay_alu instid0(VALU_DEP_1)
	v_cmpx_ne_u32_e32 0x7f800000, v32
	s_xor_b32 s19, exec_lo, s19
; %bb.57:                               ;   in Loop: Header=BB423_4 Depth=1
	v_bfe_u32 v28, v30, 16, 1
	s_delay_alu instid0(VALU_DEP_1)
	v_add3_u32 v28, v30, v28, 0x7fff
                                        ; implicit-def: $vgpr30
; %bb.58:                               ;   in Loop: Header=BB423_4 Depth=1
	s_and_not1_saveexec_b32 s19, s19
; %bb.59:                               ;   in Loop: Header=BB423_4 Depth=1
	v_and_b32_e32 v28, 0xffff, v30
	v_or_b32_e32 v29, 0x10000, v30
	s_delay_alu instid0(VALU_DEP_2) | instskip(NEXT) | instid1(VALU_DEP_2)
	v_cmp_eq_u32_e32 vcc_lo, 0, v28
	v_cndmask_b32_e32 v28, v29, v30, vcc_lo
; %bb.60:                               ;   in Loop: Header=BB423_4 Depth=1
	s_or_b32 exec_lo, exec_lo, s19
	v_mul_f32_e32 v29, s2, v13
	v_lshl_add_u64 v[26:27], s[14:15], 1, v[26:27]
	s_delay_alu instid0(VALU_DEP_2) | instskip(NEXT) | instid1(VALU_DEP_2)
	v_and_b32_e32 v30, 0x7f800000, v29
	v_lshl_add_u64 v[26:27], v[0:1], 1, v[26:27]
	s_delay_alu instid0(VALU_DEP_2) | instskip(SKIP_3) | instid1(SALU_CYCLE_1)
	v_cmp_ne_u32_e32 vcc_lo, 0x7f800000, v30
	global_store_d16_hi_b16 v[26:27], v28, off
                                        ; implicit-def: $vgpr30
	s_wait_xcnt 0x0
	s_and_saveexec_b32 s19, vcc_lo
	s_xor_b32 s19, exec_lo, s19
; %bb.61:                               ;   in Loop: Header=BB423_4 Depth=1
	v_bfe_u32 v28, v29, 16, 1
	s_delay_alu instid0(VALU_DEP_1)
	v_add3_u32 v30, v29, v28, 0x7fff
                                        ; implicit-def: $vgpr29
; %bb.62:                               ;   in Loop: Header=BB423_4 Depth=1
	s_and_not1_saveexec_b32 s19, s19
; %bb.63:                               ;   in Loop: Header=BB423_4 Depth=1
	v_and_b32_e32 v28, 0xffff, v29
	v_or_b32_e32 v30, 0x10000, v29
	s_delay_alu instid0(VALU_DEP_2) | instskip(NEXT) | instid1(VALU_DEP_2)
	v_cmp_eq_u32_e32 vcc_lo, 0, v28
	v_cndmask_b32_e32 v30, v30, v29, vcc_lo
; %bb.64:                               ;   in Loop: Header=BB423_4 Depth=1
	s_or_b32 exec_lo, exec_lo, s19
	v_mul_f32_e32 v28, s2, v10
	global_store_d16_hi_b16 v[26:27], v30, off offset:32
	v_and_b32_e32 v29, 0x7f800000, v28
	s_delay_alu instid0(VALU_DEP_1) | instskip(SKIP_2) | instid1(SALU_CYCLE_1)
	v_cmp_ne_u32_e32 vcc_lo, 0x7f800000, v29
                                        ; implicit-def: $vgpr29
	s_wait_xcnt 0x0
	s_and_saveexec_b32 s19, vcc_lo
	s_xor_b32 s19, exec_lo, s19
; %bb.65:                               ;   in Loop: Header=BB423_4 Depth=1
	v_bfe_u32 v29, v28, 16, 1
	s_delay_alu instid0(VALU_DEP_1)
	v_add3_u32 v29, v28, v29, 0x7fff
                                        ; implicit-def: $vgpr28
; %bb.66:                               ;   in Loop: Header=BB423_4 Depth=1
	s_and_not1_saveexec_b32 s19, s19
; %bb.67:                               ;   in Loop: Header=BB423_4 Depth=1
	v_and_b32_e32 v29, 0xffff, v28
	v_or_b32_e32 v30, 0x10000, v28
	s_delay_alu instid0(VALU_DEP_2) | instskip(NEXT) | instid1(VALU_DEP_2)
	v_cmp_eq_u32_e32 vcc_lo, 0, v29
	v_cndmask_b32_e32 v29, v30, v28, vcc_lo
; %bb.68:                               ;   in Loop: Header=BB423_4 Depth=1
	s_or_b32 exec_lo, exec_lo, s19
	v_mul_f32_e32 v28, s2, v11
	s_mov_b32 s19, exec_lo
	global_store_d16_hi_b16 v[26:27], v29, off offset:64
                                        ; implicit-def: $vgpr29
	v_and_b32_e32 v30, 0x7f800000, v28
	s_wait_xcnt 0x0
	s_delay_alu instid0(VALU_DEP_1)
	v_cmpx_ne_u32_e32 0x7f800000, v30
	s_xor_b32 s19, exec_lo, s19
; %bb.69:                               ;   in Loop: Header=BB423_4 Depth=1
	v_bfe_u32 v29, v28, 16, 1
	s_delay_alu instid0(VALU_DEP_1)
	v_add3_u32 v29, v28, v29, 0x7fff
                                        ; implicit-def: $vgpr28
; %bb.70:                               ;   in Loop: Header=BB423_4 Depth=1
	s_and_not1_saveexec_b32 s19, s19
; %bb.71:                               ;   in Loop: Header=BB423_4 Depth=1
	v_and_b32_e32 v29, 0xffff, v28
	v_or_b32_e32 v30, 0x10000, v28
	s_delay_alu instid0(VALU_DEP_2) | instskip(NEXT) | instid1(VALU_DEP_2)
	v_cmp_eq_u32_e32 vcc_lo, 0, v29
	v_cndmask_b32_e32 v29, v30, v28, vcc_lo
; %bb.72:                               ;   in Loop: Header=BB423_4 Depth=1
	s_or_b32 exec_lo, exec_lo, s19
	global_store_d16_hi_b16 v[26:27], v29, off offset:96
	s_branch .LBB423_3
.LBB423_73:                             ;   in Loop: Header=BB423_4 Depth=1
	s_cbranch_execz .LBB423_3
; %bb.74:                               ;   in Loop: Header=BB423_4 Depth=1
	s_mul_u64 s[20:21], s[8:9], s[28:29]
	s_wait_xcnt 0x0
	v_lshl_add_u64 v[26:27], s[20:21], 1, v[4:5]
	s_delay_alu instid0(VALU_DEP_1) | instskip(SKIP_3) | instid1(VALU_DEP_1)
	v_lshl_add_u64 v[30:31], v[0:1], 1, v[26:27]
	global_load_u16 v28, v[30:31], off
	s_wait_loadcnt 0x0
	v_lshlrev_b32_e32 v28, 16, v28
	v_mul_f32_e32 v28, s30, v28
	s_delay_alu instid0(VALU_DEP_1) | instskip(NEXT) | instid1(VALU_DEP_1)
	v_and_b32_e32 v29, 0x7f800000, v28
	v_cmp_ne_u32_e32 vcc_lo, 0x7f800000, v29
                                        ; implicit-def: $vgpr29
	s_wait_xcnt 0x0
	s_and_saveexec_b32 s19, vcc_lo
	s_delay_alu instid0(SALU_CYCLE_1)
	s_xor_b32 s19, exec_lo, s19
; %bb.75:                               ;   in Loop: Header=BB423_4 Depth=1
	v_bfe_u32 v29, v28, 16, 1
	s_delay_alu instid0(VALU_DEP_1)
	v_add3_u32 v29, v28, v29, 0x7fff
                                        ; implicit-def: $vgpr28
; %bb.76:                               ;   in Loop: Header=BB423_4 Depth=1
	s_and_not1_saveexec_b32 s19, s19
; %bb.77:                               ;   in Loop: Header=BB423_4 Depth=1
	v_and_b32_e32 v29, 0xffff, v28
	v_or_b32_e32 v32, 0x10000, v28
	s_delay_alu instid0(VALU_DEP_2) | instskip(NEXT) | instid1(VALU_DEP_2)
	v_cmp_eq_u32_e32 vcc_lo, 0, v29
	v_cndmask_b32_e32 v29, v32, v28, vcc_lo
; %bb.78:                               ;   in Loop: Header=BB423_4 Depth=1
	s_or_b32 exec_lo, exec_lo, s19
	s_delay_alu instid0(VALU_DEP_1) | instskip(SKIP_1) | instid1(VALU_DEP_1)
	v_fma_mix_f32_bf16 v24, s2, v24, v29 op_sel:[0,0,1] op_sel_hi:[0,0,1]
	s_mov_b32 s19, exec_lo
                                        ; implicit-def: $vgpr38
	v_and_b32_e32 v28, 0x7f800000, v24
	s_delay_alu instid0(VALU_DEP_1)
	v_cmpx_ne_u32_e32 0x7f800000, v28
	s_xor_b32 s19, exec_lo, s19
; %bb.79:                               ;   in Loop: Header=BB423_4 Depth=1
	v_bfe_u32 v28, v24, 16, 1
	s_delay_alu instid0(VALU_DEP_1)
	v_add3_u32 v38, v24, v28, 0x7fff
                                        ; implicit-def: $vgpr24
; %bb.80:                               ;   in Loop: Header=BB423_4 Depth=1
	s_and_not1_saveexec_b32 s19, s19
; %bb.81:                               ;   in Loop: Header=BB423_4 Depth=1
	v_and_b32_e32 v28, 0xffff, v24
	v_or_b32_e32 v29, 0x10000, v24
	s_delay_alu instid0(VALU_DEP_2) | instskip(NEXT) | instid1(VALU_DEP_2)
	v_cmp_eq_u32_e32 vcc_lo, 0, v28
	v_cndmask_b32_e32 v38, v29, v24, vcc_lo
; %bb.82:                               ;   in Loop: Header=BB423_4 Depth=1
	s_or_b32 exec_lo, exec_lo, s19
	v_lshl_add_u64 v[28:29], v[2:3], 1, s[16:17]
	s_delay_alu instid0(VALU_DEP_1) | instskip(SKIP_4) | instid1(VALU_DEP_1)
	v_lshl_add_u64 v[32:33], v[0:1], 1, v[28:29]
	global_store_d16_hi_b16 v[32:33], v38, off
	global_load_u16 v24, v[30:31], off offset:32
	s_wait_loadcnt 0x0
	v_lshlrev_b32_e32 v24, 16, v24
	v_mul_f32_e32 v24, s30, v24
	s_wait_xcnt 0x1
	s_delay_alu instid0(VALU_DEP_1) | instskip(NEXT) | instid1(VALU_DEP_1)
	v_and_b32_e32 v38, 0x7f800000, v24
	v_cmp_ne_u32_e32 vcc_lo, 0x7f800000, v38
                                        ; implicit-def: $vgpr38
	s_wait_xcnt 0x0
	s_and_saveexec_b32 s16, vcc_lo
	s_delay_alu instid0(SALU_CYCLE_1)
	s_xor_b32 s16, exec_lo, s16
; %bb.83:                               ;   in Loop: Header=BB423_4 Depth=1
	v_bfe_u32 v38, v24, 16, 1
	s_delay_alu instid0(VALU_DEP_1)
	v_add3_u32 v38, v24, v38, 0x7fff
                                        ; implicit-def: $vgpr24
; %bb.84:                               ;   in Loop: Header=BB423_4 Depth=1
	s_and_not1_saveexec_b32 s16, s16
; %bb.85:                               ;   in Loop: Header=BB423_4 Depth=1
	v_and_b32_e32 v38, 0xffff, v24
	v_or_b32_e32 v39, 0x10000, v24
	s_delay_alu instid0(VALU_DEP_2) | instskip(NEXT) | instid1(VALU_DEP_2)
	v_cmp_eq_u32_e32 vcc_lo, 0, v38
	v_cndmask_b32_e32 v38, v39, v24, vcc_lo
; %bb.86:                               ;   in Loop: Header=BB423_4 Depth=1
	s_or_b32 exec_lo, exec_lo, s16
	s_delay_alu instid0(VALU_DEP_1) | instskip(NEXT) | instid1(VALU_DEP_1)
	v_fma_mix_f32_bf16 v24, s2, v25, v38 op_sel:[0,0,1] op_sel_hi:[0,0,1]
	v_and_b32_e32 v25, 0x7f800000, v24
	s_delay_alu instid0(VALU_DEP_1) | instskip(SKIP_1) | instid1(SALU_CYCLE_1)
	v_cmp_ne_u32_e32 vcc_lo, 0x7f800000, v25
                                        ; implicit-def: $vgpr25
	s_and_saveexec_b32 s16, vcc_lo
	s_xor_b32 s16, exec_lo, s16
; %bb.87:                               ;   in Loop: Header=BB423_4 Depth=1
	v_bfe_u32 v25, v24, 16, 1
	s_delay_alu instid0(VALU_DEP_1)
	v_add3_u32 v25, v24, v25, 0x7fff
                                        ; implicit-def: $vgpr24
; %bb.88:                               ;   in Loop: Header=BB423_4 Depth=1
	s_and_not1_saveexec_b32 s16, s16
; %bb.89:                               ;   in Loop: Header=BB423_4 Depth=1
	v_and_b32_e32 v25, 0xffff, v24
	v_or_b32_e32 v38, 0x10000, v24
	s_delay_alu instid0(VALU_DEP_2) | instskip(NEXT) | instid1(VALU_DEP_2)
	v_cmp_eq_u32_e32 vcc_lo, 0, v25
	v_cndmask_b32_e32 v25, v38, v24, vcc_lo
; %bb.90:                               ;   in Loop: Header=BB423_4 Depth=1
	s_or_b32 exec_lo, exec_lo, s16
	global_store_d16_hi_b16 v[32:33], v25, off offset:32
	global_load_u16 v24, v[30:31], off offset:64
	s_wait_loadcnt 0x0
	v_lshlrev_b32_e32 v24, 16, v24
	s_delay_alu instid0(VALU_DEP_1) | instskip(SKIP_1) | instid1(VALU_DEP_1)
	v_mul_f32_e32 v24, s30, v24
	s_wait_xcnt 0x1
	v_and_b32_e32 v25, 0x7f800000, v24
	s_delay_alu instid0(VALU_DEP_1) | instskip(SKIP_2) | instid1(SALU_CYCLE_1)
	v_cmp_ne_u32_e32 vcc_lo, 0x7f800000, v25
                                        ; implicit-def: $vgpr25
	s_wait_xcnt 0x0
	s_and_saveexec_b32 s16, vcc_lo
	s_xor_b32 s16, exec_lo, s16
; %bb.91:                               ;   in Loop: Header=BB423_4 Depth=1
	v_bfe_u32 v25, v24, 16, 1
	s_delay_alu instid0(VALU_DEP_1)
	v_add3_u32 v25, v24, v25, 0x7fff
                                        ; implicit-def: $vgpr24
; %bb.92:                               ;   in Loop: Header=BB423_4 Depth=1
	s_and_not1_saveexec_b32 s16, s16
; %bb.93:                               ;   in Loop: Header=BB423_4 Depth=1
	v_and_b32_e32 v25, 0xffff, v24
	v_or_b32_e32 v38, 0x10000, v24
	s_delay_alu instid0(VALU_DEP_2) | instskip(NEXT) | instid1(VALU_DEP_2)
	v_cmp_eq_u32_e32 vcc_lo, 0, v25
	v_cndmask_b32_e32 v25, v38, v24, vcc_lo
; %bb.94:                               ;   in Loop: Header=BB423_4 Depth=1
	s_or_b32 exec_lo, exec_lo, s16
	s_delay_alu instid0(VALU_DEP_1) | instskip(NEXT) | instid1(VALU_DEP_1)
	v_fma_mix_f32_bf16 v22, s2, v22, v25 op_sel:[0,0,1] op_sel_hi:[0,0,1]
	v_and_b32_e32 v24, 0x7f800000, v22
	s_delay_alu instid0(VALU_DEP_1) | instskip(SKIP_1) | instid1(SALU_CYCLE_1)
	v_cmp_ne_u32_e32 vcc_lo, 0x7f800000, v24
                                        ; implicit-def: $vgpr24
	s_and_saveexec_b32 s16, vcc_lo
	s_xor_b32 s16, exec_lo, s16
; %bb.95:                               ;   in Loop: Header=BB423_4 Depth=1
	v_bfe_u32 v24, v22, 16, 1
	s_delay_alu instid0(VALU_DEP_1)
	v_add3_u32 v24, v22, v24, 0x7fff
                                        ; implicit-def: $vgpr22
; %bb.96:                               ;   in Loop: Header=BB423_4 Depth=1
	s_and_not1_saveexec_b32 s16, s16
; %bb.97:                               ;   in Loop: Header=BB423_4 Depth=1
	v_and_b32_e32 v24, 0xffff, v22
	v_or_b32_e32 v25, 0x10000, v22
	s_delay_alu instid0(VALU_DEP_2) | instskip(NEXT) | instid1(VALU_DEP_2)
	v_cmp_eq_u32_e32 vcc_lo, 0, v24
	v_cndmask_b32_e32 v24, v25, v22, vcc_lo
; %bb.98:                               ;   in Loop: Header=BB423_4 Depth=1
	s_or_b32 exec_lo, exec_lo, s16
	global_store_d16_hi_b16 v[32:33], v24, off offset:64
	global_load_u16 v22, v[30:31], off offset:96
	s_wait_loadcnt 0x0
	v_lshlrev_b32_e32 v22, 16, v22
	s_delay_alu instid0(VALU_DEP_1) | instskip(SKIP_1) | instid1(VALU_DEP_1)
	v_mul_f32_e32 v22, s30, v22
	s_wait_xcnt 0x1
	v_and_b32_e32 v24, 0x7f800000, v22
	s_delay_alu instid0(VALU_DEP_1) | instskip(SKIP_2) | instid1(SALU_CYCLE_1)
	v_cmp_ne_u32_e32 vcc_lo, 0x7f800000, v24
                                        ; implicit-def: $vgpr24
	s_wait_xcnt 0x0
	s_and_saveexec_b32 s16, vcc_lo
	s_xor_b32 s16, exec_lo, s16
; %bb.99:                               ;   in Loop: Header=BB423_4 Depth=1
	v_bfe_u32 v24, v22, 16, 1
	s_delay_alu instid0(VALU_DEP_1)
	v_add3_u32 v24, v22, v24, 0x7fff
                                        ; implicit-def: $vgpr22
; %bb.100:                              ;   in Loop: Header=BB423_4 Depth=1
	s_and_not1_saveexec_b32 s16, s16
; %bb.101:                              ;   in Loop: Header=BB423_4 Depth=1
	v_and_b32_e32 v24, 0xffff, v22
	v_or_b32_e32 v25, 0x10000, v22
	s_delay_alu instid0(VALU_DEP_2) | instskip(NEXT) | instid1(VALU_DEP_2)
	v_cmp_eq_u32_e32 vcc_lo, 0, v24
	v_cndmask_b32_e32 v24, v25, v22, vcc_lo
; %bb.102:                              ;   in Loop: Header=BB423_4 Depth=1
	s_or_b32 exec_lo, exec_lo, s16
	s_delay_alu instid0(VALU_DEP_1) | instskip(SKIP_1) | instid1(VALU_DEP_1)
	v_fma_mix_f32_bf16 v22, s2, v23, v24 op_sel:[0,0,1] op_sel_hi:[0,0,1]
	s_mov_b32 s16, exec_lo
                                        ; implicit-def: $vgpr24
	v_and_b32_e32 v23, 0x7f800000, v22
	s_delay_alu instid0(VALU_DEP_1)
	v_cmpx_ne_u32_e32 0x7f800000, v23
	s_xor_b32 s16, exec_lo, s16
; %bb.103:                              ;   in Loop: Header=BB423_4 Depth=1
	v_bfe_u32 v23, v22, 16, 1
	s_delay_alu instid0(VALU_DEP_1)
	v_add3_u32 v24, v22, v23, 0x7fff
                                        ; implicit-def: $vgpr22
; %bb.104:                              ;   in Loop: Header=BB423_4 Depth=1
	s_and_not1_saveexec_b32 s16, s16
; %bb.105:                              ;   in Loop: Header=BB423_4 Depth=1
	v_and_b32_e32 v23, 0xffff, v22
	v_or_b32_e32 v24, 0x10000, v22
	s_delay_alu instid0(VALU_DEP_2) | instskip(NEXT) | instid1(VALU_DEP_2)
	v_cmp_eq_u32_e32 vcc_lo, 0, v23
	v_cndmask_b32_e32 v24, v24, v22, vcc_lo
; %bb.106:                              ;   in Loop: Header=BB423_4 Depth=1
	s_or_b32 exec_lo, exec_lo, s16
	v_lshl_add_u64 v[22:23], s[4:5], 1, v[26:27]
	global_store_d16_hi_b16 v[32:33], v24, off offset:96
	v_lshl_add_u64 v[26:27], v[0:1], 1, v[22:23]
	global_load_u16 v24, v[26:27], off
	s_wait_loadcnt 0x0
	v_lshlrev_b32_e32 v24, 16, v24
	s_delay_alu instid0(VALU_DEP_1) | instskip(NEXT) | instid1(VALU_DEP_1)
	v_mul_f32_e32 v24, s30, v24
	v_and_b32_e32 v25, 0x7f800000, v24
	s_delay_alu instid0(VALU_DEP_1) | instskip(SKIP_2) | instid1(SALU_CYCLE_1)
	v_cmp_ne_u32_e32 vcc_lo, 0x7f800000, v25
                                        ; implicit-def: $vgpr25
	s_wait_xcnt 0x0
	s_and_saveexec_b32 s16, vcc_lo
	s_xor_b32 s16, exec_lo, s16
; %bb.107:                              ;   in Loop: Header=BB423_4 Depth=1
	v_bfe_u32 v25, v24, 16, 1
	s_delay_alu instid0(VALU_DEP_1)
	v_add3_u32 v25, v24, v25, 0x7fff
                                        ; implicit-def: $vgpr24
; %bb.108:                              ;   in Loop: Header=BB423_4 Depth=1
	s_and_not1_saveexec_b32 s16, s16
; %bb.109:                              ;   in Loop: Header=BB423_4 Depth=1
	v_and_b32_e32 v25, 0xffff, v24
	v_or_b32_e32 v30, 0x10000, v24
	s_delay_alu instid0(VALU_DEP_2) | instskip(NEXT) | instid1(VALU_DEP_2)
	v_cmp_eq_u32_e32 vcc_lo, 0, v25
	v_cndmask_b32_e32 v25, v30, v24, vcc_lo
; %bb.110:                              ;   in Loop: Header=BB423_4 Depth=1
	s_or_b32 exec_lo, exec_lo, s16
	s_delay_alu instid0(VALU_DEP_1) | instskip(SKIP_1) | instid1(VALU_DEP_1)
	v_fma_mix_f32_bf16 v20, s2, v20, v25 op_sel:[0,0,1] op_sel_hi:[0,0,1]
	s_mov_b32 s16, exec_lo
                                        ; implicit-def: $vgpr30
	v_and_b32_e32 v24, 0x7f800000, v20
	s_delay_alu instid0(VALU_DEP_1)
	v_cmpx_ne_u32_e32 0x7f800000, v24
	s_xor_b32 s16, exec_lo, s16
; %bb.111:                              ;   in Loop: Header=BB423_4 Depth=1
	v_bfe_u32 v24, v20, 16, 1
	s_delay_alu instid0(VALU_DEP_1)
	v_add3_u32 v30, v20, v24, 0x7fff
                                        ; implicit-def: $vgpr20
; %bb.112:                              ;   in Loop: Header=BB423_4 Depth=1
	s_and_not1_saveexec_b32 s16, s16
; %bb.113:                              ;   in Loop: Header=BB423_4 Depth=1
	v_and_b32_e32 v24, 0xffff, v20
	v_or_b32_e32 v25, 0x10000, v20
	s_delay_alu instid0(VALU_DEP_2) | instskip(NEXT) | instid1(VALU_DEP_2)
	v_cmp_eq_u32_e32 vcc_lo, 0, v24
	v_cndmask_b32_e32 v30, v25, v20, vcc_lo
; %bb.114:                              ;   in Loop: Header=BB423_4 Depth=1
	s_or_b32 exec_lo, exec_lo, s16
	v_lshl_add_u64 v[24:25], s[14:15], 1, v[28:29]
	s_delay_alu instid0(VALU_DEP_1) | instskip(SKIP_4) | instid1(VALU_DEP_1)
	v_lshl_add_u64 v[28:29], v[0:1], 1, v[24:25]
	global_store_d16_hi_b16 v[28:29], v30, off
	global_load_u16 v20, v[26:27], off offset:32
	s_wait_loadcnt 0x0
	v_lshlrev_b32_e32 v20, 16, v20
	v_mul_f32_e32 v20, s30, v20
	s_wait_xcnt 0x1
	s_delay_alu instid0(VALU_DEP_1) | instskip(NEXT) | instid1(VALU_DEP_1)
	v_and_b32_e32 v30, 0x7f800000, v20
	v_cmp_ne_u32_e32 vcc_lo, 0x7f800000, v30
                                        ; implicit-def: $vgpr30
	s_wait_xcnt 0x0
	s_and_saveexec_b32 s16, vcc_lo
	s_delay_alu instid0(SALU_CYCLE_1)
	s_xor_b32 s16, exec_lo, s16
; %bb.115:                              ;   in Loop: Header=BB423_4 Depth=1
	v_bfe_u32 v30, v20, 16, 1
	s_delay_alu instid0(VALU_DEP_1)
	v_add3_u32 v30, v20, v30, 0x7fff
                                        ; implicit-def: $vgpr20
; %bb.116:                              ;   in Loop: Header=BB423_4 Depth=1
	s_and_not1_saveexec_b32 s16, s16
; %bb.117:                              ;   in Loop: Header=BB423_4 Depth=1
	v_and_b32_e32 v30, 0xffff, v20
	v_or_b32_e32 v31, 0x10000, v20
	s_delay_alu instid0(VALU_DEP_2) | instskip(NEXT) | instid1(VALU_DEP_2)
	v_cmp_eq_u32_e32 vcc_lo, 0, v30
	v_cndmask_b32_e32 v30, v31, v20, vcc_lo
; %bb.118:                              ;   in Loop: Header=BB423_4 Depth=1
	s_or_b32 exec_lo, exec_lo, s16
	s_delay_alu instid0(VALU_DEP_1) | instskip(NEXT) | instid1(VALU_DEP_1)
	v_fma_mix_f32_bf16 v20, s2, v21, v30 op_sel:[0,0,1] op_sel_hi:[0,0,1]
	v_and_b32_e32 v21, 0x7f800000, v20
	s_delay_alu instid0(VALU_DEP_1) | instskip(SKIP_1) | instid1(SALU_CYCLE_1)
	v_cmp_ne_u32_e32 vcc_lo, 0x7f800000, v21
                                        ; implicit-def: $vgpr21
	s_and_saveexec_b32 s16, vcc_lo
	s_xor_b32 s16, exec_lo, s16
; %bb.119:                              ;   in Loop: Header=BB423_4 Depth=1
	v_bfe_u32 v21, v20, 16, 1
	s_delay_alu instid0(VALU_DEP_1)
	v_add3_u32 v21, v20, v21, 0x7fff
                                        ; implicit-def: $vgpr20
; %bb.120:                              ;   in Loop: Header=BB423_4 Depth=1
	s_and_not1_saveexec_b32 s16, s16
; %bb.121:                              ;   in Loop: Header=BB423_4 Depth=1
	v_and_b32_e32 v21, 0xffff, v20
	v_or_b32_e32 v30, 0x10000, v20
	s_delay_alu instid0(VALU_DEP_2) | instskip(NEXT) | instid1(VALU_DEP_2)
	v_cmp_eq_u32_e32 vcc_lo, 0, v21
	v_cndmask_b32_e32 v21, v30, v20, vcc_lo
; %bb.122:                              ;   in Loop: Header=BB423_4 Depth=1
	s_or_b32 exec_lo, exec_lo, s16
	global_store_d16_hi_b16 v[28:29], v21, off offset:32
	global_load_u16 v20, v[26:27], off offset:64
	s_wait_loadcnt 0x0
	v_lshlrev_b32_e32 v20, 16, v20
	s_delay_alu instid0(VALU_DEP_1) | instskip(SKIP_1) | instid1(VALU_DEP_1)
	v_mul_f32_e32 v20, s30, v20
	s_wait_xcnt 0x1
	v_and_b32_e32 v21, 0x7f800000, v20
	s_delay_alu instid0(VALU_DEP_1) | instskip(SKIP_2) | instid1(SALU_CYCLE_1)
	v_cmp_ne_u32_e32 vcc_lo, 0x7f800000, v21
                                        ; implicit-def: $vgpr21
	s_wait_xcnt 0x0
	s_and_saveexec_b32 s16, vcc_lo
	s_xor_b32 s16, exec_lo, s16
; %bb.123:                              ;   in Loop: Header=BB423_4 Depth=1
	v_bfe_u32 v21, v20, 16, 1
	s_delay_alu instid0(VALU_DEP_1)
	v_add3_u32 v21, v20, v21, 0x7fff
                                        ; implicit-def: $vgpr20
; %bb.124:                              ;   in Loop: Header=BB423_4 Depth=1
	s_and_not1_saveexec_b32 s16, s16
; %bb.125:                              ;   in Loop: Header=BB423_4 Depth=1
	v_and_b32_e32 v21, 0xffff, v20
	v_or_b32_e32 v30, 0x10000, v20
	s_delay_alu instid0(VALU_DEP_2) | instskip(NEXT) | instid1(VALU_DEP_2)
	v_cmp_eq_u32_e32 vcc_lo, 0, v21
	v_cndmask_b32_e32 v21, v30, v20, vcc_lo
; %bb.126:                              ;   in Loop: Header=BB423_4 Depth=1
	s_or_b32 exec_lo, exec_lo, s16
	s_delay_alu instid0(VALU_DEP_1) | instskip(NEXT) | instid1(VALU_DEP_1)
	v_fma_mix_f32_bf16 v18, s2, v18, v21 op_sel:[0,0,1] op_sel_hi:[0,0,1]
	v_and_b32_e32 v20, 0x7f800000, v18
	s_delay_alu instid0(VALU_DEP_1) | instskip(SKIP_1) | instid1(SALU_CYCLE_1)
	v_cmp_ne_u32_e32 vcc_lo, 0x7f800000, v20
                                        ; implicit-def: $vgpr20
	s_and_saveexec_b32 s16, vcc_lo
	s_xor_b32 s16, exec_lo, s16
; %bb.127:                              ;   in Loop: Header=BB423_4 Depth=1
	v_bfe_u32 v20, v18, 16, 1
	s_delay_alu instid0(VALU_DEP_1)
	v_add3_u32 v20, v18, v20, 0x7fff
                                        ; implicit-def: $vgpr18
; %bb.128:                              ;   in Loop: Header=BB423_4 Depth=1
	s_and_not1_saveexec_b32 s16, s16
; %bb.129:                              ;   in Loop: Header=BB423_4 Depth=1
	v_and_b32_e32 v20, 0xffff, v18
	v_or_b32_e32 v21, 0x10000, v18
	s_delay_alu instid0(VALU_DEP_2) | instskip(NEXT) | instid1(VALU_DEP_2)
	v_cmp_eq_u32_e32 vcc_lo, 0, v20
	v_cndmask_b32_e32 v20, v21, v18, vcc_lo
; %bb.130:                              ;   in Loop: Header=BB423_4 Depth=1
	s_or_b32 exec_lo, exec_lo, s16
	global_store_d16_hi_b16 v[28:29], v20, off offset:64
	global_load_u16 v18, v[26:27], off offset:96
	s_wait_loadcnt 0x0
	v_lshlrev_b32_e32 v18, 16, v18
	s_delay_alu instid0(VALU_DEP_1) | instskip(SKIP_1) | instid1(VALU_DEP_1)
	v_mul_f32_e32 v18, s30, v18
	s_wait_xcnt 0x1
	v_and_b32_e32 v20, 0x7f800000, v18
	s_delay_alu instid0(VALU_DEP_1) | instskip(SKIP_2) | instid1(SALU_CYCLE_1)
	v_cmp_ne_u32_e32 vcc_lo, 0x7f800000, v20
                                        ; implicit-def: $vgpr20
	s_wait_xcnt 0x0
	s_and_saveexec_b32 s16, vcc_lo
	s_xor_b32 s16, exec_lo, s16
; %bb.131:                              ;   in Loop: Header=BB423_4 Depth=1
	v_bfe_u32 v20, v18, 16, 1
	s_delay_alu instid0(VALU_DEP_1)
	v_add3_u32 v20, v18, v20, 0x7fff
                                        ; implicit-def: $vgpr18
; %bb.132:                              ;   in Loop: Header=BB423_4 Depth=1
	s_and_not1_saveexec_b32 s16, s16
; %bb.133:                              ;   in Loop: Header=BB423_4 Depth=1
	v_and_b32_e32 v20, 0xffff, v18
	v_or_b32_e32 v21, 0x10000, v18
	s_delay_alu instid0(VALU_DEP_2) | instskip(NEXT) | instid1(VALU_DEP_2)
	v_cmp_eq_u32_e32 vcc_lo, 0, v20
	v_cndmask_b32_e32 v20, v21, v18, vcc_lo
; %bb.134:                              ;   in Loop: Header=BB423_4 Depth=1
	s_or_b32 exec_lo, exec_lo, s16
	s_delay_alu instid0(VALU_DEP_1) | instskip(SKIP_1) | instid1(VALU_DEP_1)
	v_fma_mix_f32_bf16 v18, s2, v19, v20 op_sel:[0,0,1] op_sel_hi:[0,0,1]
	s_mov_b32 s16, exec_lo
                                        ; implicit-def: $vgpr20
	v_and_b32_e32 v19, 0x7f800000, v18
	s_delay_alu instid0(VALU_DEP_1)
	v_cmpx_ne_u32_e32 0x7f800000, v19
	s_xor_b32 s16, exec_lo, s16
; %bb.135:                              ;   in Loop: Header=BB423_4 Depth=1
	v_bfe_u32 v19, v18, 16, 1
	s_delay_alu instid0(VALU_DEP_1)
	v_add3_u32 v20, v18, v19, 0x7fff
                                        ; implicit-def: $vgpr18
; %bb.136:                              ;   in Loop: Header=BB423_4 Depth=1
	s_and_not1_saveexec_b32 s16, s16
; %bb.137:                              ;   in Loop: Header=BB423_4 Depth=1
	v_and_b32_e32 v19, 0xffff, v18
	v_or_b32_e32 v20, 0x10000, v18
	s_delay_alu instid0(VALU_DEP_2) | instskip(NEXT) | instid1(VALU_DEP_2)
	v_cmp_eq_u32_e32 vcc_lo, 0, v19
	v_cndmask_b32_e32 v20, v20, v18, vcc_lo
; %bb.138:                              ;   in Loop: Header=BB423_4 Depth=1
	s_or_b32 exec_lo, exec_lo, s16
	v_lshl_add_u64 v[18:19], s[4:5], 1, v[22:23]
	global_store_d16_hi_b16 v[28:29], v20, off offset:96
	v_lshl_add_u64 v[22:23], v[0:1], 1, v[18:19]
	global_load_u16 v20, v[22:23], off
	s_wait_loadcnt 0x0
	v_lshlrev_b32_e32 v20, 16, v20
	s_delay_alu instid0(VALU_DEP_1) | instskip(NEXT) | instid1(VALU_DEP_1)
	v_mul_f32_e32 v20, s30, v20
	v_and_b32_e32 v21, 0x7f800000, v20
	s_delay_alu instid0(VALU_DEP_1) | instskip(SKIP_2) | instid1(SALU_CYCLE_1)
	v_cmp_ne_u32_e32 vcc_lo, 0x7f800000, v21
                                        ; implicit-def: $vgpr21
	s_wait_xcnt 0x0
	s_and_saveexec_b32 s16, vcc_lo
	s_xor_b32 s16, exec_lo, s16
; %bb.139:                              ;   in Loop: Header=BB423_4 Depth=1
	v_bfe_u32 v21, v20, 16, 1
	s_delay_alu instid0(VALU_DEP_1)
	v_add3_u32 v21, v20, v21, 0x7fff
                                        ; implicit-def: $vgpr20
; %bb.140:                              ;   in Loop: Header=BB423_4 Depth=1
	s_and_not1_saveexec_b32 s16, s16
; %bb.141:                              ;   in Loop: Header=BB423_4 Depth=1
	v_and_b32_e32 v21, 0xffff, v20
	v_or_b32_e32 v26, 0x10000, v20
	s_delay_alu instid0(VALU_DEP_2) | instskip(NEXT) | instid1(VALU_DEP_2)
	v_cmp_eq_u32_e32 vcc_lo, 0, v21
	v_cndmask_b32_e32 v21, v26, v20, vcc_lo
; %bb.142:                              ;   in Loop: Header=BB423_4 Depth=1
	s_or_b32 exec_lo, exec_lo, s16
	s_delay_alu instid0(VALU_DEP_1) | instskip(SKIP_1) | instid1(VALU_DEP_1)
	v_fma_mix_f32_bf16 v16, s2, v16, v21 op_sel:[0,0,1] op_sel_hi:[0,0,1]
	s_mov_b32 s16, exec_lo
                                        ; implicit-def: $vgpr26
	v_and_b32_e32 v20, 0x7f800000, v16
	s_delay_alu instid0(VALU_DEP_1)
	v_cmpx_ne_u32_e32 0x7f800000, v20
	s_xor_b32 s16, exec_lo, s16
; %bb.143:                              ;   in Loop: Header=BB423_4 Depth=1
	v_bfe_u32 v20, v16, 16, 1
	s_delay_alu instid0(VALU_DEP_1)
	v_add3_u32 v26, v16, v20, 0x7fff
                                        ; implicit-def: $vgpr16
; %bb.144:                              ;   in Loop: Header=BB423_4 Depth=1
	s_and_not1_saveexec_b32 s16, s16
; %bb.145:                              ;   in Loop: Header=BB423_4 Depth=1
	v_and_b32_e32 v20, 0xffff, v16
	v_or_b32_e32 v21, 0x10000, v16
	s_delay_alu instid0(VALU_DEP_2) | instskip(NEXT) | instid1(VALU_DEP_2)
	v_cmp_eq_u32_e32 vcc_lo, 0, v20
	v_cndmask_b32_e32 v26, v21, v16, vcc_lo
; %bb.146:                              ;   in Loop: Header=BB423_4 Depth=1
	s_or_b32 exec_lo, exec_lo, s16
	v_lshl_add_u64 v[20:21], s[14:15], 1, v[24:25]
	s_delay_alu instid0(VALU_DEP_1) | instskip(SKIP_4) | instid1(VALU_DEP_1)
	v_lshl_add_u64 v[24:25], v[0:1], 1, v[20:21]
	global_store_d16_hi_b16 v[24:25], v26, off
	global_load_u16 v16, v[22:23], off offset:32
	s_wait_loadcnt 0x0
	v_lshlrev_b32_e32 v16, 16, v16
	v_mul_f32_e32 v16, s30, v16
	s_wait_xcnt 0x1
	s_delay_alu instid0(VALU_DEP_1) | instskip(NEXT) | instid1(VALU_DEP_1)
	v_and_b32_e32 v26, 0x7f800000, v16
	v_cmp_ne_u32_e32 vcc_lo, 0x7f800000, v26
                                        ; implicit-def: $vgpr26
	s_wait_xcnt 0x0
	s_and_saveexec_b32 s16, vcc_lo
	s_delay_alu instid0(SALU_CYCLE_1)
	s_xor_b32 s16, exec_lo, s16
; %bb.147:                              ;   in Loop: Header=BB423_4 Depth=1
	v_bfe_u32 v26, v16, 16, 1
	s_delay_alu instid0(VALU_DEP_1)
	v_add3_u32 v26, v16, v26, 0x7fff
                                        ; implicit-def: $vgpr16
; %bb.148:                              ;   in Loop: Header=BB423_4 Depth=1
	s_and_not1_saveexec_b32 s16, s16
; %bb.149:                              ;   in Loop: Header=BB423_4 Depth=1
	v_and_b32_e32 v26, 0xffff, v16
	v_or_b32_e32 v27, 0x10000, v16
	s_delay_alu instid0(VALU_DEP_2) | instskip(NEXT) | instid1(VALU_DEP_2)
	v_cmp_eq_u32_e32 vcc_lo, 0, v26
	v_cndmask_b32_e32 v26, v27, v16, vcc_lo
; %bb.150:                              ;   in Loop: Header=BB423_4 Depth=1
	s_or_b32 exec_lo, exec_lo, s16
	s_delay_alu instid0(VALU_DEP_1) | instskip(NEXT) | instid1(VALU_DEP_1)
	v_fma_mix_f32_bf16 v16, s2, v17, v26 op_sel:[0,0,1] op_sel_hi:[0,0,1]
	v_and_b32_e32 v17, 0x7f800000, v16
	s_delay_alu instid0(VALU_DEP_1) | instskip(SKIP_1) | instid1(SALU_CYCLE_1)
	v_cmp_ne_u32_e32 vcc_lo, 0x7f800000, v17
                                        ; implicit-def: $vgpr17
	s_and_saveexec_b32 s16, vcc_lo
	s_xor_b32 s16, exec_lo, s16
; %bb.151:                              ;   in Loop: Header=BB423_4 Depth=1
	v_bfe_u32 v17, v16, 16, 1
	s_delay_alu instid0(VALU_DEP_1)
	v_add3_u32 v17, v16, v17, 0x7fff
                                        ; implicit-def: $vgpr16
; %bb.152:                              ;   in Loop: Header=BB423_4 Depth=1
	s_and_not1_saveexec_b32 s16, s16
; %bb.153:                              ;   in Loop: Header=BB423_4 Depth=1
	v_and_b32_e32 v17, 0xffff, v16
	v_or_b32_e32 v26, 0x10000, v16
	s_delay_alu instid0(VALU_DEP_2) | instskip(NEXT) | instid1(VALU_DEP_2)
	v_cmp_eq_u32_e32 vcc_lo, 0, v17
	v_cndmask_b32_e32 v17, v26, v16, vcc_lo
; %bb.154:                              ;   in Loop: Header=BB423_4 Depth=1
	s_or_b32 exec_lo, exec_lo, s16
	global_store_d16_hi_b16 v[24:25], v17, off offset:32
	global_load_u16 v16, v[22:23], off offset:64
	s_wait_loadcnt 0x0
	v_lshlrev_b32_e32 v16, 16, v16
	s_delay_alu instid0(VALU_DEP_1) | instskip(SKIP_1) | instid1(VALU_DEP_1)
	v_mul_f32_e32 v16, s30, v16
	s_wait_xcnt 0x1
	v_and_b32_e32 v17, 0x7f800000, v16
	s_delay_alu instid0(VALU_DEP_1) | instskip(SKIP_2) | instid1(SALU_CYCLE_1)
	v_cmp_ne_u32_e32 vcc_lo, 0x7f800000, v17
                                        ; implicit-def: $vgpr17
	s_wait_xcnt 0x0
	s_and_saveexec_b32 s16, vcc_lo
	s_xor_b32 s16, exec_lo, s16
; %bb.155:                              ;   in Loop: Header=BB423_4 Depth=1
	v_bfe_u32 v17, v16, 16, 1
	s_delay_alu instid0(VALU_DEP_1)
	v_add3_u32 v17, v16, v17, 0x7fff
                                        ; implicit-def: $vgpr16
; %bb.156:                              ;   in Loop: Header=BB423_4 Depth=1
	s_and_not1_saveexec_b32 s16, s16
; %bb.157:                              ;   in Loop: Header=BB423_4 Depth=1
	v_and_b32_e32 v17, 0xffff, v16
	v_or_b32_e32 v26, 0x10000, v16
	s_delay_alu instid0(VALU_DEP_2) | instskip(NEXT) | instid1(VALU_DEP_2)
	v_cmp_eq_u32_e32 vcc_lo, 0, v17
	v_cndmask_b32_e32 v17, v26, v16, vcc_lo
; %bb.158:                              ;   in Loop: Header=BB423_4 Depth=1
	s_or_b32 exec_lo, exec_lo, s16
	s_delay_alu instid0(VALU_DEP_1) | instskip(NEXT) | instid1(VALU_DEP_1)
	v_fma_mix_f32_bf16 v14, s2, v14, v17 op_sel:[0,0,1] op_sel_hi:[0,0,1]
	v_and_b32_e32 v16, 0x7f800000, v14
	s_delay_alu instid0(VALU_DEP_1) | instskip(SKIP_1) | instid1(SALU_CYCLE_1)
	v_cmp_ne_u32_e32 vcc_lo, 0x7f800000, v16
                                        ; implicit-def: $vgpr16
	s_and_saveexec_b32 s16, vcc_lo
	s_xor_b32 s16, exec_lo, s16
; %bb.159:                              ;   in Loop: Header=BB423_4 Depth=1
	v_bfe_u32 v16, v14, 16, 1
	s_delay_alu instid0(VALU_DEP_1)
	v_add3_u32 v16, v14, v16, 0x7fff
                                        ; implicit-def: $vgpr14
; %bb.160:                              ;   in Loop: Header=BB423_4 Depth=1
	s_and_not1_saveexec_b32 s16, s16
; %bb.161:                              ;   in Loop: Header=BB423_4 Depth=1
	v_and_b32_e32 v16, 0xffff, v14
	v_or_b32_e32 v17, 0x10000, v14
	s_delay_alu instid0(VALU_DEP_2) | instskip(NEXT) | instid1(VALU_DEP_2)
	v_cmp_eq_u32_e32 vcc_lo, 0, v16
	v_cndmask_b32_e32 v16, v17, v14, vcc_lo
; %bb.162:                              ;   in Loop: Header=BB423_4 Depth=1
	s_or_b32 exec_lo, exec_lo, s16
	global_store_d16_hi_b16 v[24:25], v16, off offset:64
	global_load_u16 v14, v[22:23], off offset:96
	s_wait_loadcnt 0x0
	v_lshlrev_b32_e32 v14, 16, v14
	s_delay_alu instid0(VALU_DEP_1) | instskip(SKIP_1) | instid1(VALU_DEP_1)
	v_mul_f32_e32 v14, s30, v14
	s_wait_xcnt 0x1
	v_and_b32_e32 v16, 0x7f800000, v14
	s_delay_alu instid0(VALU_DEP_1) | instskip(SKIP_2) | instid1(SALU_CYCLE_1)
	v_cmp_ne_u32_e32 vcc_lo, 0x7f800000, v16
                                        ; implicit-def: $vgpr16
	s_wait_xcnt 0x0
	s_and_saveexec_b32 s16, vcc_lo
	s_xor_b32 s16, exec_lo, s16
; %bb.163:                              ;   in Loop: Header=BB423_4 Depth=1
	v_bfe_u32 v16, v14, 16, 1
	s_delay_alu instid0(VALU_DEP_1)
	v_add3_u32 v16, v14, v16, 0x7fff
                                        ; implicit-def: $vgpr14
; %bb.164:                              ;   in Loop: Header=BB423_4 Depth=1
	s_and_not1_saveexec_b32 s16, s16
; %bb.165:                              ;   in Loop: Header=BB423_4 Depth=1
	v_and_b32_e32 v16, 0xffff, v14
	v_or_b32_e32 v17, 0x10000, v14
	s_delay_alu instid0(VALU_DEP_2) | instskip(NEXT) | instid1(VALU_DEP_2)
	v_cmp_eq_u32_e32 vcc_lo, 0, v16
	v_cndmask_b32_e32 v16, v17, v14, vcc_lo
; %bb.166:                              ;   in Loop: Header=BB423_4 Depth=1
	s_or_b32 exec_lo, exec_lo, s16
	s_delay_alu instid0(VALU_DEP_1) | instskip(SKIP_1) | instid1(VALU_DEP_1)
	v_fma_mix_f32_bf16 v14, s2, v15, v16 op_sel:[0,0,1] op_sel_hi:[0,0,1]
	s_mov_b32 s16, exec_lo
                                        ; implicit-def: $vgpr16
	v_and_b32_e32 v15, 0x7f800000, v14
	s_delay_alu instid0(VALU_DEP_1)
	v_cmpx_ne_u32_e32 0x7f800000, v15
	s_xor_b32 s16, exec_lo, s16
; %bb.167:                              ;   in Loop: Header=BB423_4 Depth=1
	v_bfe_u32 v15, v14, 16, 1
	s_delay_alu instid0(VALU_DEP_1)
	v_add3_u32 v16, v14, v15, 0x7fff
                                        ; implicit-def: $vgpr14
; %bb.168:                              ;   in Loop: Header=BB423_4 Depth=1
	s_and_not1_saveexec_b32 s16, s16
; %bb.169:                              ;   in Loop: Header=BB423_4 Depth=1
	v_and_b32_e32 v15, 0xffff, v14
	v_or_b32_e32 v16, 0x10000, v14
	s_delay_alu instid0(VALU_DEP_2) | instskip(NEXT) | instid1(VALU_DEP_2)
	v_cmp_eq_u32_e32 vcc_lo, 0, v15
	v_cndmask_b32_e32 v16, v16, v14, vcc_lo
; %bb.170:                              ;   in Loop: Header=BB423_4 Depth=1
	s_or_b32 exec_lo, exec_lo, s16
	v_lshl_add_u64 v[14:15], s[4:5], 1, v[18:19]
	global_store_d16_hi_b16 v[24:25], v16, off offset:96
	v_lshl_add_u64 v[14:15], v[0:1], 1, v[14:15]
	global_load_u16 v16, v[14:15], off
	s_wait_loadcnt 0x0
	v_lshlrev_b32_e32 v16, 16, v16
	s_delay_alu instid0(VALU_DEP_1) | instskip(NEXT) | instid1(VALU_DEP_1)
	v_mul_f32_e32 v16, s30, v16
	v_and_b32_e32 v17, 0x7f800000, v16
	s_delay_alu instid0(VALU_DEP_1) | instskip(SKIP_2) | instid1(SALU_CYCLE_1)
	v_cmp_ne_u32_e32 vcc_lo, 0x7f800000, v17
                                        ; implicit-def: $vgpr17
	s_wait_xcnt 0x0
	s_and_saveexec_b32 s16, vcc_lo
	s_xor_b32 s16, exec_lo, s16
; %bb.171:                              ;   in Loop: Header=BB423_4 Depth=1
	v_bfe_u32 v17, v16, 16, 1
	s_delay_alu instid0(VALU_DEP_1)
	v_add3_u32 v17, v16, v17, 0x7fff
                                        ; implicit-def: $vgpr16
; %bb.172:                              ;   in Loop: Header=BB423_4 Depth=1
	s_and_not1_saveexec_b32 s16, s16
; %bb.173:                              ;   in Loop: Header=BB423_4 Depth=1
	v_and_b32_e32 v17, 0xffff, v16
	v_or_b32_e32 v18, 0x10000, v16
	s_delay_alu instid0(VALU_DEP_2) | instskip(NEXT) | instid1(VALU_DEP_2)
	v_cmp_eq_u32_e32 vcc_lo, 0, v17
	v_cndmask_b32_e32 v17, v18, v16, vcc_lo
; %bb.174:                              ;   in Loop: Header=BB423_4 Depth=1
	s_or_b32 exec_lo, exec_lo, s16
	s_delay_alu instid0(VALU_DEP_1) | instskip(SKIP_1) | instid1(VALU_DEP_1)
	v_fma_mix_f32_bf16 v12, s2, v12, v17 op_sel:[0,0,1] op_sel_hi:[0,0,1]
	s_mov_b32 s16, exec_lo
                                        ; implicit-def: $vgpr18
	v_and_b32_e32 v16, 0x7f800000, v12
	s_delay_alu instid0(VALU_DEP_1)
	v_cmpx_ne_u32_e32 0x7f800000, v16
	s_xor_b32 s16, exec_lo, s16
; %bb.175:                              ;   in Loop: Header=BB423_4 Depth=1
	v_bfe_u32 v16, v12, 16, 1
	s_delay_alu instid0(VALU_DEP_1)
	v_add3_u32 v18, v12, v16, 0x7fff
                                        ; implicit-def: $vgpr12
; %bb.176:                              ;   in Loop: Header=BB423_4 Depth=1
	s_and_not1_saveexec_b32 s16, s16
; %bb.177:                              ;   in Loop: Header=BB423_4 Depth=1
	v_and_b32_e32 v16, 0xffff, v12
	v_or_b32_e32 v17, 0x10000, v12
	s_delay_alu instid0(VALU_DEP_2) | instskip(NEXT) | instid1(VALU_DEP_2)
	v_cmp_eq_u32_e32 vcc_lo, 0, v16
	v_cndmask_b32_e32 v18, v17, v12, vcc_lo
; %bb.178:                              ;   in Loop: Header=BB423_4 Depth=1
	s_or_b32 exec_lo, exec_lo, s16
	v_lshl_add_u64 v[16:17], s[14:15], 1, v[20:21]
	s_delay_alu instid0(VALU_DEP_1) | instskip(SKIP_4) | instid1(VALU_DEP_1)
	v_lshl_add_u64 v[16:17], v[0:1], 1, v[16:17]
	global_store_d16_hi_b16 v[16:17], v18, off
	global_load_u16 v12, v[14:15], off offset:32
	s_wait_loadcnt 0x0
	v_lshlrev_b32_e32 v12, 16, v12
	v_mul_f32_e32 v12, s30, v12
	s_wait_xcnt 0x1
	s_delay_alu instid0(VALU_DEP_1) | instskip(NEXT) | instid1(VALU_DEP_1)
	v_and_b32_e32 v18, 0x7f800000, v12
	v_cmp_ne_u32_e32 vcc_lo, 0x7f800000, v18
                                        ; implicit-def: $vgpr18
	s_wait_xcnt 0x0
	s_and_saveexec_b32 s16, vcc_lo
	s_delay_alu instid0(SALU_CYCLE_1)
	s_xor_b32 s16, exec_lo, s16
; %bb.179:                              ;   in Loop: Header=BB423_4 Depth=1
	v_bfe_u32 v18, v12, 16, 1
	s_delay_alu instid0(VALU_DEP_1)
	v_add3_u32 v18, v12, v18, 0x7fff
                                        ; implicit-def: $vgpr12
; %bb.180:                              ;   in Loop: Header=BB423_4 Depth=1
	s_and_not1_saveexec_b32 s16, s16
; %bb.181:                              ;   in Loop: Header=BB423_4 Depth=1
	v_and_b32_e32 v18, 0xffff, v12
	v_or_b32_e32 v19, 0x10000, v12
	s_delay_alu instid0(VALU_DEP_2) | instskip(NEXT) | instid1(VALU_DEP_2)
	v_cmp_eq_u32_e32 vcc_lo, 0, v18
	v_cndmask_b32_e32 v18, v19, v12, vcc_lo
; %bb.182:                              ;   in Loop: Header=BB423_4 Depth=1
	s_or_b32 exec_lo, exec_lo, s16
	s_delay_alu instid0(VALU_DEP_1) | instskip(NEXT) | instid1(VALU_DEP_1)
	v_fma_mix_f32_bf16 v12, s2, v13, v18 op_sel:[0,0,1] op_sel_hi:[0,0,1]
	v_and_b32_e32 v13, 0x7f800000, v12
	s_delay_alu instid0(VALU_DEP_1) | instskip(SKIP_1) | instid1(SALU_CYCLE_1)
	v_cmp_ne_u32_e32 vcc_lo, 0x7f800000, v13
                                        ; implicit-def: $vgpr13
	s_and_saveexec_b32 s16, vcc_lo
	s_xor_b32 s16, exec_lo, s16
; %bb.183:                              ;   in Loop: Header=BB423_4 Depth=1
	v_bfe_u32 v13, v12, 16, 1
	s_delay_alu instid0(VALU_DEP_1)
	v_add3_u32 v13, v12, v13, 0x7fff
                                        ; implicit-def: $vgpr12
; %bb.184:                              ;   in Loop: Header=BB423_4 Depth=1
	s_and_not1_saveexec_b32 s16, s16
; %bb.185:                              ;   in Loop: Header=BB423_4 Depth=1
	v_and_b32_e32 v13, 0xffff, v12
	v_or_b32_e32 v18, 0x10000, v12
	s_delay_alu instid0(VALU_DEP_2) | instskip(NEXT) | instid1(VALU_DEP_2)
	v_cmp_eq_u32_e32 vcc_lo, 0, v13
	v_cndmask_b32_e32 v13, v18, v12, vcc_lo
; %bb.186:                              ;   in Loop: Header=BB423_4 Depth=1
	s_or_b32 exec_lo, exec_lo, s16
	global_store_d16_hi_b16 v[16:17], v13, off offset:32
	global_load_u16 v12, v[14:15], off offset:64
	s_wait_loadcnt 0x0
	v_lshlrev_b32_e32 v12, 16, v12
	s_delay_alu instid0(VALU_DEP_1) | instskip(SKIP_1) | instid1(VALU_DEP_1)
	v_mul_f32_e32 v12, s30, v12
	s_wait_xcnt 0x1
	v_and_b32_e32 v13, 0x7f800000, v12
	s_delay_alu instid0(VALU_DEP_1) | instskip(SKIP_2) | instid1(SALU_CYCLE_1)
	v_cmp_ne_u32_e32 vcc_lo, 0x7f800000, v13
                                        ; implicit-def: $vgpr13
	s_wait_xcnt 0x0
	s_and_saveexec_b32 s16, vcc_lo
	s_xor_b32 s16, exec_lo, s16
; %bb.187:                              ;   in Loop: Header=BB423_4 Depth=1
	v_bfe_u32 v13, v12, 16, 1
	s_delay_alu instid0(VALU_DEP_1)
	v_add3_u32 v13, v12, v13, 0x7fff
                                        ; implicit-def: $vgpr12
; %bb.188:                              ;   in Loop: Header=BB423_4 Depth=1
	s_and_not1_saveexec_b32 s16, s16
; %bb.189:                              ;   in Loop: Header=BB423_4 Depth=1
	v_and_b32_e32 v13, 0xffff, v12
	v_or_b32_e32 v18, 0x10000, v12
	s_delay_alu instid0(VALU_DEP_2) | instskip(NEXT) | instid1(VALU_DEP_2)
	v_cmp_eq_u32_e32 vcc_lo, 0, v13
	v_cndmask_b32_e32 v13, v18, v12, vcc_lo
; %bb.190:                              ;   in Loop: Header=BB423_4 Depth=1
	s_or_b32 exec_lo, exec_lo, s16
	s_delay_alu instid0(VALU_DEP_1) | instskip(NEXT) | instid1(VALU_DEP_1)
	v_fma_mix_f32_bf16 v10, s2, v10, v13 op_sel:[0,0,1] op_sel_hi:[0,0,1]
	v_and_b32_e32 v12, 0x7f800000, v10
	s_delay_alu instid0(VALU_DEP_1) | instskip(SKIP_1) | instid1(SALU_CYCLE_1)
	v_cmp_ne_u32_e32 vcc_lo, 0x7f800000, v12
                                        ; implicit-def: $vgpr12
	s_and_saveexec_b32 s16, vcc_lo
	s_xor_b32 s16, exec_lo, s16
; %bb.191:                              ;   in Loop: Header=BB423_4 Depth=1
	v_bfe_u32 v12, v10, 16, 1
	s_delay_alu instid0(VALU_DEP_1)
	v_add3_u32 v12, v10, v12, 0x7fff
                                        ; implicit-def: $vgpr10
; %bb.192:                              ;   in Loop: Header=BB423_4 Depth=1
	s_and_not1_saveexec_b32 s16, s16
; %bb.193:                              ;   in Loop: Header=BB423_4 Depth=1
	v_and_b32_e32 v12, 0xffff, v10
	v_or_b32_e32 v13, 0x10000, v10
	s_delay_alu instid0(VALU_DEP_2) | instskip(NEXT) | instid1(VALU_DEP_2)
	v_cmp_eq_u32_e32 vcc_lo, 0, v12
	v_cndmask_b32_e32 v12, v13, v10, vcc_lo
; %bb.194:                              ;   in Loop: Header=BB423_4 Depth=1
	s_or_b32 exec_lo, exec_lo, s16
	global_store_d16_hi_b16 v[16:17], v12, off offset:64
	global_load_u16 v10, v[14:15], off offset:96
	s_wait_loadcnt 0x0
	v_lshlrev_b32_e32 v10, 16, v10
	s_delay_alu instid0(VALU_DEP_1) | instskip(SKIP_1) | instid1(VALU_DEP_1)
	v_mul_f32_e32 v10, s30, v10
	s_wait_xcnt 0x1
	v_and_b32_e32 v12, 0x7f800000, v10
	s_delay_alu instid0(VALU_DEP_1) | instskip(SKIP_2) | instid1(SALU_CYCLE_1)
	v_cmp_ne_u32_e32 vcc_lo, 0x7f800000, v12
                                        ; implicit-def: $vgpr12
	s_wait_xcnt 0x0
	s_and_saveexec_b32 s16, vcc_lo
	s_xor_b32 s16, exec_lo, s16
; %bb.195:                              ;   in Loop: Header=BB423_4 Depth=1
	v_bfe_u32 v12, v10, 16, 1
	s_delay_alu instid0(VALU_DEP_1)
	v_add3_u32 v12, v10, v12, 0x7fff
                                        ; implicit-def: $vgpr10
; %bb.196:                              ;   in Loop: Header=BB423_4 Depth=1
	s_and_not1_saveexec_b32 s16, s16
; %bb.197:                              ;   in Loop: Header=BB423_4 Depth=1
	v_and_b32_e32 v12, 0xffff, v10
	v_or_b32_e32 v13, 0x10000, v10
	s_delay_alu instid0(VALU_DEP_2) | instskip(NEXT) | instid1(VALU_DEP_2)
	v_cmp_eq_u32_e32 vcc_lo, 0, v12
	v_cndmask_b32_e32 v12, v13, v10, vcc_lo
; %bb.198:                              ;   in Loop: Header=BB423_4 Depth=1
	s_or_b32 exec_lo, exec_lo, s16
	s_delay_alu instid0(VALU_DEP_1) | instskip(NEXT) | instid1(VALU_DEP_1)
	v_fma_mix_f32_bf16 v10, s2, v11, v12 op_sel:[0,0,1] op_sel_hi:[0,0,1]
	v_and_b32_e32 v11, 0x7f800000, v10
	s_delay_alu instid0(VALU_DEP_1) | instskip(SKIP_1) | instid1(SALU_CYCLE_1)
	v_cmp_ne_u32_e32 vcc_lo, 0x7f800000, v11
                                        ; implicit-def: $vgpr11
	s_and_saveexec_b32 s16, vcc_lo
	s_xor_b32 s16, exec_lo, s16
; %bb.199:                              ;   in Loop: Header=BB423_4 Depth=1
	v_bfe_u32 v11, v10, 16, 1
	s_delay_alu instid0(VALU_DEP_1)
	v_add3_u32 v11, v10, v11, 0x7fff
                                        ; implicit-def: $vgpr10
; %bb.200:                              ;   in Loop: Header=BB423_4 Depth=1
	s_and_not1_saveexec_b32 s16, s16
	s_cbranch_execz .LBB423_2
; %bb.201:                              ;   in Loop: Header=BB423_4 Depth=1
	v_and_b32_e32 v11, 0xffff, v10
	v_or_b32_e32 v12, 0x10000, v10
	s_delay_alu instid0(VALU_DEP_2) | instskip(NEXT) | instid1(VALU_DEP_2)
	v_cmp_eq_u32_e32 vcc_lo, 0, v11
	v_cndmask_b32_e32 v11, v12, v10, vcc_lo
	s_branch .LBB423_2
.LBB423_202:
	s_sendmsg sendmsg(MSG_DEALLOC_VGPRS)
	s_endpgm
	.section	.rodata,"a",@progbits
	.p2align	6, 0x0
	.amdhsa_kernel _ZN12_GLOBAL__N_127rocblas_gemm_batched_kernelIfLi16ELi16ELi64ELi64ELi4ELi64ELi4ELi4ELi64ELc67ELc78EK16rocblas_bfloat16S2_S1_EEvlllT_PT11_llS5_llS3_PT12_llPT13_lli
		.amdhsa_group_segment_fixed_size 2048
		.amdhsa_private_segment_fixed_size 0
		.amdhsa_kernarg_size 140
		.amdhsa_user_sgpr_count 2
		.amdhsa_user_sgpr_dispatch_ptr 0
		.amdhsa_user_sgpr_queue_ptr 0
		.amdhsa_user_sgpr_kernarg_segment_ptr 1
		.amdhsa_user_sgpr_dispatch_id 0
		.amdhsa_user_sgpr_kernarg_preload_length 0
		.amdhsa_user_sgpr_kernarg_preload_offset 0
		.amdhsa_user_sgpr_private_segment_size 0
		.amdhsa_wavefront_size32 1
		.amdhsa_uses_dynamic_stack 0
		.amdhsa_enable_private_segment 0
		.amdhsa_system_sgpr_workgroup_id_x 1
		.amdhsa_system_sgpr_workgroup_id_y 1
		.amdhsa_system_sgpr_workgroup_id_z 1
		.amdhsa_system_sgpr_workgroup_info 0
		.amdhsa_system_vgpr_workitem_id 1
		.amdhsa_next_free_vgpr 70
		.amdhsa_next_free_sgpr 38
		.amdhsa_named_barrier_count 0
		.amdhsa_reserve_vcc 1
		.amdhsa_float_round_mode_32 0
		.amdhsa_float_round_mode_16_64 0
		.amdhsa_float_denorm_mode_32 3
		.amdhsa_float_denorm_mode_16_64 3
		.amdhsa_fp16_overflow 0
		.amdhsa_memory_ordered 1
		.amdhsa_forward_progress 1
		.amdhsa_inst_pref_size 55
		.amdhsa_round_robin_scheduling 0
		.amdhsa_exception_fp_ieee_invalid_op 0
		.amdhsa_exception_fp_denorm_src 0
		.amdhsa_exception_fp_ieee_div_zero 0
		.amdhsa_exception_fp_ieee_overflow 0
		.amdhsa_exception_fp_ieee_underflow 0
		.amdhsa_exception_fp_ieee_inexact 0
		.amdhsa_exception_int_div_zero 0
	.end_amdhsa_kernel
	.section	.text._ZN12_GLOBAL__N_127rocblas_gemm_batched_kernelIfLi16ELi16ELi64ELi64ELi4ELi64ELi4ELi4ELi64ELc67ELc78EK16rocblas_bfloat16S2_S1_EEvlllT_PT11_llS5_llS3_PT12_llPT13_lli,"axG",@progbits,_ZN12_GLOBAL__N_127rocblas_gemm_batched_kernelIfLi16ELi16ELi64ELi64ELi4ELi64ELi4ELi4ELi64ELc67ELc78EK16rocblas_bfloat16S2_S1_EEvlllT_PT11_llS5_llS3_PT12_llPT13_lli,comdat
.Lfunc_end423:
	.size	_ZN12_GLOBAL__N_127rocblas_gemm_batched_kernelIfLi16ELi16ELi64ELi64ELi4ELi64ELi4ELi4ELi64ELc67ELc78EK16rocblas_bfloat16S2_S1_EEvlllT_PT11_llS5_llS3_PT12_llPT13_lli, .Lfunc_end423-_ZN12_GLOBAL__N_127rocblas_gemm_batched_kernelIfLi16ELi16ELi64ELi64ELi4ELi64ELi4ELi4ELi64ELc67ELc78EK16rocblas_bfloat16S2_S1_EEvlllT_PT11_llS5_llS3_PT12_llPT13_lli
                                        ; -- End function
	.set _ZN12_GLOBAL__N_127rocblas_gemm_batched_kernelIfLi16ELi16ELi64ELi64ELi4ELi64ELi4ELi4ELi64ELc67ELc78EK16rocblas_bfloat16S2_S1_EEvlllT_PT11_llS5_llS3_PT12_llPT13_lli.num_vgpr, 70
	.set _ZN12_GLOBAL__N_127rocblas_gemm_batched_kernelIfLi16ELi16ELi64ELi64ELi4ELi64ELi4ELi4ELi64ELc67ELc78EK16rocblas_bfloat16S2_S1_EEvlllT_PT11_llS5_llS3_PT12_llPT13_lli.num_agpr, 0
	.set _ZN12_GLOBAL__N_127rocblas_gemm_batched_kernelIfLi16ELi16ELi64ELi64ELi4ELi64ELi4ELi4ELi64ELc67ELc78EK16rocblas_bfloat16S2_S1_EEvlllT_PT11_llS5_llS3_PT12_llPT13_lli.numbered_sgpr, 38
	.set _ZN12_GLOBAL__N_127rocblas_gemm_batched_kernelIfLi16ELi16ELi64ELi64ELi4ELi64ELi4ELi4ELi64ELc67ELc78EK16rocblas_bfloat16S2_S1_EEvlllT_PT11_llS5_llS3_PT12_llPT13_lli.num_named_barrier, 0
	.set _ZN12_GLOBAL__N_127rocblas_gemm_batched_kernelIfLi16ELi16ELi64ELi64ELi4ELi64ELi4ELi4ELi64ELc67ELc78EK16rocblas_bfloat16S2_S1_EEvlllT_PT11_llS5_llS3_PT12_llPT13_lli.private_seg_size, 0
	.set _ZN12_GLOBAL__N_127rocblas_gemm_batched_kernelIfLi16ELi16ELi64ELi64ELi4ELi64ELi4ELi4ELi64ELc67ELc78EK16rocblas_bfloat16S2_S1_EEvlllT_PT11_llS5_llS3_PT12_llPT13_lli.uses_vcc, 1
	.set _ZN12_GLOBAL__N_127rocblas_gemm_batched_kernelIfLi16ELi16ELi64ELi64ELi4ELi64ELi4ELi4ELi64ELc67ELc78EK16rocblas_bfloat16S2_S1_EEvlllT_PT11_llS5_llS3_PT12_llPT13_lli.uses_flat_scratch, 0
	.set _ZN12_GLOBAL__N_127rocblas_gemm_batched_kernelIfLi16ELi16ELi64ELi64ELi4ELi64ELi4ELi4ELi64ELc67ELc78EK16rocblas_bfloat16S2_S1_EEvlllT_PT11_llS5_llS3_PT12_llPT13_lli.has_dyn_sized_stack, 0
	.set _ZN12_GLOBAL__N_127rocblas_gemm_batched_kernelIfLi16ELi16ELi64ELi64ELi4ELi64ELi4ELi4ELi64ELc67ELc78EK16rocblas_bfloat16S2_S1_EEvlllT_PT11_llS5_llS3_PT12_llPT13_lli.has_recursion, 0
	.set _ZN12_GLOBAL__N_127rocblas_gemm_batched_kernelIfLi16ELi16ELi64ELi64ELi4ELi64ELi4ELi4ELi64ELc67ELc78EK16rocblas_bfloat16S2_S1_EEvlllT_PT11_llS5_llS3_PT12_llPT13_lli.has_indirect_call, 0
	.section	.AMDGPU.csdata,"",@progbits
; Kernel info:
; codeLenInByte = 6916
; TotalNumSgprs: 40
; NumVgprs: 70
; ScratchSize: 0
; MemoryBound: 0
; FloatMode: 240
; IeeeMode: 1
; LDSByteSize: 2048 bytes/workgroup (compile time only)
; SGPRBlocks: 0
; VGPRBlocks: 4
; NumSGPRsForWavesPerEU: 40
; NumVGPRsForWavesPerEU: 70
; NamedBarCnt: 0
; Occupancy: 12
; WaveLimiterHint : 0
; COMPUTE_PGM_RSRC2:SCRATCH_EN: 0
; COMPUTE_PGM_RSRC2:USER_SGPR: 2
; COMPUTE_PGM_RSRC2:TRAP_HANDLER: 0
; COMPUTE_PGM_RSRC2:TGID_X_EN: 1
; COMPUTE_PGM_RSRC2:TGID_Y_EN: 1
; COMPUTE_PGM_RSRC2:TGID_Z_EN: 1
; COMPUTE_PGM_RSRC2:TIDIG_COMP_CNT: 1
	.section	.text._ZN12_GLOBAL__N_127rocblas_gemm_batched_kernelIfLi16ELi16ELi64ELi64ELi4ELi64ELi4ELi4ELi64ELc67ELc84EK16rocblas_bfloat16S2_S1_EEvlllT_PT11_llS5_llS3_PT12_llPT13_lli,"axG",@progbits,_ZN12_GLOBAL__N_127rocblas_gemm_batched_kernelIfLi16ELi16ELi64ELi64ELi4ELi64ELi4ELi4ELi64ELc67ELc84EK16rocblas_bfloat16S2_S1_EEvlllT_PT11_llS5_llS3_PT12_llPT13_lli,comdat
	.globl	_ZN12_GLOBAL__N_127rocblas_gemm_batched_kernelIfLi16ELi16ELi64ELi64ELi4ELi64ELi4ELi4ELi64ELc67ELc84EK16rocblas_bfloat16S2_S1_EEvlllT_PT11_llS5_llS3_PT12_llPT13_lli ; -- Begin function _ZN12_GLOBAL__N_127rocblas_gemm_batched_kernelIfLi16ELi16ELi64ELi64ELi4ELi64ELi4ELi4ELi64ELc67ELc84EK16rocblas_bfloat16S2_S1_EEvlllT_PT11_llS5_llS3_PT12_llPT13_lli
	.p2align	8
	.type	_ZN12_GLOBAL__N_127rocblas_gemm_batched_kernelIfLi16ELi16ELi64ELi64ELi4ELi64ELi4ELi4ELi64ELc67ELc84EK16rocblas_bfloat16S2_S1_EEvlllT_PT11_llS5_llS3_PT12_llPT13_lli,@function
_ZN12_GLOBAL__N_127rocblas_gemm_batched_kernelIfLi16ELi16ELi64ELi64ELi4ELi64ELi4ELi4ELi64ELc67ELc84EK16rocblas_bfloat16S2_S1_EEvlllT_PT11_llS5_llS3_PT12_llPT13_lli: ; @_ZN12_GLOBAL__N_127rocblas_gemm_batched_kernelIfLi16ELi16ELi64ELi64ELi4ELi64ELi4ELi4ELi64ELc67ELc84EK16rocblas_bfloat16S2_S1_EEvlllT_PT11_llS5_llS3_PT12_llPT13_lli
; %bb.0:
	s_load_b32 s3, s[0:1], 0x88
	s_bfe_u32 s2, ttmp6, 0x40014
	s_lshr_b32 s4, ttmp7, 16
	s_add_co_i32 s2, s2, 1
	s_bfe_u32 s6, ttmp6, 0x40008
	s_mul_i32 s5, s4, s2
	s_getreg_b32 s2, hwreg(HW_REG_IB_STS2, 6, 4)
	s_add_co_i32 s6, s6, s5
	s_cmp_eq_u32 s2, 0
	s_mov_b32 s29, 0
	s_cselect_b32 s28, s4, s6
	s_wait_kmcnt 0x0
	s_cmp_ge_i32 s28, s3
	s_cbranch_scc1 .LBB424_202
; %bb.1:
	v_bfe_u32 v4, v0, 10, 10
	v_and_b32_e32 v2, 0x3ff, v0
	s_bfe_u32 s30, ttmp6, 0x4000c
	s_bfe_u32 s33, ttmp6, 0x40010
	s_clause 0x2
	s_load_b256 s[12:19], s[0:1], 0x20
	s_load_b128 s[24:27], s[0:1], 0x40
	s_load_b128 s[20:23], s[0:1], 0x78
	v_lshlrev_b32_e32 v16, 4, v4
	s_add_co_i32 s30, s30, 1
	s_and_b32 s34, ttmp7, 0xffff
	s_add_co_i32 s33, s33, 1
	s_and_b32 s31, ttmp6, 15
	s_mul_i32 s30, ttmp9, s30
	s_mul_i32 s33, s34, s33
	s_bfe_u32 s35, ttmp6, 0x40004
	v_dual_add_nc_u32 v3, v16, v2 :: v_dual_mov_b32 v5, 0
	s_add_co_i32 s31, s31, s30
	s_add_co_i32 s35, s35, s33
	s_load_b256 s[4:11], s[0:1], 0x58
	s_cmp_eq_u32 s2, 0
	v_and_b32_e32 v17, 63, v3
	s_cselect_b32 s30, ttmp9, s31
	s_cselect_b32 s2, s34, s35
	s_ashr_i32 s31, s30, 31
	s_lshl_b32 s36, s2, 6
	s_lshl_b64 s[34:35], s[30:31], 6
	s_mov_b32 s37, s29
	v_dual_mov_b32 v7, s35 :: v_dual_bitop2_b32 v6, s34, v17 bitop3:0x54
	v_add_nc_u64_e32 v[8:9], s[36:37], v[4:5]
	v_dual_lshrrev_b32 v10, 2, v3 :: v_dual_bitop2_b32 v4, 3, v0 bitop3:0x40
	v_mov_b32_e32 v11, v5
	s_wait_kmcnt 0x0
	v_mul_u64_e32 v[6:7], s[14:15], v[6:7]
	s_load_b32 s30, s[0:1], 0x50
	v_lshlrev_b32_e32 v36, 2, v2
	v_mul_u64_e32 v[0:1], s[20:21], v[8:9]
	s_wait_xcnt 0x0
	s_load_b96 s[0:2], s[0:1], 0x10
	v_mul_u64_e32 v[12:13], s[6:7], v[8:9]
	v_lshlrev_b32_e32 v8, 2, v4
	v_mad_nc_u64_u32 v[14:15], s24, v4, v[10:11]
	v_dual_lshrrev_b32 v9, 6, v3 :: v_dual_lshlrev_b32 v11, 2, v17
	v_mov_b32_e32 v3, v5
	v_add_nc_u32_e32 v37, 0x400, v16
	s_delay_alu instid0(VALU_DEP_3) | instskip(NEXT) | instid1(VALU_DEP_3)
	v_lshl_or_b32 v34, v9, 8, v11
	v_add_nc_u64_e32 v[2:3], s[34:35], v[2:3]
	v_mad_u32 v15, s25, v4, v15
	v_lshl_or_b32 v4, v10, 4, v8
	s_wait_kmcnt 0x0
	s_cmp_eq_f32 s30, 0
	s_delay_alu instid0(VALU_DEP_1)
	v_add_nc_u32_e32 v35, 0x400, v4
	v_lshlrev_b32_e32 v4, 1, v9
	s_cselect_b32 s31, -1, 0
	s_lshl_b64 s[14:15], s[20:21], 4
	v_cmp_gt_i64_e64 s20, s[0:1], 0
	v_add_nc_u64_e32 v[8:9], s[36:37], v[14:15]
	s_lshl_b64 s[6:7], s[6:7], 4
	s_lshl_b64 s[16:17], s[16:17], 1
	v_lshl_add_u64 v[10:11], v[6:7], 1, v[4:5]
	s_delay_alu instid0(VALU_DEP_2) | instskip(NEXT) | instid1(VALU_DEP_2)
	v_lshl_add_u64 v[6:7], v[8:9], 1, s[18:19]
	v_add_nc_u64_e32 v[8:9], s[12:13], v[10:11]
	v_lshl_add_u64 v[4:5], v[12:13], 1, s[4:5]
	s_lshl_b64 s[4:5], s[26:27], 1
	s_lshl_b64 s[12:13], s[24:25], 3
	s_branch .LBB424_4
.LBB424_2:                              ;   in Loop: Header=BB424_4 Depth=1
	s_or_b32 exec_lo, exec_lo, s18
	global_store_d16_hi_b16 v[16:17], v11, off offset:96
.LBB424_3:                              ;   in Loop: Header=BB424_4 Depth=1
	s_add_co_i32 s28, s28, 0x10000
	s_delay_alu instid0(SALU_CYCLE_1)
	s_cmp_lt_i32 s28, s3
	s_cbranch_scc0 .LBB424_202
.LBB424_4:                              ; =>This Loop Header: Depth=1
                                        ;     Child Loop BB424_6 Depth 2
	v_dual_mov_b32 v25, 0 :: v_dual_mov_b32 v24, 0
	v_dual_mov_b32 v23, 0 :: v_dual_mov_b32 v22, 0
	;; [unrolled: 1-line block ×4, first 2 shown]
	s_wait_xcnt 0x0
	v_dual_mov_b32 v17, 0 :: v_dual_mov_b32 v16, 0
	v_dual_mov_b32 v15, 0 :: v_dual_mov_b32 v14, 0
	;; [unrolled: 1-line block ×4, first 2 shown]
	s_and_not1_b32 vcc_lo, exec_lo, s20
	s_cbranch_vccnz .LBB424_7
; %bb.5:                                ;   in Loop: Header=BB424_4 Depth=1
	v_mad_nc_u64_u32 v[26:27], s4, s28, v[6:7]
	v_mad_nc_u64_u32 v[28:29], s16, s28, v[8:9]
	v_mov_b32_e32 v10, 0
	s_mov_b64 s[18:19], 0
	s_delay_alu instid0(VALU_DEP_1)
	v_dual_mov_b32 v11, v10 :: v_dual_mov_b32 v12, v10
	v_dual_mov_b32 v13, v10 :: v_dual_mov_b32 v14, v10
	v_mad_u32 v27, s5, s28, v27
	v_mad_u32 v29, s17, s28, v29
	v_dual_mov_b32 v15, v10 :: v_dual_mov_b32 v16, v10
	v_dual_mov_b32 v17, v10 :: v_dual_mov_b32 v18, v10
	;; [unrolled: 1-line block ×5, first 2 shown]
	v_mov_b32_e32 v25, v10
.LBB424_6:                              ;   Parent Loop BB424_4 Depth=1
                                        ; =>  This Inner Loop Header: Depth=2
	global_load_u16 v30, v[28:29], off
	global_load_u16 v31, v[26:27], off
	s_add_nc_u64 s[18:19], s[18:19], 4
	s_wait_xcnt 0x0
	v_add_nc_u64_e32 v[26:27], s[12:13], v[26:27]
	v_cmp_lt_i64_e64 s21, s[18:19], s[0:1]
	v_add_nc_u64_e32 v[28:29], 8, v[28:29]
	s_and_b32 vcc_lo, exec_lo, s21
	s_wait_loadcnt 0x0
	v_dual_lshlrev_b32 v30, 16, v30 :: v_dual_lshlrev_b32 v31, 16, v31
	ds_store_b32 v34, v30
	ds_store_b32 v35, v31
	s_wait_dscnt 0x0
	s_barrier_signal -1
	s_barrier_wait -1
	ds_load_b128 v[30:33], v37
	ds_load_2addr_b32 v[50:51], v36 offset1:16
	ds_load_2addr_b32 v[52:53], v36 offset0:32 offset1:48
	ds_load_b128 v[38:41], v37 offset:256
	ds_load_b128 v[42:45], v37 offset:512
	;; [unrolled: 1-line block ×3, first 2 shown]
	ds_load_2addr_b32 v[54:55], v36 offset0:64 offset1:80
	ds_load_2addr_b32 v[56:57], v36 offset0:96 offset1:112
	;; [unrolled: 1-line block ×6, first 2 shown]
	s_wait_dscnt 0x0
	s_barrier_signal -1
	s_barrier_wait -1
	v_mov_b32_e32 v66, v33
	v_pk_fma_f32 v[24:25], v[50:51], v[30:31], v[24:25] op_sel_hi:[1,0,1]
	v_pk_fma_f32 v[22:23], v[52:53], v[30:31], v[22:23] op_sel_hi:[1,0,1]
	;; [unrolled: 1-line block ×8, first 2 shown]
	v_pk_fma_f32 v[24:25], v[54:55], v[30:31], v[24:25] op_sel:[0,1,0]
	v_pk_fma_f32 v[22:23], v[56:57], v[30:31], v[22:23] op_sel:[0,1,0]
	;; [unrolled: 1-line block ×8, first 2 shown]
	v_dual_mov_b32 v50, v41 :: v_dual_mov_b32 v52, v45
	v_mov_b32_e32 v68, v49
	v_pk_fma_f32 v[24:25], v[58:59], v[32:33], v[24:25] op_sel_hi:[1,0,1]
	v_pk_fma_f32 v[22:23], v[60:61], v[32:33], v[22:23] op_sel_hi:[1,0,1]
	;; [unrolled: 1-line block ×16, first 2 shown]
	s_cbranch_vccnz .LBB424_6
.LBB424_7:                              ;   in Loop: Header=BB424_4 Depth=1
	s_mul_u64 s[18:19], s[22:23], s[28:29]
	s_and_not1_b32 vcc_lo, exec_lo, s31
	s_lshl_b64 s[18:19], s[18:19], 1
	s_delay_alu instid0(SALU_CYCLE_1)
	s_add_nc_u64 s[18:19], s[10:11], s[18:19]
	s_cbranch_vccnz .LBB424_73
; %bb.8:                                ;   in Loop: Header=BB424_4 Depth=1
	v_mul_f32_e32 v26, s2, v24
	s_mov_b32 s21, exec_lo
                                        ; implicit-def: $vgpr30
	s_delay_alu instid0(VALU_DEP_1) | instskip(NEXT) | instid1(VALU_DEP_1)
	v_and_b32_e32 v27, 0x7f800000, v26
	v_cmpx_ne_u32_e32 0x7f800000, v27
	s_xor_b32 s21, exec_lo, s21
; %bb.9:                                ;   in Loop: Header=BB424_4 Depth=1
	v_bfe_u32 v27, v26, 16, 1
	s_delay_alu instid0(VALU_DEP_1)
	v_add3_u32 v30, v26, v27, 0x7fff
                                        ; implicit-def: $vgpr26
; %bb.10:                               ;   in Loop: Header=BB424_4 Depth=1
	s_and_not1_saveexec_b32 s21, s21
; %bb.11:                               ;   in Loop: Header=BB424_4 Depth=1
	v_and_b32_e32 v27, 0xffff, v26
	v_or_b32_e32 v28, 0x10000, v26
	s_delay_alu instid0(VALU_DEP_2) | instskip(NEXT) | instid1(VALU_DEP_2)
	v_cmp_eq_u32_e32 vcc_lo, 0, v27
	v_cndmask_b32_e32 v30, v28, v26, vcc_lo
; %bb.12:                               ;   in Loop: Header=BB424_4 Depth=1
	s_or_b32 exec_lo, exec_lo, s21
	v_mul_f32_e32 v31, s2, v25
	v_lshl_add_u64 v[26:27], v[0:1], 1, s[18:19]
	s_delay_alu instid0(VALU_DEP_2) | instskip(NEXT) | instid1(VALU_DEP_2)
	v_and_b32_e32 v32, 0x7f800000, v31
	v_lshl_add_u64 v[28:29], v[2:3], 1, v[26:27]
	s_delay_alu instid0(VALU_DEP_2) | instskip(SKIP_3) | instid1(SALU_CYCLE_1)
	v_cmp_ne_u32_e32 vcc_lo, 0x7f800000, v32
	global_store_d16_hi_b16 v[28:29], v30, off
                                        ; implicit-def: $vgpr32
	s_wait_xcnt 0x0
	s_and_saveexec_b32 s21, vcc_lo
	s_xor_b32 s21, exec_lo, s21
; %bb.13:                               ;   in Loop: Header=BB424_4 Depth=1
	v_bfe_u32 v30, v31, 16, 1
	s_delay_alu instid0(VALU_DEP_1)
	v_add3_u32 v32, v31, v30, 0x7fff
                                        ; implicit-def: $vgpr31
; %bb.14:                               ;   in Loop: Header=BB424_4 Depth=1
	s_and_not1_saveexec_b32 s21, s21
; %bb.15:                               ;   in Loop: Header=BB424_4 Depth=1
	v_and_b32_e32 v30, 0xffff, v31
	v_or_b32_e32 v32, 0x10000, v31
	s_delay_alu instid0(VALU_DEP_2) | instskip(NEXT) | instid1(VALU_DEP_2)
	v_cmp_eq_u32_e32 vcc_lo, 0, v30
	v_cndmask_b32_e32 v32, v32, v31, vcc_lo
; %bb.16:                               ;   in Loop: Header=BB424_4 Depth=1
	s_or_b32 exec_lo, exec_lo, s21
	v_mul_f32_e32 v30, s2, v22
	global_store_d16_hi_b16 v[28:29], v32, off offset:32
	v_and_b32_e32 v31, 0x7f800000, v30
	s_delay_alu instid0(VALU_DEP_1) | instskip(SKIP_2) | instid1(SALU_CYCLE_1)
	v_cmp_ne_u32_e32 vcc_lo, 0x7f800000, v31
                                        ; implicit-def: $vgpr31
	s_wait_xcnt 0x0
	s_and_saveexec_b32 s21, vcc_lo
	s_xor_b32 s21, exec_lo, s21
; %bb.17:                               ;   in Loop: Header=BB424_4 Depth=1
	v_bfe_u32 v31, v30, 16, 1
	s_delay_alu instid0(VALU_DEP_1)
	v_add3_u32 v31, v30, v31, 0x7fff
                                        ; implicit-def: $vgpr30
; %bb.18:                               ;   in Loop: Header=BB424_4 Depth=1
	s_and_not1_saveexec_b32 s21, s21
; %bb.19:                               ;   in Loop: Header=BB424_4 Depth=1
	v_and_b32_e32 v31, 0xffff, v30
	v_or_b32_e32 v32, 0x10000, v30
	s_delay_alu instid0(VALU_DEP_2) | instskip(NEXT) | instid1(VALU_DEP_2)
	v_cmp_eq_u32_e32 vcc_lo, 0, v31
	v_cndmask_b32_e32 v31, v32, v30, vcc_lo
; %bb.20:                               ;   in Loop: Header=BB424_4 Depth=1
	s_or_b32 exec_lo, exec_lo, s21
	v_mul_f32_e32 v30, s2, v23
	global_store_d16_hi_b16 v[28:29], v31, off offset:64
	v_and_b32_e32 v32, 0x7f800000, v30
	s_delay_alu instid0(VALU_DEP_1) | instskip(SKIP_2) | instid1(SALU_CYCLE_1)
	v_cmp_ne_u32_e32 vcc_lo, 0x7f800000, v32
                                        ; implicit-def: $vgpr32
	s_wait_xcnt 0x0
	s_and_saveexec_b32 s21, vcc_lo
	s_xor_b32 s21, exec_lo, s21
; %bb.21:                               ;   in Loop: Header=BB424_4 Depth=1
	v_bfe_u32 v31, v30, 16, 1
	s_delay_alu instid0(VALU_DEP_1)
	v_add3_u32 v32, v30, v31, 0x7fff
                                        ; implicit-def: $vgpr30
; %bb.22:                               ;   in Loop: Header=BB424_4 Depth=1
	s_and_not1_saveexec_b32 s21, s21
; %bb.23:                               ;   in Loop: Header=BB424_4 Depth=1
	v_and_b32_e32 v31, 0xffff, v30
	v_or_b32_e32 v32, 0x10000, v30
	s_delay_alu instid0(VALU_DEP_2) | instskip(NEXT) | instid1(VALU_DEP_2)
	v_cmp_eq_u32_e32 vcc_lo, 0, v31
	v_cndmask_b32_e32 v32, v32, v30, vcc_lo
; %bb.24:                               ;   in Loop: Header=BB424_4 Depth=1
	s_or_b32 exec_lo, exec_lo, s21
	v_mul_f32_e32 v31, s2, v20
	global_store_d16_hi_b16 v[28:29], v32, off offset:96
	v_and_b32_e32 v30, 0x7f800000, v31
	s_delay_alu instid0(VALU_DEP_1) | instskip(SKIP_2) | instid1(SALU_CYCLE_1)
	v_cmp_ne_u32_e32 vcc_lo, 0x7f800000, v30
                                        ; implicit-def: $vgpr30
	s_wait_xcnt 0x0
	s_and_saveexec_b32 s21, vcc_lo
	s_xor_b32 s21, exec_lo, s21
; %bb.25:                               ;   in Loop: Header=BB424_4 Depth=1
	v_bfe_u32 v28, v31, 16, 1
	s_delay_alu instid0(VALU_DEP_1)
	v_add3_u32 v30, v31, v28, 0x7fff
                                        ; implicit-def: $vgpr31
; %bb.26:                               ;   in Loop: Header=BB424_4 Depth=1
	s_and_not1_saveexec_b32 s21, s21
; %bb.27:                               ;   in Loop: Header=BB424_4 Depth=1
	v_and_b32_e32 v28, 0xffff, v31
	v_or_b32_e32 v29, 0x10000, v31
	s_delay_alu instid0(VALU_DEP_2) | instskip(NEXT) | instid1(VALU_DEP_2)
	v_cmp_eq_u32_e32 vcc_lo, 0, v28
	v_cndmask_b32_e32 v30, v29, v31, vcc_lo
; %bb.28:                               ;   in Loop: Header=BB424_4 Depth=1
	s_or_b32 exec_lo, exec_lo, s21
	v_mul_f32_e32 v31, s2, v21
	v_lshl_add_u64 v[26:27], s[14:15], 1, v[26:27]
	s_delay_alu instid0(VALU_DEP_2) | instskip(NEXT) | instid1(VALU_DEP_2)
	v_and_b32_e32 v32, 0x7f800000, v31
	v_lshl_add_u64 v[28:29], v[2:3], 1, v[26:27]
	s_delay_alu instid0(VALU_DEP_2) | instskip(SKIP_3) | instid1(SALU_CYCLE_1)
	v_cmp_ne_u32_e32 vcc_lo, 0x7f800000, v32
	global_store_d16_hi_b16 v[28:29], v30, off
                                        ; implicit-def: $vgpr32
	s_wait_xcnt 0x0
	s_and_saveexec_b32 s21, vcc_lo
	s_xor_b32 s21, exec_lo, s21
; %bb.29:                               ;   in Loop: Header=BB424_4 Depth=1
	v_bfe_u32 v30, v31, 16, 1
	s_delay_alu instid0(VALU_DEP_1)
	v_add3_u32 v32, v31, v30, 0x7fff
                                        ; implicit-def: $vgpr31
; %bb.30:                               ;   in Loop: Header=BB424_4 Depth=1
	s_and_not1_saveexec_b32 s21, s21
; %bb.31:                               ;   in Loop: Header=BB424_4 Depth=1
	v_and_b32_e32 v30, 0xffff, v31
	v_or_b32_e32 v32, 0x10000, v31
	s_delay_alu instid0(VALU_DEP_2) | instskip(NEXT) | instid1(VALU_DEP_2)
	v_cmp_eq_u32_e32 vcc_lo, 0, v30
	v_cndmask_b32_e32 v32, v32, v31, vcc_lo
; %bb.32:                               ;   in Loop: Header=BB424_4 Depth=1
	s_or_b32 exec_lo, exec_lo, s21
	v_mul_f32_e32 v30, s2, v18
	global_store_d16_hi_b16 v[28:29], v32, off offset:32
	v_and_b32_e32 v31, 0x7f800000, v30
	s_delay_alu instid0(VALU_DEP_1) | instskip(SKIP_2) | instid1(SALU_CYCLE_1)
	v_cmp_ne_u32_e32 vcc_lo, 0x7f800000, v31
                                        ; implicit-def: $vgpr31
	s_wait_xcnt 0x0
	s_and_saveexec_b32 s21, vcc_lo
	s_xor_b32 s21, exec_lo, s21
; %bb.33:                               ;   in Loop: Header=BB424_4 Depth=1
	v_bfe_u32 v31, v30, 16, 1
	s_delay_alu instid0(VALU_DEP_1)
	v_add3_u32 v31, v30, v31, 0x7fff
                                        ; implicit-def: $vgpr30
; %bb.34:                               ;   in Loop: Header=BB424_4 Depth=1
	s_and_not1_saveexec_b32 s21, s21
; %bb.35:                               ;   in Loop: Header=BB424_4 Depth=1
	v_and_b32_e32 v31, 0xffff, v30
	v_or_b32_e32 v32, 0x10000, v30
	s_delay_alu instid0(VALU_DEP_2) | instskip(NEXT) | instid1(VALU_DEP_2)
	v_cmp_eq_u32_e32 vcc_lo, 0, v31
	v_cndmask_b32_e32 v31, v32, v30, vcc_lo
; %bb.36:                               ;   in Loop: Header=BB424_4 Depth=1
	s_or_b32 exec_lo, exec_lo, s21
	v_mul_f32_e32 v30, s2, v19
	global_store_d16_hi_b16 v[28:29], v31, off offset:64
	v_and_b32_e32 v32, 0x7f800000, v30
	s_delay_alu instid0(VALU_DEP_1) | instskip(SKIP_2) | instid1(SALU_CYCLE_1)
	v_cmp_ne_u32_e32 vcc_lo, 0x7f800000, v32
                                        ; implicit-def: $vgpr32
	s_wait_xcnt 0x0
	s_and_saveexec_b32 s21, vcc_lo
	s_xor_b32 s21, exec_lo, s21
; %bb.37:                               ;   in Loop: Header=BB424_4 Depth=1
	v_bfe_u32 v31, v30, 16, 1
	s_delay_alu instid0(VALU_DEP_1)
	v_add3_u32 v32, v30, v31, 0x7fff
                                        ; implicit-def: $vgpr30
; %bb.38:                               ;   in Loop: Header=BB424_4 Depth=1
	s_and_not1_saveexec_b32 s21, s21
; %bb.39:                               ;   in Loop: Header=BB424_4 Depth=1
	v_and_b32_e32 v31, 0xffff, v30
	v_or_b32_e32 v32, 0x10000, v30
	s_delay_alu instid0(VALU_DEP_2) | instskip(NEXT) | instid1(VALU_DEP_2)
	v_cmp_eq_u32_e32 vcc_lo, 0, v31
	v_cndmask_b32_e32 v32, v32, v30, vcc_lo
; %bb.40:                               ;   in Loop: Header=BB424_4 Depth=1
	s_or_b32 exec_lo, exec_lo, s21
	v_mul_f32_e32 v31, s2, v16
	global_store_d16_hi_b16 v[28:29], v32, off offset:96
	v_and_b32_e32 v30, 0x7f800000, v31
	s_delay_alu instid0(VALU_DEP_1) | instskip(SKIP_2) | instid1(SALU_CYCLE_1)
	v_cmp_ne_u32_e32 vcc_lo, 0x7f800000, v30
                                        ; implicit-def: $vgpr30
	s_wait_xcnt 0x0
	s_and_saveexec_b32 s21, vcc_lo
	s_xor_b32 s21, exec_lo, s21
; %bb.41:                               ;   in Loop: Header=BB424_4 Depth=1
	v_bfe_u32 v28, v31, 16, 1
	s_delay_alu instid0(VALU_DEP_1)
	v_add3_u32 v30, v31, v28, 0x7fff
                                        ; implicit-def: $vgpr31
; %bb.42:                               ;   in Loop: Header=BB424_4 Depth=1
	s_and_not1_saveexec_b32 s21, s21
; %bb.43:                               ;   in Loop: Header=BB424_4 Depth=1
	v_and_b32_e32 v28, 0xffff, v31
	v_or_b32_e32 v29, 0x10000, v31
	s_delay_alu instid0(VALU_DEP_2) | instskip(NEXT) | instid1(VALU_DEP_2)
	v_cmp_eq_u32_e32 vcc_lo, 0, v28
	v_cndmask_b32_e32 v30, v29, v31, vcc_lo
; %bb.44:                               ;   in Loop: Header=BB424_4 Depth=1
	s_or_b32 exec_lo, exec_lo, s21
	v_mul_f32_e32 v31, s2, v17
	v_lshl_add_u64 v[26:27], s[14:15], 1, v[26:27]
	s_delay_alu instid0(VALU_DEP_2) | instskip(NEXT) | instid1(VALU_DEP_2)
	v_and_b32_e32 v32, 0x7f800000, v31
	v_lshl_add_u64 v[28:29], v[2:3], 1, v[26:27]
	s_delay_alu instid0(VALU_DEP_2) | instskip(SKIP_3) | instid1(SALU_CYCLE_1)
	v_cmp_ne_u32_e32 vcc_lo, 0x7f800000, v32
	global_store_d16_hi_b16 v[28:29], v30, off
                                        ; implicit-def: $vgpr32
	s_wait_xcnt 0x0
	s_and_saveexec_b32 s21, vcc_lo
	s_xor_b32 s21, exec_lo, s21
; %bb.45:                               ;   in Loop: Header=BB424_4 Depth=1
	v_bfe_u32 v30, v31, 16, 1
	s_delay_alu instid0(VALU_DEP_1)
	v_add3_u32 v32, v31, v30, 0x7fff
                                        ; implicit-def: $vgpr31
; %bb.46:                               ;   in Loop: Header=BB424_4 Depth=1
	s_and_not1_saveexec_b32 s21, s21
; %bb.47:                               ;   in Loop: Header=BB424_4 Depth=1
	v_and_b32_e32 v30, 0xffff, v31
	v_or_b32_e32 v32, 0x10000, v31
	s_delay_alu instid0(VALU_DEP_2) | instskip(NEXT) | instid1(VALU_DEP_2)
	v_cmp_eq_u32_e32 vcc_lo, 0, v30
	v_cndmask_b32_e32 v32, v32, v31, vcc_lo
; %bb.48:                               ;   in Loop: Header=BB424_4 Depth=1
	s_or_b32 exec_lo, exec_lo, s21
	v_mul_f32_e32 v30, s2, v14
	global_store_d16_hi_b16 v[28:29], v32, off offset:32
	v_and_b32_e32 v31, 0x7f800000, v30
	s_delay_alu instid0(VALU_DEP_1) | instskip(SKIP_2) | instid1(SALU_CYCLE_1)
	v_cmp_ne_u32_e32 vcc_lo, 0x7f800000, v31
                                        ; implicit-def: $vgpr31
	s_wait_xcnt 0x0
	s_and_saveexec_b32 s21, vcc_lo
	s_xor_b32 s21, exec_lo, s21
; %bb.49:                               ;   in Loop: Header=BB424_4 Depth=1
	v_bfe_u32 v31, v30, 16, 1
	s_delay_alu instid0(VALU_DEP_1)
	v_add3_u32 v31, v30, v31, 0x7fff
                                        ; implicit-def: $vgpr30
; %bb.50:                               ;   in Loop: Header=BB424_4 Depth=1
	s_and_not1_saveexec_b32 s21, s21
; %bb.51:                               ;   in Loop: Header=BB424_4 Depth=1
	v_and_b32_e32 v31, 0xffff, v30
	v_or_b32_e32 v32, 0x10000, v30
	s_delay_alu instid0(VALU_DEP_2) | instskip(NEXT) | instid1(VALU_DEP_2)
	v_cmp_eq_u32_e32 vcc_lo, 0, v31
	v_cndmask_b32_e32 v31, v32, v30, vcc_lo
; %bb.52:                               ;   in Loop: Header=BB424_4 Depth=1
	s_or_b32 exec_lo, exec_lo, s21
	v_mul_f32_e32 v30, s2, v15
	s_mov_b32 s21, exec_lo
	global_store_d16_hi_b16 v[28:29], v31, off offset:64
                                        ; implicit-def: $vgpr31
	v_and_b32_e32 v32, 0x7f800000, v30
	s_wait_xcnt 0x0
	s_delay_alu instid0(VALU_DEP_1)
	v_cmpx_ne_u32_e32 0x7f800000, v32
	s_xor_b32 s21, exec_lo, s21
; %bb.53:                               ;   in Loop: Header=BB424_4 Depth=1
	v_bfe_u32 v31, v30, 16, 1
	s_delay_alu instid0(VALU_DEP_1)
	v_add3_u32 v31, v30, v31, 0x7fff
                                        ; implicit-def: $vgpr30
; %bb.54:                               ;   in Loop: Header=BB424_4 Depth=1
	s_and_not1_saveexec_b32 s21, s21
; %bb.55:                               ;   in Loop: Header=BB424_4 Depth=1
	v_and_b32_e32 v31, 0xffff, v30
	v_or_b32_e32 v32, 0x10000, v30
	s_delay_alu instid0(VALU_DEP_2) | instskip(NEXT) | instid1(VALU_DEP_2)
	v_cmp_eq_u32_e32 vcc_lo, 0, v31
	v_cndmask_b32_e32 v31, v32, v30, vcc_lo
; %bb.56:                               ;   in Loop: Header=BB424_4 Depth=1
	s_or_b32 exec_lo, exec_lo, s21
	v_mul_f32_e32 v30, s2, v12
	s_mov_b32 s21, exec_lo
	global_store_d16_hi_b16 v[28:29], v31, off offset:96
                                        ; implicit-def: $vgpr28
	v_and_b32_e32 v32, 0x7f800000, v30
	s_wait_xcnt 0x0
	s_delay_alu instid0(VALU_DEP_1)
	v_cmpx_ne_u32_e32 0x7f800000, v32
	s_xor_b32 s21, exec_lo, s21
; %bb.57:                               ;   in Loop: Header=BB424_4 Depth=1
	v_bfe_u32 v28, v30, 16, 1
	s_delay_alu instid0(VALU_DEP_1)
	v_add3_u32 v28, v30, v28, 0x7fff
                                        ; implicit-def: $vgpr30
; %bb.58:                               ;   in Loop: Header=BB424_4 Depth=1
	s_and_not1_saveexec_b32 s21, s21
; %bb.59:                               ;   in Loop: Header=BB424_4 Depth=1
	v_and_b32_e32 v28, 0xffff, v30
	v_or_b32_e32 v29, 0x10000, v30
	s_delay_alu instid0(VALU_DEP_2) | instskip(NEXT) | instid1(VALU_DEP_2)
	v_cmp_eq_u32_e32 vcc_lo, 0, v28
	v_cndmask_b32_e32 v28, v29, v30, vcc_lo
; %bb.60:                               ;   in Loop: Header=BB424_4 Depth=1
	s_or_b32 exec_lo, exec_lo, s21
	v_mul_f32_e32 v29, s2, v13
	v_lshl_add_u64 v[26:27], s[14:15], 1, v[26:27]
	s_delay_alu instid0(VALU_DEP_2) | instskip(NEXT) | instid1(VALU_DEP_2)
	v_and_b32_e32 v30, 0x7f800000, v29
	v_lshl_add_u64 v[26:27], v[2:3], 1, v[26:27]
	s_delay_alu instid0(VALU_DEP_2) | instskip(SKIP_3) | instid1(SALU_CYCLE_1)
	v_cmp_ne_u32_e32 vcc_lo, 0x7f800000, v30
	global_store_d16_hi_b16 v[26:27], v28, off
                                        ; implicit-def: $vgpr30
	s_wait_xcnt 0x0
	s_and_saveexec_b32 s21, vcc_lo
	s_xor_b32 s21, exec_lo, s21
; %bb.61:                               ;   in Loop: Header=BB424_4 Depth=1
	v_bfe_u32 v28, v29, 16, 1
	s_delay_alu instid0(VALU_DEP_1)
	v_add3_u32 v30, v29, v28, 0x7fff
                                        ; implicit-def: $vgpr29
; %bb.62:                               ;   in Loop: Header=BB424_4 Depth=1
	s_and_not1_saveexec_b32 s21, s21
; %bb.63:                               ;   in Loop: Header=BB424_4 Depth=1
	v_and_b32_e32 v28, 0xffff, v29
	v_or_b32_e32 v30, 0x10000, v29
	s_delay_alu instid0(VALU_DEP_2) | instskip(NEXT) | instid1(VALU_DEP_2)
	v_cmp_eq_u32_e32 vcc_lo, 0, v28
	v_cndmask_b32_e32 v30, v30, v29, vcc_lo
; %bb.64:                               ;   in Loop: Header=BB424_4 Depth=1
	s_or_b32 exec_lo, exec_lo, s21
	v_mul_f32_e32 v28, s2, v10
	global_store_d16_hi_b16 v[26:27], v30, off offset:32
	v_and_b32_e32 v29, 0x7f800000, v28
	s_delay_alu instid0(VALU_DEP_1) | instskip(SKIP_2) | instid1(SALU_CYCLE_1)
	v_cmp_ne_u32_e32 vcc_lo, 0x7f800000, v29
                                        ; implicit-def: $vgpr29
	s_wait_xcnt 0x0
	s_and_saveexec_b32 s21, vcc_lo
	s_xor_b32 s21, exec_lo, s21
; %bb.65:                               ;   in Loop: Header=BB424_4 Depth=1
	v_bfe_u32 v29, v28, 16, 1
	s_delay_alu instid0(VALU_DEP_1)
	v_add3_u32 v29, v28, v29, 0x7fff
                                        ; implicit-def: $vgpr28
; %bb.66:                               ;   in Loop: Header=BB424_4 Depth=1
	s_and_not1_saveexec_b32 s21, s21
; %bb.67:                               ;   in Loop: Header=BB424_4 Depth=1
	v_and_b32_e32 v29, 0xffff, v28
	v_or_b32_e32 v30, 0x10000, v28
	s_delay_alu instid0(VALU_DEP_2) | instskip(NEXT) | instid1(VALU_DEP_2)
	v_cmp_eq_u32_e32 vcc_lo, 0, v29
	v_cndmask_b32_e32 v29, v30, v28, vcc_lo
; %bb.68:                               ;   in Loop: Header=BB424_4 Depth=1
	s_or_b32 exec_lo, exec_lo, s21
	v_mul_f32_e32 v28, s2, v11
	s_mov_b32 s21, exec_lo
	global_store_d16_hi_b16 v[26:27], v29, off offset:64
                                        ; implicit-def: $vgpr29
	v_and_b32_e32 v30, 0x7f800000, v28
	s_wait_xcnt 0x0
	s_delay_alu instid0(VALU_DEP_1)
	v_cmpx_ne_u32_e32 0x7f800000, v30
	s_xor_b32 s21, exec_lo, s21
; %bb.69:                               ;   in Loop: Header=BB424_4 Depth=1
	v_bfe_u32 v29, v28, 16, 1
	s_delay_alu instid0(VALU_DEP_1)
	v_add3_u32 v29, v28, v29, 0x7fff
                                        ; implicit-def: $vgpr28
; %bb.70:                               ;   in Loop: Header=BB424_4 Depth=1
	s_and_not1_saveexec_b32 s21, s21
; %bb.71:                               ;   in Loop: Header=BB424_4 Depth=1
	v_and_b32_e32 v29, 0xffff, v28
	v_or_b32_e32 v30, 0x10000, v28
	s_delay_alu instid0(VALU_DEP_2) | instskip(NEXT) | instid1(VALU_DEP_2)
	v_cmp_eq_u32_e32 vcc_lo, 0, v29
	v_cndmask_b32_e32 v29, v30, v28, vcc_lo
; %bb.72:                               ;   in Loop: Header=BB424_4 Depth=1
	s_or_b32 exec_lo, exec_lo, s21
	global_store_d16_hi_b16 v[26:27], v29, off offset:96
	s_branch .LBB424_3
.LBB424_73:                             ;   in Loop: Header=BB424_4 Depth=1
	s_cbranch_execz .LBB424_3
; %bb.74:                               ;   in Loop: Header=BB424_4 Depth=1
	s_mul_u64 s[24:25], s[8:9], s[28:29]
	s_wait_xcnt 0x0
	v_lshl_add_u64 v[26:27], s[24:25], 1, v[4:5]
	s_delay_alu instid0(VALU_DEP_1) | instskip(SKIP_3) | instid1(VALU_DEP_1)
	v_lshl_add_u64 v[30:31], v[2:3], 1, v[26:27]
	global_load_u16 v28, v[30:31], off
	s_wait_loadcnt 0x0
	v_lshlrev_b32_e32 v28, 16, v28
	v_mul_f32_e32 v28, s30, v28
	s_delay_alu instid0(VALU_DEP_1) | instskip(NEXT) | instid1(VALU_DEP_1)
	v_and_b32_e32 v29, 0x7f800000, v28
	v_cmp_ne_u32_e32 vcc_lo, 0x7f800000, v29
                                        ; implicit-def: $vgpr29
	s_wait_xcnt 0x0
	s_and_saveexec_b32 s21, vcc_lo
	s_delay_alu instid0(SALU_CYCLE_1)
	s_xor_b32 s21, exec_lo, s21
; %bb.75:                               ;   in Loop: Header=BB424_4 Depth=1
	v_bfe_u32 v29, v28, 16, 1
	s_delay_alu instid0(VALU_DEP_1)
	v_add3_u32 v29, v28, v29, 0x7fff
                                        ; implicit-def: $vgpr28
; %bb.76:                               ;   in Loop: Header=BB424_4 Depth=1
	s_and_not1_saveexec_b32 s21, s21
; %bb.77:                               ;   in Loop: Header=BB424_4 Depth=1
	v_and_b32_e32 v29, 0xffff, v28
	v_or_b32_e32 v32, 0x10000, v28
	s_delay_alu instid0(VALU_DEP_2) | instskip(NEXT) | instid1(VALU_DEP_2)
	v_cmp_eq_u32_e32 vcc_lo, 0, v29
	v_cndmask_b32_e32 v29, v32, v28, vcc_lo
; %bb.78:                               ;   in Loop: Header=BB424_4 Depth=1
	s_or_b32 exec_lo, exec_lo, s21
	s_delay_alu instid0(VALU_DEP_1) | instskip(SKIP_1) | instid1(VALU_DEP_1)
	v_fma_mix_f32_bf16 v24, s2, v24, v29 op_sel:[0,0,1] op_sel_hi:[0,0,1]
	s_mov_b32 s21, exec_lo
                                        ; implicit-def: $vgpr38
	v_and_b32_e32 v28, 0x7f800000, v24
	s_delay_alu instid0(VALU_DEP_1)
	v_cmpx_ne_u32_e32 0x7f800000, v28
	s_xor_b32 s21, exec_lo, s21
; %bb.79:                               ;   in Loop: Header=BB424_4 Depth=1
	v_bfe_u32 v28, v24, 16, 1
	s_delay_alu instid0(VALU_DEP_1)
	v_add3_u32 v38, v24, v28, 0x7fff
                                        ; implicit-def: $vgpr24
; %bb.80:                               ;   in Loop: Header=BB424_4 Depth=1
	s_and_not1_saveexec_b32 s21, s21
; %bb.81:                               ;   in Loop: Header=BB424_4 Depth=1
	v_and_b32_e32 v28, 0xffff, v24
	v_or_b32_e32 v29, 0x10000, v24
	s_delay_alu instid0(VALU_DEP_2) | instskip(NEXT) | instid1(VALU_DEP_2)
	v_cmp_eq_u32_e32 vcc_lo, 0, v28
	v_cndmask_b32_e32 v38, v29, v24, vcc_lo
; %bb.82:                               ;   in Loop: Header=BB424_4 Depth=1
	s_or_b32 exec_lo, exec_lo, s21
	v_lshl_add_u64 v[28:29], v[0:1], 1, s[18:19]
	s_delay_alu instid0(VALU_DEP_1) | instskip(SKIP_4) | instid1(VALU_DEP_1)
	v_lshl_add_u64 v[32:33], v[2:3], 1, v[28:29]
	global_store_d16_hi_b16 v[32:33], v38, off
	global_load_u16 v24, v[30:31], off offset:32
	s_wait_loadcnt 0x0
	v_lshlrev_b32_e32 v24, 16, v24
	v_mul_f32_e32 v24, s30, v24
	s_wait_xcnt 0x1
	s_delay_alu instid0(VALU_DEP_1) | instskip(NEXT) | instid1(VALU_DEP_1)
	v_and_b32_e32 v38, 0x7f800000, v24
	v_cmp_ne_u32_e32 vcc_lo, 0x7f800000, v38
                                        ; implicit-def: $vgpr38
	s_wait_xcnt 0x0
	s_and_saveexec_b32 s18, vcc_lo
	s_delay_alu instid0(SALU_CYCLE_1)
	s_xor_b32 s18, exec_lo, s18
; %bb.83:                               ;   in Loop: Header=BB424_4 Depth=1
	v_bfe_u32 v38, v24, 16, 1
	s_delay_alu instid0(VALU_DEP_1)
	v_add3_u32 v38, v24, v38, 0x7fff
                                        ; implicit-def: $vgpr24
; %bb.84:                               ;   in Loop: Header=BB424_4 Depth=1
	s_and_not1_saveexec_b32 s18, s18
; %bb.85:                               ;   in Loop: Header=BB424_4 Depth=1
	v_and_b32_e32 v38, 0xffff, v24
	v_or_b32_e32 v39, 0x10000, v24
	s_delay_alu instid0(VALU_DEP_2) | instskip(NEXT) | instid1(VALU_DEP_2)
	v_cmp_eq_u32_e32 vcc_lo, 0, v38
	v_cndmask_b32_e32 v38, v39, v24, vcc_lo
; %bb.86:                               ;   in Loop: Header=BB424_4 Depth=1
	s_or_b32 exec_lo, exec_lo, s18
	s_delay_alu instid0(VALU_DEP_1) | instskip(NEXT) | instid1(VALU_DEP_1)
	v_fma_mix_f32_bf16 v24, s2, v25, v38 op_sel:[0,0,1] op_sel_hi:[0,0,1]
	v_and_b32_e32 v25, 0x7f800000, v24
	s_delay_alu instid0(VALU_DEP_1) | instskip(SKIP_1) | instid1(SALU_CYCLE_1)
	v_cmp_ne_u32_e32 vcc_lo, 0x7f800000, v25
                                        ; implicit-def: $vgpr25
	s_and_saveexec_b32 s18, vcc_lo
	s_xor_b32 s18, exec_lo, s18
; %bb.87:                               ;   in Loop: Header=BB424_4 Depth=1
	v_bfe_u32 v25, v24, 16, 1
	s_delay_alu instid0(VALU_DEP_1)
	v_add3_u32 v25, v24, v25, 0x7fff
                                        ; implicit-def: $vgpr24
; %bb.88:                               ;   in Loop: Header=BB424_4 Depth=1
	s_and_not1_saveexec_b32 s18, s18
; %bb.89:                               ;   in Loop: Header=BB424_4 Depth=1
	v_and_b32_e32 v25, 0xffff, v24
	v_or_b32_e32 v38, 0x10000, v24
	s_delay_alu instid0(VALU_DEP_2) | instskip(NEXT) | instid1(VALU_DEP_2)
	v_cmp_eq_u32_e32 vcc_lo, 0, v25
	v_cndmask_b32_e32 v25, v38, v24, vcc_lo
; %bb.90:                               ;   in Loop: Header=BB424_4 Depth=1
	s_or_b32 exec_lo, exec_lo, s18
	global_store_d16_hi_b16 v[32:33], v25, off offset:32
	global_load_u16 v24, v[30:31], off offset:64
	s_wait_loadcnt 0x0
	v_lshlrev_b32_e32 v24, 16, v24
	s_delay_alu instid0(VALU_DEP_1) | instskip(SKIP_1) | instid1(VALU_DEP_1)
	v_mul_f32_e32 v24, s30, v24
	s_wait_xcnt 0x1
	v_and_b32_e32 v25, 0x7f800000, v24
	s_delay_alu instid0(VALU_DEP_1) | instskip(SKIP_2) | instid1(SALU_CYCLE_1)
	v_cmp_ne_u32_e32 vcc_lo, 0x7f800000, v25
                                        ; implicit-def: $vgpr25
	s_wait_xcnt 0x0
	s_and_saveexec_b32 s18, vcc_lo
	s_xor_b32 s18, exec_lo, s18
; %bb.91:                               ;   in Loop: Header=BB424_4 Depth=1
	v_bfe_u32 v25, v24, 16, 1
	s_delay_alu instid0(VALU_DEP_1)
	v_add3_u32 v25, v24, v25, 0x7fff
                                        ; implicit-def: $vgpr24
; %bb.92:                               ;   in Loop: Header=BB424_4 Depth=1
	s_and_not1_saveexec_b32 s18, s18
; %bb.93:                               ;   in Loop: Header=BB424_4 Depth=1
	v_and_b32_e32 v25, 0xffff, v24
	v_or_b32_e32 v38, 0x10000, v24
	s_delay_alu instid0(VALU_DEP_2) | instskip(NEXT) | instid1(VALU_DEP_2)
	v_cmp_eq_u32_e32 vcc_lo, 0, v25
	v_cndmask_b32_e32 v25, v38, v24, vcc_lo
; %bb.94:                               ;   in Loop: Header=BB424_4 Depth=1
	s_or_b32 exec_lo, exec_lo, s18
	s_delay_alu instid0(VALU_DEP_1) | instskip(NEXT) | instid1(VALU_DEP_1)
	v_fma_mix_f32_bf16 v22, s2, v22, v25 op_sel:[0,0,1] op_sel_hi:[0,0,1]
	v_and_b32_e32 v24, 0x7f800000, v22
	s_delay_alu instid0(VALU_DEP_1) | instskip(SKIP_1) | instid1(SALU_CYCLE_1)
	v_cmp_ne_u32_e32 vcc_lo, 0x7f800000, v24
                                        ; implicit-def: $vgpr24
	s_and_saveexec_b32 s18, vcc_lo
	s_xor_b32 s18, exec_lo, s18
; %bb.95:                               ;   in Loop: Header=BB424_4 Depth=1
	v_bfe_u32 v24, v22, 16, 1
	s_delay_alu instid0(VALU_DEP_1)
	v_add3_u32 v24, v22, v24, 0x7fff
                                        ; implicit-def: $vgpr22
; %bb.96:                               ;   in Loop: Header=BB424_4 Depth=1
	s_and_not1_saveexec_b32 s18, s18
; %bb.97:                               ;   in Loop: Header=BB424_4 Depth=1
	v_and_b32_e32 v24, 0xffff, v22
	v_or_b32_e32 v25, 0x10000, v22
	s_delay_alu instid0(VALU_DEP_2) | instskip(NEXT) | instid1(VALU_DEP_2)
	v_cmp_eq_u32_e32 vcc_lo, 0, v24
	v_cndmask_b32_e32 v24, v25, v22, vcc_lo
; %bb.98:                               ;   in Loop: Header=BB424_4 Depth=1
	s_or_b32 exec_lo, exec_lo, s18
	global_store_d16_hi_b16 v[32:33], v24, off offset:64
	global_load_u16 v22, v[30:31], off offset:96
	s_wait_loadcnt 0x0
	v_lshlrev_b32_e32 v22, 16, v22
	s_delay_alu instid0(VALU_DEP_1) | instskip(SKIP_1) | instid1(VALU_DEP_1)
	v_mul_f32_e32 v22, s30, v22
	s_wait_xcnt 0x1
	v_and_b32_e32 v24, 0x7f800000, v22
	s_delay_alu instid0(VALU_DEP_1) | instskip(SKIP_2) | instid1(SALU_CYCLE_1)
	v_cmp_ne_u32_e32 vcc_lo, 0x7f800000, v24
                                        ; implicit-def: $vgpr24
	s_wait_xcnt 0x0
	s_and_saveexec_b32 s18, vcc_lo
	s_xor_b32 s18, exec_lo, s18
; %bb.99:                               ;   in Loop: Header=BB424_4 Depth=1
	v_bfe_u32 v24, v22, 16, 1
	s_delay_alu instid0(VALU_DEP_1)
	v_add3_u32 v24, v22, v24, 0x7fff
                                        ; implicit-def: $vgpr22
; %bb.100:                              ;   in Loop: Header=BB424_4 Depth=1
	s_and_not1_saveexec_b32 s18, s18
; %bb.101:                              ;   in Loop: Header=BB424_4 Depth=1
	v_and_b32_e32 v24, 0xffff, v22
	v_or_b32_e32 v25, 0x10000, v22
	s_delay_alu instid0(VALU_DEP_2) | instskip(NEXT) | instid1(VALU_DEP_2)
	v_cmp_eq_u32_e32 vcc_lo, 0, v24
	v_cndmask_b32_e32 v24, v25, v22, vcc_lo
; %bb.102:                              ;   in Loop: Header=BB424_4 Depth=1
	s_or_b32 exec_lo, exec_lo, s18
	s_delay_alu instid0(VALU_DEP_1) | instskip(SKIP_1) | instid1(VALU_DEP_1)
	v_fma_mix_f32_bf16 v22, s2, v23, v24 op_sel:[0,0,1] op_sel_hi:[0,0,1]
	s_mov_b32 s18, exec_lo
                                        ; implicit-def: $vgpr24
	v_and_b32_e32 v23, 0x7f800000, v22
	s_delay_alu instid0(VALU_DEP_1)
	v_cmpx_ne_u32_e32 0x7f800000, v23
	s_xor_b32 s18, exec_lo, s18
; %bb.103:                              ;   in Loop: Header=BB424_4 Depth=1
	v_bfe_u32 v23, v22, 16, 1
	s_delay_alu instid0(VALU_DEP_1)
	v_add3_u32 v24, v22, v23, 0x7fff
                                        ; implicit-def: $vgpr22
; %bb.104:                              ;   in Loop: Header=BB424_4 Depth=1
	s_and_not1_saveexec_b32 s18, s18
; %bb.105:                              ;   in Loop: Header=BB424_4 Depth=1
	v_and_b32_e32 v23, 0xffff, v22
	v_or_b32_e32 v24, 0x10000, v22
	s_delay_alu instid0(VALU_DEP_2) | instskip(NEXT) | instid1(VALU_DEP_2)
	v_cmp_eq_u32_e32 vcc_lo, 0, v23
	v_cndmask_b32_e32 v24, v24, v22, vcc_lo
; %bb.106:                              ;   in Loop: Header=BB424_4 Depth=1
	s_or_b32 exec_lo, exec_lo, s18
	v_lshl_add_u64 v[22:23], s[6:7], 1, v[26:27]
	global_store_d16_hi_b16 v[32:33], v24, off offset:96
	v_lshl_add_u64 v[26:27], v[2:3], 1, v[22:23]
	global_load_u16 v24, v[26:27], off
	s_wait_loadcnt 0x0
	v_lshlrev_b32_e32 v24, 16, v24
	s_delay_alu instid0(VALU_DEP_1) | instskip(NEXT) | instid1(VALU_DEP_1)
	v_mul_f32_e32 v24, s30, v24
	v_and_b32_e32 v25, 0x7f800000, v24
	s_delay_alu instid0(VALU_DEP_1) | instskip(SKIP_2) | instid1(SALU_CYCLE_1)
	v_cmp_ne_u32_e32 vcc_lo, 0x7f800000, v25
                                        ; implicit-def: $vgpr25
	s_wait_xcnt 0x0
	s_and_saveexec_b32 s18, vcc_lo
	s_xor_b32 s18, exec_lo, s18
; %bb.107:                              ;   in Loop: Header=BB424_4 Depth=1
	v_bfe_u32 v25, v24, 16, 1
	s_delay_alu instid0(VALU_DEP_1)
	v_add3_u32 v25, v24, v25, 0x7fff
                                        ; implicit-def: $vgpr24
; %bb.108:                              ;   in Loop: Header=BB424_4 Depth=1
	s_and_not1_saveexec_b32 s18, s18
; %bb.109:                              ;   in Loop: Header=BB424_4 Depth=1
	v_and_b32_e32 v25, 0xffff, v24
	v_or_b32_e32 v30, 0x10000, v24
	s_delay_alu instid0(VALU_DEP_2) | instskip(NEXT) | instid1(VALU_DEP_2)
	v_cmp_eq_u32_e32 vcc_lo, 0, v25
	v_cndmask_b32_e32 v25, v30, v24, vcc_lo
; %bb.110:                              ;   in Loop: Header=BB424_4 Depth=1
	s_or_b32 exec_lo, exec_lo, s18
	s_delay_alu instid0(VALU_DEP_1) | instskip(SKIP_1) | instid1(VALU_DEP_1)
	v_fma_mix_f32_bf16 v20, s2, v20, v25 op_sel:[0,0,1] op_sel_hi:[0,0,1]
	s_mov_b32 s18, exec_lo
                                        ; implicit-def: $vgpr30
	v_and_b32_e32 v24, 0x7f800000, v20
	s_delay_alu instid0(VALU_DEP_1)
	v_cmpx_ne_u32_e32 0x7f800000, v24
	s_xor_b32 s18, exec_lo, s18
; %bb.111:                              ;   in Loop: Header=BB424_4 Depth=1
	v_bfe_u32 v24, v20, 16, 1
	s_delay_alu instid0(VALU_DEP_1)
	v_add3_u32 v30, v20, v24, 0x7fff
                                        ; implicit-def: $vgpr20
; %bb.112:                              ;   in Loop: Header=BB424_4 Depth=1
	s_and_not1_saveexec_b32 s18, s18
; %bb.113:                              ;   in Loop: Header=BB424_4 Depth=1
	v_and_b32_e32 v24, 0xffff, v20
	v_or_b32_e32 v25, 0x10000, v20
	s_delay_alu instid0(VALU_DEP_2) | instskip(NEXT) | instid1(VALU_DEP_2)
	v_cmp_eq_u32_e32 vcc_lo, 0, v24
	v_cndmask_b32_e32 v30, v25, v20, vcc_lo
; %bb.114:                              ;   in Loop: Header=BB424_4 Depth=1
	s_or_b32 exec_lo, exec_lo, s18
	v_lshl_add_u64 v[24:25], s[14:15], 1, v[28:29]
	s_delay_alu instid0(VALU_DEP_1) | instskip(SKIP_4) | instid1(VALU_DEP_1)
	v_lshl_add_u64 v[28:29], v[2:3], 1, v[24:25]
	global_store_d16_hi_b16 v[28:29], v30, off
	global_load_u16 v20, v[26:27], off offset:32
	s_wait_loadcnt 0x0
	v_lshlrev_b32_e32 v20, 16, v20
	v_mul_f32_e32 v20, s30, v20
	s_wait_xcnt 0x1
	s_delay_alu instid0(VALU_DEP_1) | instskip(NEXT) | instid1(VALU_DEP_1)
	v_and_b32_e32 v30, 0x7f800000, v20
	v_cmp_ne_u32_e32 vcc_lo, 0x7f800000, v30
                                        ; implicit-def: $vgpr30
	s_wait_xcnt 0x0
	s_and_saveexec_b32 s18, vcc_lo
	s_delay_alu instid0(SALU_CYCLE_1)
	s_xor_b32 s18, exec_lo, s18
; %bb.115:                              ;   in Loop: Header=BB424_4 Depth=1
	v_bfe_u32 v30, v20, 16, 1
	s_delay_alu instid0(VALU_DEP_1)
	v_add3_u32 v30, v20, v30, 0x7fff
                                        ; implicit-def: $vgpr20
; %bb.116:                              ;   in Loop: Header=BB424_4 Depth=1
	s_and_not1_saveexec_b32 s18, s18
; %bb.117:                              ;   in Loop: Header=BB424_4 Depth=1
	v_and_b32_e32 v30, 0xffff, v20
	v_or_b32_e32 v31, 0x10000, v20
	s_delay_alu instid0(VALU_DEP_2) | instskip(NEXT) | instid1(VALU_DEP_2)
	v_cmp_eq_u32_e32 vcc_lo, 0, v30
	v_cndmask_b32_e32 v30, v31, v20, vcc_lo
; %bb.118:                              ;   in Loop: Header=BB424_4 Depth=1
	s_or_b32 exec_lo, exec_lo, s18
	s_delay_alu instid0(VALU_DEP_1) | instskip(NEXT) | instid1(VALU_DEP_1)
	v_fma_mix_f32_bf16 v20, s2, v21, v30 op_sel:[0,0,1] op_sel_hi:[0,0,1]
	v_and_b32_e32 v21, 0x7f800000, v20
	s_delay_alu instid0(VALU_DEP_1) | instskip(SKIP_1) | instid1(SALU_CYCLE_1)
	v_cmp_ne_u32_e32 vcc_lo, 0x7f800000, v21
                                        ; implicit-def: $vgpr21
	s_and_saveexec_b32 s18, vcc_lo
	s_xor_b32 s18, exec_lo, s18
; %bb.119:                              ;   in Loop: Header=BB424_4 Depth=1
	v_bfe_u32 v21, v20, 16, 1
	s_delay_alu instid0(VALU_DEP_1)
	v_add3_u32 v21, v20, v21, 0x7fff
                                        ; implicit-def: $vgpr20
; %bb.120:                              ;   in Loop: Header=BB424_4 Depth=1
	s_and_not1_saveexec_b32 s18, s18
; %bb.121:                              ;   in Loop: Header=BB424_4 Depth=1
	v_and_b32_e32 v21, 0xffff, v20
	v_or_b32_e32 v30, 0x10000, v20
	s_delay_alu instid0(VALU_DEP_2) | instskip(NEXT) | instid1(VALU_DEP_2)
	v_cmp_eq_u32_e32 vcc_lo, 0, v21
	v_cndmask_b32_e32 v21, v30, v20, vcc_lo
; %bb.122:                              ;   in Loop: Header=BB424_4 Depth=1
	s_or_b32 exec_lo, exec_lo, s18
	global_store_d16_hi_b16 v[28:29], v21, off offset:32
	global_load_u16 v20, v[26:27], off offset:64
	s_wait_loadcnt 0x0
	v_lshlrev_b32_e32 v20, 16, v20
	s_delay_alu instid0(VALU_DEP_1) | instskip(SKIP_1) | instid1(VALU_DEP_1)
	v_mul_f32_e32 v20, s30, v20
	s_wait_xcnt 0x1
	v_and_b32_e32 v21, 0x7f800000, v20
	s_delay_alu instid0(VALU_DEP_1) | instskip(SKIP_2) | instid1(SALU_CYCLE_1)
	v_cmp_ne_u32_e32 vcc_lo, 0x7f800000, v21
                                        ; implicit-def: $vgpr21
	s_wait_xcnt 0x0
	s_and_saveexec_b32 s18, vcc_lo
	s_xor_b32 s18, exec_lo, s18
; %bb.123:                              ;   in Loop: Header=BB424_4 Depth=1
	v_bfe_u32 v21, v20, 16, 1
	s_delay_alu instid0(VALU_DEP_1)
	v_add3_u32 v21, v20, v21, 0x7fff
                                        ; implicit-def: $vgpr20
; %bb.124:                              ;   in Loop: Header=BB424_4 Depth=1
	s_and_not1_saveexec_b32 s18, s18
; %bb.125:                              ;   in Loop: Header=BB424_4 Depth=1
	v_and_b32_e32 v21, 0xffff, v20
	v_or_b32_e32 v30, 0x10000, v20
	s_delay_alu instid0(VALU_DEP_2) | instskip(NEXT) | instid1(VALU_DEP_2)
	v_cmp_eq_u32_e32 vcc_lo, 0, v21
	v_cndmask_b32_e32 v21, v30, v20, vcc_lo
; %bb.126:                              ;   in Loop: Header=BB424_4 Depth=1
	s_or_b32 exec_lo, exec_lo, s18
	s_delay_alu instid0(VALU_DEP_1) | instskip(NEXT) | instid1(VALU_DEP_1)
	v_fma_mix_f32_bf16 v18, s2, v18, v21 op_sel:[0,0,1] op_sel_hi:[0,0,1]
	v_and_b32_e32 v20, 0x7f800000, v18
	s_delay_alu instid0(VALU_DEP_1) | instskip(SKIP_1) | instid1(SALU_CYCLE_1)
	v_cmp_ne_u32_e32 vcc_lo, 0x7f800000, v20
                                        ; implicit-def: $vgpr20
	s_and_saveexec_b32 s18, vcc_lo
	s_xor_b32 s18, exec_lo, s18
; %bb.127:                              ;   in Loop: Header=BB424_4 Depth=1
	v_bfe_u32 v20, v18, 16, 1
	s_delay_alu instid0(VALU_DEP_1)
	v_add3_u32 v20, v18, v20, 0x7fff
                                        ; implicit-def: $vgpr18
; %bb.128:                              ;   in Loop: Header=BB424_4 Depth=1
	s_and_not1_saveexec_b32 s18, s18
; %bb.129:                              ;   in Loop: Header=BB424_4 Depth=1
	v_and_b32_e32 v20, 0xffff, v18
	v_or_b32_e32 v21, 0x10000, v18
	s_delay_alu instid0(VALU_DEP_2) | instskip(NEXT) | instid1(VALU_DEP_2)
	v_cmp_eq_u32_e32 vcc_lo, 0, v20
	v_cndmask_b32_e32 v20, v21, v18, vcc_lo
; %bb.130:                              ;   in Loop: Header=BB424_4 Depth=1
	s_or_b32 exec_lo, exec_lo, s18
	global_store_d16_hi_b16 v[28:29], v20, off offset:64
	global_load_u16 v18, v[26:27], off offset:96
	s_wait_loadcnt 0x0
	v_lshlrev_b32_e32 v18, 16, v18
	s_delay_alu instid0(VALU_DEP_1) | instskip(SKIP_1) | instid1(VALU_DEP_1)
	v_mul_f32_e32 v18, s30, v18
	s_wait_xcnt 0x1
	v_and_b32_e32 v20, 0x7f800000, v18
	s_delay_alu instid0(VALU_DEP_1) | instskip(SKIP_2) | instid1(SALU_CYCLE_1)
	v_cmp_ne_u32_e32 vcc_lo, 0x7f800000, v20
                                        ; implicit-def: $vgpr20
	s_wait_xcnt 0x0
	s_and_saveexec_b32 s18, vcc_lo
	s_xor_b32 s18, exec_lo, s18
; %bb.131:                              ;   in Loop: Header=BB424_4 Depth=1
	v_bfe_u32 v20, v18, 16, 1
	s_delay_alu instid0(VALU_DEP_1)
	v_add3_u32 v20, v18, v20, 0x7fff
                                        ; implicit-def: $vgpr18
; %bb.132:                              ;   in Loop: Header=BB424_4 Depth=1
	s_and_not1_saveexec_b32 s18, s18
; %bb.133:                              ;   in Loop: Header=BB424_4 Depth=1
	v_and_b32_e32 v20, 0xffff, v18
	v_or_b32_e32 v21, 0x10000, v18
	s_delay_alu instid0(VALU_DEP_2) | instskip(NEXT) | instid1(VALU_DEP_2)
	v_cmp_eq_u32_e32 vcc_lo, 0, v20
	v_cndmask_b32_e32 v20, v21, v18, vcc_lo
; %bb.134:                              ;   in Loop: Header=BB424_4 Depth=1
	s_or_b32 exec_lo, exec_lo, s18
	s_delay_alu instid0(VALU_DEP_1) | instskip(SKIP_1) | instid1(VALU_DEP_1)
	v_fma_mix_f32_bf16 v18, s2, v19, v20 op_sel:[0,0,1] op_sel_hi:[0,0,1]
	s_mov_b32 s18, exec_lo
                                        ; implicit-def: $vgpr20
	v_and_b32_e32 v19, 0x7f800000, v18
	s_delay_alu instid0(VALU_DEP_1)
	v_cmpx_ne_u32_e32 0x7f800000, v19
	s_xor_b32 s18, exec_lo, s18
; %bb.135:                              ;   in Loop: Header=BB424_4 Depth=1
	v_bfe_u32 v19, v18, 16, 1
	s_delay_alu instid0(VALU_DEP_1)
	v_add3_u32 v20, v18, v19, 0x7fff
                                        ; implicit-def: $vgpr18
; %bb.136:                              ;   in Loop: Header=BB424_4 Depth=1
	s_and_not1_saveexec_b32 s18, s18
; %bb.137:                              ;   in Loop: Header=BB424_4 Depth=1
	v_and_b32_e32 v19, 0xffff, v18
	v_or_b32_e32 v20, 0x10000, v18
	s_delay_alu instid0(VALU_DEP_2) | instskip(NEXT) | instid1(VALU_DEP_2)
	v_cmp_eq_u32_e32 vcc_lo, 0, v19
	v_cndmask_b32_e32 v20, v20, v18, vcc_lo
; %bb.138:                              ;   in Loop: Header=BB424_4 Depth=1
	s_or_b32 exec_lo, exec_lo, s18
	v_lshl_add_u64 v[18:19], s[6:7], 1, v[22:23]
	global_store_d16_hi_b16 v[28:29], v20, off offset:96
	v_lshl_add_u64 v[22:23], v[2:3], 1, v[18:19]
	global_load_u16 v20, v[22:23], off
	s_wait_loadcnt 0x0
	v_lshlrev_b32_e32 v20, 16, v20
	s_delay_alu instid0(VALU_DEP_1) | instskip(NEXT) | instid1(VALU_DEP_1)
	v_mul_f32_e32 v20, s30, v20
	v_and_b32_e32 v21, 0x7f800000, v20
	s_delay_alu instid0(VALU_DEP_1) | instskip(SKIP_2) | instid1(SALU_CYCLE_1)
	v_cmp_ne_u32_e32 vcc_lo, 0x7f800000, v21
                                        ; implicit-def: $vgpr21
	s_wait_xcnt 0x0
	s_and_saveexec_b32 s18, vcc_lo
	s_xor_b32 s18, exec_lo, s18
; %bb.139:                              ;   in Loop: Header=BB424_4 Depth=1
	v_bfe_u32 v21, v20, 16, 1
	s_delay_alu instid0(VALU_DEP_1)
	v_add3_u32 v21, v20, v21, 0x7fff
                                        ; implicit-def: $vgpr20
; %bb.140:                              ;   in Loop: Header=BB424_4 Depth=1
	s_and_not1_saveexec_b32 s18, s18
; %bb.141:                              ;   in Loop: Header=BB424_4 Depth=1
	v_and_b32_e32 v21, 0xffff, v20
	v_or_b32_e32 v26, 0x10000, v20
	s_delay_alu instid0(VALU_DEP_2) | instskip(NEXT) | instid1(VALU_DEP_2)
	v_cmp_eq_u32_e32 vcc_lo, 0, v21
	v_cndmask_b32_e32 v21, v26, v20, vcc_lo
; %bb.142:                              ;   in Loop: Header=BB424_4 Depth=1
	s_or_b32 exec_lo, exec_lo, s18
	s_delay_alu instid0(VALU_DEP_1) | instskip(SKIP_1) | instid1(VALU_DEP_1)
	v_fma_mix_f32_bf16 v16, s2, v16, v21 op_sel:[0,0,1] op_sel_hi:[0,0,1]
	s_mov_b32 s18, exec_lo
                                        ; implicit-def: $vgpr26
	v_and_b32_e32 v20, 0x7f800000, v16
	s_delay_alu instid0(VALU_DEP_1)
	v_cmpx_ne_u32_e32 0x7f800000, v20
	s_xor_b32 s18, exec_lo, s18
; %bb.143:                              ;   in Loop: Header=BB424_4 Depth=1
	v_bfe_u32 v20, v16, 16, 1
	s_delay_alu instid0(VALU_DEP_1)
	v_add3_u32 v26, v16, v20, 0x7fff
                                        ; implicit-def: $vgpr16
; %bb.144:                              ;   in Loop: Header=BB424_4 Depth=1
	s_and_not1_saveexec_b32 s18, s18
; %bb.145:                              ;   in Loop: Header=BB424_4 Depth=1
	v_and_b32_e32 v20, 0xffff, v16
	v_or_b32_e32 v21, 0x10000, v16
	s_delay_alu instid0(VALU_DEP_2) | instskip(NEXT) | instid1(VALU_DEP_2)
	v_cmp_eq_u32_e32 vcc_lo, 0, v20
	v_cndmask_b32_e32 v26, v21, v16, vcc_lo
; %bb.146:                              ;   in Loop: Header=BB424_4 Depth=1
	s_or_b32 exec_lo, exec_lo, s18
	v_lshl_add_u64 v[20:21], s[14:15], 1, v[24:25]
	s_delay_alu instid0(VALU_DEP_1) | instskip(SKIP_4) | instid1(VALU_DEP_1)
	v_lshl_add_u64 v[24:25], v[2:3], 1, v[20:21]
	global_store_d16_hi_b16 v[24:25], v26, off
	global_load_u16 v16, v[22:23], off offset:32
	s_wait_loadcnt 0x0
	v_lshlrev_b32_e32 v16, 16, v16
	v_mul_f32_e32 v16, s30, v16
	s_wait_xcnt 0x1
	s_delay_alu instid0(VALU_DEP_1) | instskip(NEXT) | instid1(VALU_DEP_1)
	v_and_b32_e32 v26, 0x7f800000, v16
	v_cmp_ne_u32_e32 vcc_lo, 0x7f800000, v26
                                        ; implicit-def: $vgpr26
	s_wait_xcnt 0x0
	s_and_saveexec_b32 s18, vcc_lo
	s_delay_alu instid0(SALU_CYCLE_1)
	s_xor_b32 s18, exec_lo, s18
; %bb.147:                              ;   in Loop: Header=BB424_4 Depth=1
	v_bfe_u32 v26, v16, 16, 1
	s_delay_alu instid0(VALU_DEP_1)
	v_add3_u32 v26, v16, v26, 0x7fff
                                        ; implicit-def: $vgpr16
; %bb.148:                              ;   in Loop: Header=BB424_4 Depth=1
	s_and_not1_saveexec_b32 s18, s18
; %bb.149:                              ;   in Loop: Header=BB424_4 Depth=1
	v_and_b32_e32 v26, 0xffff, v16
	v_or_b32_e32 v27, 0x10000, v16
	s_delay_alu instid0(VALU_DEP_2) | instskip(NEXT) | instid1(VALU_DEP_2)
	v_cmp_eq_u32_e32 vcc_lo, 0, v26
	v_cndmask_b32_e32 v26, v27, v16, vcc_lo
; %bb.150:                              ;   in Loop: Header=BB424_4 Depth=1
	s_or_b32 exec_lo, exec_lo, s18
	s_delay_alu instid0(VALU_DEP_1) | instskip(NEXT) | instid1(VALU_DEP_1)
	v_fma_mix_f32_bf16 v16, s2, v17, v26 op_sel:[0,0,1] op_sel_hi:[0,0,1]
	v_and_b32_e32 v17, 0x7f800000, v16
	s_delay_alu instid0(VALU_DEP_1) | instskip(SKIP_1) | instid1(SALU_CYCLE_1)
	v_cmp_ne_u32_e32 vcc_lo, 0x7f800000, v17
                                        ; implicit-def: $vgpr17
	s_and_saveexec_b32 s18, vcc_lo
	s_xor_b32 s18, exec_lo, s18
; %bb.151:                              ;   in Loop: Header=BB424_4 Depth=1
	v_bfe_u32 v17, v16, 16, 1
	s_delay_alu instid0(VALU_DEP_1)
	v_add3_u32 v17, v16, v17, 0x7fff
                                        ; implicit-def: $vgpr16
; %bb.152:                              ;   in Loop: Header=BB424_4 Depth=1
	s_and_not1_saveexec_b32 s18, s18
; %bb.153:                              ;   in Loop: Header=BB424_4 Depth=1
	v_and_b32_e32 v17, 0xffff, v16
	v_or_b32_e32 v26, 0x10000, v16
	s_delay_alu instid0(VALU_DEP_2) | instskip(NEXT) | instid1(VALU_DEP_2)
	v_cmp_eq_u32_e32 vcc_lo, 0, v17
	v_cndmask_b32_e32 v17, v26, v16, vcc_lo
; %bb.154:                              ;   in Loop: Header=BB424_4 Depth=1
	s_or_b32 exec_lo, exec_lo, s18
	global_store_d16_hi_b16 v[24:25], v17, off offset:32
	global_load_u16 v16, v[22:23], off offset:64
	s_wait_loadcnt 0x0
	v_lshlrev_b32_e32 v16, 16, v16
	s_delay_alu instid0(VALU_DEP_1) | instskip(SKIP_1) | instid1(VALU_DEP_1)
	v_mul_f32_e32 v16, s30, v16
	s_wait_xcnt 0x1
	v_and_b32_e32 v17, 0x7f800000, v16
	s_delay_alu instid0(VALU_DEP_1) | instskip(SKIP_2) | instid1(SALU_CYCLE_1)
	v_cmp_ne_u32_e32 vcc_lo, 0x7f800000, v17
                                        ; implicit-def: $vgpr17
	s_wait_xcnt 0x0
	s_and_saveexec_b32 s18, vcc_lo
	s_xor_b32 s18, exec_lo, s18
; %bb.155:                              ;   in Loop: Header=BB424_4 Depth=1
	v_bfe_u32 v17, v16, 16, 1
	s_delay_alu instid0(VALU_DEP_1)
	v_add3_u32 v17, v16, v17, 0x7fff
                                        ; implicit-def: $vgpr16
; %bb.156:                              ;   in Loop: Header=BB424_4 Depth=1
	s_and_not1_saveexec_b32 s18, s18
; %bb.157:                              ;   in Loop: Header=BB424_4 Depth=1
	v_and_b32_e32 v17, 0xffff, v16
	v_or_b32_e32 v26, 0x10000, v16
	s_delay_alu instid0(VALU_DEP_2) | instskip(NEXT) | instid1(VALU_DEP_2)
	v_cmp_eq_u32_e32 vcc_lo, 0, v17
	v_cndmask_b32_e32 v17, v26, v16, vcc_lo
; %bb.158:                              ;   in Loop: Header=BB424_4 Depth=1
	s_or_b32 exec_lo, exec_lo, s18
	s_delay_alu instid0(VALU_DEP_1) | instskip(NEXT) | instid1(VALU_DEP_1)
	v_fma_mix_f32_bf16 v14, s2, v14, v17 op_sel:[0,0,1] op_sel_hi:[0,0,1]
	v_and_b32_e32 v16, 0x7f800000, v14
	s_delay_alu instid0(VALU_DEP_1) | instskip(SKIP_1) | instid1(SALU_CYCLE_1)
	v_cmp_ne_u32_e32 vcc_lo, 0x7f800000, v16
                                        ; implicit-def: $vgpr16
	s_and_saveexec_b32 s18, vcc_lo
	s_xor_b32 s18, exec_lo, s18
; %bb.159:                              ;   in Loop: Header=BB424_4 Depth=1
	v_bfe_u32 v16, v14, 16, 1
	s_delay_alu instid0(VALU_DEP_1)
	v_add3_u32 v16, v14, v16, 0x7fff
                                        ; implicit-def: $vgpr14
; %bb.160:                              ;   in Loop: Header=BB424_4 Depth=1
	s_and_not1_saveexec_b32 s18, s18
; %bb.161:                              ;   in Loop: Header=BB424_4 Depth=1
	v_and_b32_e32 v16, 0xffff, v14
	v_or_b32_e32 v17, 0x10000, v14
	s_delay_alu instid0(VALU_DEP_2) | instskip(NEXT) | instid1(VALU_DEP_2)
	v_cmp_eq_u32_e32 vcc_lo, 0, v16
	v_cndmask_b32_e32 v16, v17, v14, vcc_lo
; %bb.162:                              ;   in Loop: Header=BB424_4 Depth=1
	s_or_b32 exec_lo, exec_lo, s18
	global_store_d16_hi_b16 v[24:25], v16, off offset:64
	global_load_u16 v14, v[22:23], off offset:96
	s_wait_loadcnt 0x0
	v_lshlrev_b32_e32 v14, 16, v14
	s_delay_alu instid0(VALU_DEP_1) | instskip(SKIP_1) | instid1(VALU_DEP_1)
	v_mul_f32_e32 v14, s30, v14
	s_wait_xcnt 0x1
	v_and_b32_e32 v16, 0x7f800000, v14
	s_delay_alu instid0(VALU_DEP_1) | instskip(SKIP_2) | instid1(SALU_CYCLE_1)
	v_cmp_ne_u32_e32 vcc_lo, 0x7f800000, v16
                                        ; implicit-def: $vgpr16
	s_wait_xcnt 0x0
	s_and_saveexec_b32 s18, vcc_lo
	s_xor_b32 s18, exec_lo, s18
; %bb.163:                              ;   in Loop: Header=BB424_4 Depth=1
	v_bfe_u32 v16, v14, 16, 1
	s_delay_alu instid0(VALU_DEP_1)
	v_add3_u32 v16, v14, v16, 0x7fff
                                        ; implicit-def: $vgpr14
; %bb.164:                              ;   in Loop: Header=BB424_4 Depth=1
	s_and_not1_saveexec_b32 s18, s18
; %bb.165:                              ;   in Loop: Header=BB424_4 Depth=1
	v_and_b32_e32 v16, 0xffff, v14
	v_or_b32_e32 v17, 0x10000, v14
	s_delay_alu instid0(VALU_DEP_2) | instskip(NEXT) | instid1(VALU_DEP_2)
	v_cmp_eq_u32_e32 vcc_lo, 0, v16
	v_cndmask_b32_e32 v16, v17, v14, vcc_lo
; %bb.166:                              ;   in Loop: Header=BB424_4 Depth=1
	s_or_b32 exec_lo, exec_lo, s18
	s_delay_alu instid0(VALU_DEP_1) | instskip(SKIP_1) | instid1(VALU_DEP_1)
	v_fma_mix_f32_bf16 v14, s2, v15, v16 op_sel:[0,0,1] op_sel_hi:[0,0,1]
	s_mov_b32 s18, exec_lo
                                        ; implicit-def: $vgpr16
	v_and_b32_e32 v15, 0x7f800000, v14
	s_delay_alu instid0(VALU_DEP_1)
	v_cmpx_ne_u32_e32 0x7f800000, v15
	s_xor_b32 s18, exec_lo, s18
; %bb.167:                              ;   in Loop: Header=BB424_4 Depth=1
	v_bfe_u32 v15, v14, 16, 1
	s_delay_alu instid0(VALU_DEP_1)
	v_add3_u32 v16, v14, v15, 0x7fff
                                        ; implicit-def: $vgpr14
; %bb.168:                              ;   in Loop: Header=BB424_4 Depth=1
	s_and_not1_saveexec_b32 s18, s18
; %bb.169:                              ;   in Loop: Header=BB424_4 Depth=1
	v_and_b32_e32 v15, 0xffff, v14
	v_or_b32_e32 v16, 0x10000, v14
	s_delay_alu instid0(VALU_DEP_2) | instskip(NEXT) | instid1(VALU_DEP_2)
	v_cmp_eq_u32_e32 vcc_lo, 0, v15
	v_cndmask_b32_e32 v16, v16, v14, vcc_lo
; %bb.170:                              ;   in Loop: Header=BB424_4 Depth=1
	s_or_b32 exec_lo, exec_lo, s18
	v_lshl_add_u64 v[14:15], s[6:7], 1, v[18:19]
	global_store_d16_hi_b16 v[24:25], v16, off offset:96
	v_lshl_add_u64 v[14:15], v[2:3], 1, v[14:15]
	global_load_u16 v16, v[14:15], off
	s_wait_loadcnt 0x0
	v_lshlrev_b32_e32 v16, 16, v16
	s_delay_alu instid0(VALU_DEP_1) | instskip(NEXT) | instid1(VALU_DEP_1)
	v_mul_f32_e32 v16, s30, v16
	v_and_b32_e32 v17, 0x7f800000, v16
	s_delay_alu instid0(VALU_DEP_1) | instskip(SKIP_2) | instid1(SALU_CYCLE_1)
	v_cmp_ne_u32_e32 vcc_lo, 0x7f800000, v17
                                        ; implicit-def: $vgpr17
	s_wait_xcnt 0x0
	s_and_saveexec_b32 s18, vcc_lo
	s_xor_b32 s18, exec_lo, s18
; %bb.171:                              ;   in Loop: Header=BB424_4 Depth=1
	v_bfe_u32 v17, v16, 16, 1
	s_delay_alu instid0(VALU_DEP_1)
	v_add3_u32 v17, v16, v17, 0x7fff
                                        ; implicit-def: $vgpr16
; %bb.172:                              ;   in Loop: Header=BB424_4 Depth=1
	s_and_not1_saveexec_b32 s18, s18
; %bb.173:                              ;   in Loop: Header=BB424_4 Depth=1
	v_and_b32_e32 v17, 0xffff, v16
	v_or_b32_e32 v18, 0x10000, v16
	s_delay_alu instid0(VALU_DEP_2) | instskip(NEXT) | instid1(VALU_DEP_2)
	v_cmp_eq_u32_e32 vcc_lo, 0, v17
	v_cndmask_b32_e32 v17, v18, v16, vcc_lo
; %bb.174:                              ;   in Loop: Header=BB424_4 Depth=1
	s_or_b32 exec_lo, exec_lo, s18
	s_delay_alu instid0(VALU_DEP_1) | instskip(SKIP_1) | instid1(VALU_DEP_1)
	v_fma_mix_f32_bf16 v12, s2, v12, v17 op_sel:[0,0,1] op_sel_hi:[0,0,1]
	s_mov_b32 s18, exec_lo
                                        ; implicit-def: $vgpr18
	v_and_b32_e32 v16, 0x7f800000, v12
	s_delay_alu instid0(VALU_DEP_1)
	v_cmpx_ne_u32_e32 0x7f800000, v16
	s_xor_b32 s18, exec_lo, s18
; %bb.175:                              ;   in Loop: Header=BB424_4 Depth=1
	v_bfe_u32 v16, v12, 16, 1
	s_delay_alu instid0(VALU_DEP_1)
	v_add3_u32 v18, v12, v16, 0x7fff
                                        ; implicit-def: $vgpr12
; %bb.176:                              ;   in Loop: Header=BB424_4 Depth=1
	s_and_not1_saveexec_b32 s18, s18
; %bb.177:                              ;   in Loop: Header=BB424_4 Depth=1
	v_and_b32_e32 v16, 0xffff, v12
	v_or_b32_e32 v17, 0x10000, v12
	s_delay_alu instid0(VALU_DEP_2) | instskip(NEXT) | instid1(VALU_DEP_2)
	v_cmp_eq_u32_e32 vcc_lo, 0, v16
	v_cndmask_b32_e32 v18, v17, v12, vcc_lo
; %bb.178:                              ;   in Loop: Header=BB424_4 Depth=1
	s_or_b32 exec_lo, exec_lo, s18
	v_lshl_add_u64 v[16:17], s[14:15], 1, v[20:21]
	s_delay_alu instid0(VALU_DEP_1) | instskip(SKIP_4) | instid1(VALU_DEP_1)
	v_lshl_add_u64 v[16:17], v[2:3], 1, v[16:17]
	global_store_d16_hi_b16 v[16:17], v18, off
	global_load_u16 v12, v[14:15], off offset:32
	s_wait_loadcnt 0x0
	v_lshlrev_b32_e32 v12, 16, v12
	v_mul_f32_e32 v12, s30, v12
	s_wait_xcnt 0x1
	s_delay_alu instid0(VALU_DEP_1) | instskip(NEXT) | instid1(VALU_DEP_1)
	v_and_b32_e32 v18, 0x7f800000, v12
	v_cmp_ne_u32_e32 vcc_lo, 0x7f800000, v18
                                        ; implicit-def: $vgpr18
	s_wait_xcnt 0x0
	s_and_saveexec_b32 s18, vcc_lo
	s_delay_alu instid0(SALU_CYCLE_1)
	s_xor_b32 s18, exec_lo, s18
; %bb.179:                              ;   in Loop: Header=BB424_4 Depth=1
	v_bfe_u32 v18, v12, 16, 1
	s_delay_alu instid0(VALU_DEP_1)
	v_add3_u32 v18, v12, v18, 0x7fff
                                        ; implicit-def: $vgpr12
; %bb.180:                              ;   in Loop: Header=BB424_4 Depth=1
	s_and_not1_saveexec_b32 s18, s18
; %bb.181:                              ;   in Loop: Header=BB424_4 Depth=1
	v_and_b32_e32 v18, 0xffff, v12
	v_or_b32_e32 v19, 0x10000, v12
	s_delay_alu instid0(VALU_DEP_2) | instskip(NEXT) | instid1(VALU_DEP_2)
	v_cmp_eq_u32_e32 vcc_lo, 0, v18
	v_cndmask_b32_e32 v18, v19, v12, vcc_lo
; %bb.182:                              ;   in Loop: Header=BB424_4 Depth=1
	s_or_b32 exec_lo, exec_lo, s18
	s_delay_alu instid0(VALU_DEP_1) | instskip(NEXT) | instid1(VALU_DEP_1)
	v_fma_mix_f32_bf16 v12, s2, v13, v18 op_sel:[0,0,1] op_sel_hi:[0,0,1]
	v_and_b32_e32 v13, 0x7f800000, v12
	s_delay_alu instid0(VALU_DEP_1) | instskip(SKIP_1) | instid1(SALU_CYCLE_1)
	v_cmp_ne_u32_e32 vcc_lo, 0x7f800000, v13
                                        ; implicit-def: $vgpr13
	s_and_saveexec_b32 s18, vcc_lo
	s_xor_b32 s18, exec_lo, s18
; %bb.183:                              ;   in Loop: Header=BB424_4 Depth=1
	v_bfe_u32 v13, v12, 16, 1
	s_delay_alu instid0(VALU_DEP_1)
	v_add3_u32 v13, v12, v13, 0x7fff
                                        ; implicit-def: $vgpr12
; %bb.184:                              ;   in Loop: Header=BB424_4 Depth=1
	s_and_not1_saveexec_b32 s18, s18
; %bb.185:                              ;   in Loop: Header=BB424_4 Depth=1
	v_and_b32_e32 v13, 0xffff, v12
	v_or_b32_e32 v18, 0x10000, v12
	s_delay_alu instid0(VALU_DEP_2) | instskip(NEXT) | instid1(VALU_DEP_2)
	v_cmp_eq_u32_e32 vcc_lo, 0, v13
	v_cndmask_b32_e32 v13, v18, v12, vcc_lo
; %bb.186:                              ;   in Loop: Header=BB424_4 Depth=1
	s_or_b32 exec_lo, exec_lo, s18
	global_store_d16_hi_b16 v[16:17], v13, off offset:32
	global_load_u16 v12, v[14:15], off offset:64
	s_wait_loadcnt 0x0
	v_lshlrev_b32_e32 v12, 16, v12
	s_delay_alu instid0(VALU_DEP_1) | instskip(SKIP_1) | instid1(VALU_DEP_1)
	v_mul_f32_e32 v12, s30, v12
	s_wait_xcnt 0x1
	v_and_b32_e32 v13, 0x7f800000, v12
	s_delay_alu instid0(VALU_DEP_1) | instskip(SKIP_2) | instid1(SALU_CYCLE_1)
	v_cmp_ne_u32_e32 vcc_lo, 0x7f800000, v13
                                        ; implicit-def: $vgpr13
	s_wait_xcnt 0x0
	s_and_saveexec_b32 s18, vcc_lo
	s_xor_b32 s18, exec_lo, s18
; %bb.187:                              ;   in Loop: Header=BB424_4 Depth=1
	v_bfe_u32 v13, v12, 16, 1
	s_delay_alu instid0(VALU_DEP_1)
	v_add3_u32 v13, v12, v13, 0x7fff
                                        ; implicit-def: $vgpr12
; %bb.188:                              ;   in Loop: Header=BB424_4 Depth=1
	s_and_not1_saveexec_b32 s18, s18
; %bb.189:                              ;   in Loop: Header=BB424_4 Depth=1
	v_and_b32_e32 v13, 0xffff, v12
	v_or_b32_e32 v18, 0x10000, v12
	s_delay_alu instid0(VALU_DEP_2) | instskip(NEXT) | instid1(VALU_DEP_2)
	v_cmp_eq_u32_e32 vcc_lo, 0, v13
	v_cndmask_b32_e32 v13, v18, v12, vcc_lo
; %bb.190:                              ;   in Loop: Header=BB424_4 Depth=1
	s_or_b32 exec_lo, exec_lo, s18
	s_delay_alu instid0(VALU_DEP_1) | instskip(NEXT) | instid1(VALU_DEP_1)
	v_fma_mix_f32_bf16 v10, s2, v10, v13 op_sel:[0,0,1] op_sel_hi:[0,0,1]
	v_and_b32_e32 v12, 0x7f800000, v10
	s_delay_alu instid0(VALU_DEP_1) | instskip(SKIP_1) | instid1(SALU_CYCLE_1)
	v_cmp_ne_u32_e32 vcc_lo, 0x7f800000, v12
                                        ; implicit-def: $vgpr12
	s_and_saveexec_b32 s18, vcc_lo
	s_xor_b32 s18, exec_lo, s18
; %bb.191:                              ;   in Loop: Header=BB424_4 Depth=1
	v_bfe_u32 v12, v10, 16, 1
	s_delay_alu instid0(VALU_DEP_1)
	v_add3_u32 v12, v10, v12, 0x7fff
                                        ; implicit-def: $vgpr10
; %bb.192:                              ;   in Loop: Header=BB424_4 Depth=1
	s_and_not1_saveexec_b32 s18, s18
; %bb.193:                              ;   in Loop: Header=BB424_4 Depth=1
	v_and_b32_e32 v12, 0xffff, v10
	v_or_b32_e32 v13, 0x10000, v10
	s_delay_alu instid0(VALU_DEP_2) | instskip(NEXT) | instid1(VALU_DEP_2)
	v_cmp_eq_u32_e32 vcc_lo, 0, v12
	v_cndmask_b32_e32 v12, v13, v10, vcc_lo
; %bb.194:                              ;   in Loop: Header=BB424_4 Depth=1
	s_or_b32 exec_lo, exec_lo, s18
	global_store_d16_hi_b16 v[16:17], v12, off offset:64
	global_load_u16 v10, v[14:15], off offset:96
	s_wait_loadcnt 0x0
	v_lshlrev_b32_e32 v10, 16, v10
	s_delay_alu instid0(VALU_DEP_1) | instskip(SKIP_1) | instid1(VALU_DEP_1)
	v_mul_f32_e32 v10, s30, v10
	s_wait_xcnt 0x1
	v_and_b32_e32 v12, 0x7f800000, v10
	s_delay_alu instid0(VALU_DEP_1) | instskip(SKIP_2) | instid1(SALU_CYCLE_1)
	v_cmp_ne_u32_e32 vcc_lo, 0x7f800000, v12
                                        ; implicit-def: $vgpr12
	s_wait_xcnt 0x0
	s_and_saveexec_b32 s18, vcc_lo
	s_xor_b32 s18, exec_lo, s18
; %bb.195:                              ;   in Loop: Header=BB424_4 Depth=1
	v_bfe_u32 v12, v10, 16, 1
	s_delay_alu instid0(VALU_DEP_1)
	v_add3_u32 v12, v10, v12, 0x7fff
                                        ; implicit-def: $vgpr10
; %bb.196:                              ;   in Loop: Header=BB424_4 Depth=1
	s_and_not1_saveexec_b32 s18, s18
; %bb.197:                              ;   in Loop: Header=BB424_4 Depth=1
	v_and_b32_e32 v12, 0xffff, v10
	v_or_b32_e32 v13, 0x10000, v10
	s_delay_alu instid0(VALU_DEP_2) | instskip(NEXT) | instid1(VALU_DEP_2)
	v_cmp_eq_u32_e32 vcc_lo, 0, v12
	v_cndmask_b32_e32 v12, v13, v10, vcc_lo
; %bb.198:                              ;   in Loop: Header=BB424_4 Depth=1
	s_or_b32 exec_lo, exec_lo, s18
	s_delay_alu instid0(VALU_DEP_1) | instskip(NEXT) | instid1(VALU_DEP_1)
	v_fma_mix_f32_bf16 v10, s2, v11, v12 op_sel:[0,0,1] op_sel_hi:[0,0,1]
	v_and_b32_e32 v11, 0x7f800000, v10
	s_delay_alu instid0(VALU_DEP_1) | instskip(SKIP_1) | instid1(SALU_CYCLE_1)
	v_cmp_ne_u32_e32 vcc_lo, 0x7f800000, v11
                                        ; implicit-def: $vgpr11
	s_and_saveexec_b32 s18, vcc_lo
	s_xor_b32 s18, exec_lo, s18
; %bb.199:                              ;   in Loop: Header=BB424_4 Depth=1
	v_bfe_u32 v11, v10, 16, 1
	s_delay_alu instid0(VALU_DEP_1)
	v_add3_u32 v11, v10, v11, 0x7fff
                                        ; implicit-def: $vgpr10
; %bb.200:                              ;   in Loop: Header=BB424_4 Depth=1
	s_and_not1_saveexec_b32 s18, s18
	s_cbranch_execz .LBB424_2
; %bb.201:                              ;   in Loop: Header=BB424_4 Depth=1
	v_and_b32_e32 v11, 0xffff, v10
	v_or_b32_e32 v12, 0x10000, v10
	s_delay_alu instid0(VALU_DEP_2) | instskip(NEXT) | instid1(VALU_DEP_2)
	v_cmp_eq_u32_e32 vcc_lo, 0, v11
	v_cndmask_b32_e32 v11, v12, v10, vcc_lo
	s_branch .LBB424_2
.LBB424_202:
	s_sendmsg sendmsg(MSG_DEALLOC_VGPRS)
	s_endpgm
	.section	.rodata,"a",@progbits
	.p2align	6, 0x0
	.amdhsa_kernel _ZN12_GLOBAL__N_127rocblas_gemm_batched_kernelIfLi16ELi16ELi64ELi64ELi4ELi64ELi4ELi4ELi64ELc67ELc84EK16rocblas_bfloat16S2_S1_EEvlllT_PT11_llS5_llS3_PT12_llPT13_lli
		.amdhsa_group_segment_fixed_size 2048
		.amdhsa_private_segment_fixed_size 0
		.amdhsa_kernarg_size 140
		.amdhsa_user_sgpr_count 2
		.amdhsa_user_sgpr_dispatch_ptr 0
		.amdhsa_user_sgpr_queue_ptr 0
		.amdhsa_user_sgpr_kernarg_segment_ptr 1
		.amdhsa_user_sgpr_dispatch_id 0
		.amdhsa_user_sgpr_kernarg_preload_length 0
		.amdhsa_user_sgpr_kernarg_preload_offset 0
		.amdhsa_user_sgpr_private_segment_size 0
		.amdhsa_wavefront_size32 1
		.amdhsa_uses_dynamic_stack 0
		.amdhsa_enable_private_segment 0
		.amdhsa_system_sgpr_workgroup_id_x 1
		.amdhsa_system_sgpr_workgroup_id_y 1
		.amdhsa_system_sgpr_workgroup_id_z 1
		.amdhsa_system_sgpr_workgroup_info 0
		.amdhsa_system_vgpr_workitem_id 1
		.amdhsa_next_free_vgpr 70
		.amdhsa_next_free_sgpr 38
		.amdhsa_named_barrier_count 0
		.amdhsa_reserve_vcc 1
		.amdhsa_float_round_mode_32 0
		.amdhsa_float_round_mode_16_64 0
		.amdhsa_float_denorm_mode_32 3
		.amdhsa_float_denorm_mode_16_64 3
		.amdhsa_fp16_overflow 0
		.amdhsa_memory_ordered 1
		.amdhsa_forward_progress 1
		.amdhsa_inst_pref_size 55
		.amdhsa_round_robin_scheduling 0
		.amdhsa_exception_fp_ieee_invalid_op 0
		.amdhsa_exception_fp_denorm_src 0
		.amdhsa_exception_fp_ieee_div_zero 0
		.amdhsa_exception_fp_ieee_overflow 0
		.amdhsa_exception_fp_ieee_underflow 0
		.amdhsa_exception_fp_ieee_inexact 0
		.amdhsa_exception_int_div_zero 0
	.end_amdhsa_kernel
	.section	.text._ZN12_GLOBAL__N_127rocblas_gemm_batched_kernelIfLi16ELi16ELi64ELi64ELi4ELi64ELi4ELi4ELi64ELc67ELc84EK16rocblas_bfloat16S2_S1_EEvlllT_PT11_llS5_llS3_PT12_llPT13_lli,"axG",@progbits,_ZN12_GLOBAL__N_127rocblas_gemm_batched_kernelIfLi16ELi16ELi64ELi64ELi4ELi64ELi4ELi4ELi64ELc67ELc84EK16rocblas_bfloat16S2_S1_EEvlllT_PT11_llS5_llS3_PT12_llPT13_lli,comdat
.Lfunc_end424:
	.size	_ZN12_GLOBAL__N_127rocblas_gemm_batched_kernelIfLi16ELi16ELi64ELi64ELi4ELi64ELi4ELi4ELi64ELc67ELc84EK16rocblas_bfloat16S2_S1_EEvlllT_PT11_llS5_llS3_PT12_llPT13_lli, .Lfunc_end424-_ZN12_GLOBAL__N_127rocblas_gemm_batched_kernelIfLi16ELi16ELi64ELi64ELi4ELi64ELi4ELi4ELi64ELc67ELc84EK16rocblas_bfloat16S2_S1_EEvlllT_PT11_llS5_llS3_PT12_llPT13_lli
                                        ; -- End function
	.set _ZN12_GLOBAL__N_127rocblas_gemm_batched_kernelIfLi16ELi16ELi64ELi64ELi4ELi64ELi4ELi4ELi64ELc67ELc84EK16rocblas_bfloat16S2_S1_EEvlllT_PT11_llS5_llS3_PT12_llPT13_lli.num_vgpr, 70
	.set _ZN12_GLOBAL__N_127rocblas_gemm_batched_kernelIfLi16ELi16ELi64ELi64ELi4ELi64ELi4ELi4ELi64ELc67ELc84EK16rocblas_bfloat16S2_S1_EEvlllT_PT11_llS5_llS3_PT12_llPT13_lli.num_agpr, 0
	.set _ZN12_GLOBAL__N_127rocblas_gemm_batched_kernelIfLi16ELi16ELi64ELi64ELi4ELi64ELi4ELi4ELi64ELc67ELc84EK16rocblas_bfloat16S2_S1_EEvlllT_PT11_llS5_llS3_PT12_llPT13_lli.numbered_sgpr, 38
	.set _ZN12_GLOBAL__N_127rocblas_gemm_batched_kernelIfLi16ELi16ELi64ELi64ELi4ELi64ELi4ELi4ELi64ELc67ELc84EK16rocblas_bfloat16S2_S1_EEvlllT_PT11_llS5_llS3_PT12_llPT13_lli.num_named_barrier, 0
	.set _ZN12_GLOBAL__N_127rocblas_gemm_batched_kernelIfLi16ELi16ELi64ELi64ELi4ELi64ELi4ELi4ELi64ELc67ELc84EK16rocblas_bfloat16S2_S1_EEvlllT_PT11_llS5_llS3_PT12_llPT13_lli.private_seg_size, 0
	.set _ZN12_GLOBAL__N_127rocblas_gemm_batched_kernelIfLi16ELi16ELi64ELi64ELi4ELi64ELi4ELi4ELi64ELc67ELc84EK16rocblas_bfloat16S2_S1_EEvlllT_PT11_llS5_llS3_PT12_llPT13_lli.uses_vcc, 1
	.set _ZN12_GLOBAL__N_127rocblas_gemm_batched_kernelIfLi16ELi16ELi64ELi64ELi4ELi64ELi4ELi4ELi64ELc67ELc84EK16rocblas_bfloat16S2_S1_EEvlllT_PT11_llS5_llS3_PT12_llPT13_lli.uses_flat_scratch, 0
	.set _ZN12_GLOBAL__N_127rocblas_gemm_batched_kernelIfLi16ELi16ELi64ELi64ELi4ELi64ELi4ELi4ELi64ELc67ELc84EK16rocblas_bfloat16S2_S1_EEvlllT_PT11_llS5_llS3_PT12_llPT13_lli.has_dyn_sized_stack, 0
	.set _ZN12_GLOBAL__N_127rocblas_gemm_batched_kernelIfLi16ELi16ELi64ELi64ELi4ELi64ELi4ELi4ELi64ELc67ELc84EK16rocblas_bfloat16S2_S1_EEvlllT_PT11_llS5_llS3_PT12_llPT13_lli.has_recursion, 0
	.set _ZN12_GLOBAL__N_127rocblas_gemm_batched_kernelIfLi16ELi16ELi64ELi64ELi4ELi64ELi4ELi4ELi64ELc67ELc84EK16rocblas_bfloat16S2_S1_EEvlllT_PT11_llS5_llS3_PT12_llPT13_lli.has_indirect_call, 0
	.section	.AMDGPU.csdata,"",@progbits
; Kernel info:
; codeLenInByte = 6916
; TotalNumSgprs: 40
; NumVgprs: 70
; ScratchSize: 0
; MemoryBound: 0
; FloatMode: 240
; IeeeMode: 1
; LDSByteSize: 2048 bytes/workgroup (compile time only)
; SGPRBlocks: 0
; VGPRBlocks: 4
; NumSGPRsForWavesPerEU: 40
; NumVGPRsForWavesPerEU: 70
; NamedBarCnt: 0
; Occupancy: 12
; WaveLimiterHint : 0
; COMPUTE_PGM_RSRC2:SCRATCH_EN: 0
; COMPUTE_PGM_RSRC2:USER_SGPR: 2
; COMPUTE_PGM_RSRC2:TRAP_HANDLER: 0
; COMPUTE_PGM_RSRC2:TGID_X_EN: 1
; COMPUTE_PGM_RSRC2:TGID_Y_EN: 1
; COMPUTE_PGM_RSRC2:TGID_Z_EN: 1
; COMPUTE_PGM_RSRC2:TIDIG_COMP_CNT: 1
	.section	.text._ZN12_GLOBAL__N_127rocblas_gemm_batched_kernelIfLi16ELi16ELi64ELi64ELi4ELi64ELi4ELi4ELi64ELc78ELc67EK16rocblas_bfloat16S2_S1_EEvlllT_PT11_llS5_llS3_PT12_llPT13_lli,"axG",@progbits,_ZN12_GLOBAL__N_127rocblas_gemm_batched_kernelIfLi16ELi16ELi64ELi64ELi4ELi64ELi4ELi4ELi64ELc78ELc67EK16rocblas_bfloat16S2_S1_EEvlllT_PT11_llS5_llS3_PT12_llPT13_lli,comdat
	.globl	_ZN12_GLOBAL__N_127rocblas_gemm_batched_kernelIfLi16ELi16ELi64ELi64ELi4ELi64ELi4ELi4ELi64ELc78ELc67EK16rocblas_bfloat16S2_S1_EEvlllT_PT11_llS5_llS3_PT12_llPT13_lli ; -- Begin function _ZN12_GLOBAL__N_127rocblas_gemm_batched_kernelIfLi16ELi16ELi64ELi64ELi4ELi64ELi4ELi4ELi64ELc78ELc67EK16rocblas_bfloat16S2_S1_EEvlllT_PT11_llS5_llS3_PT12_llPT13_lli
	.p2align	8
	.type	_ZN12_GLOBAL__N_127rocblas_gemm_batched_kernelIfLi16ELi16ELi64ELi64ELi4ELi64ELi4ELi4ELi64ELc78ELc67EK16rocblas_bfloat16S2_S1_EEvlllT_PT11_llS5_llS3_PT12_llPT13_lli,@function
_ZN12_GLOBAL__N_127rocblas_gemm_batched_kernelIfLi16ELi16ELi64ELi64ELi4ELi64ELi4ELi4ELi64ELc78ELc67EK16rocblas_bfloat16S2_S1_EEvlllT_PT11_llS5_llS3_PT12_llPT13_lli: ; @_ZN12_GLOBAL__N_127rocblas_gemm_batched_kernelIfLi16ELi16ELi64ELi64ELi4ELi64ELi4ELi4ELi64ELc78ELc67EK16rocblas_bfloat16S2_S1_EEvlllT_PT11_llS5_llS3_PT12_llPT13_lli
; %bb.0:
	s_load_b32 s3, s[0:1], 0x88
	s_bfe_u32 s2, ttmp6, 0x40014
	s_lshr_b32 s4, ttmp7, 16
	s_add_co_i32 s2, s2, 1
	s_bfe_u32 s6, ttmp6, 0x40008
	s_mul_i32 s5, s4, s2
	s_getreg_b32 s2, hwreg(HW_REG_IB_STS2, 6, 4)
	s_add_co_i32 s6, s6, s5
	s_cmp_eq_u32 s2, 0
	s_mov_b32 s29, 0
	s_cselect_b32 s28, s4, s6
	s_wait_kmcnt 0x0
	s_cmp_ge_i32 s28, s3
	s_cbranch_scc1 .LBB425_202
; %bb.1:
	s_clause 0x3
	s_load_b256 s[12:19], s[0:1], 0x20
	s_load_b128 s[24:27], s[0:1], 0x40
	s_load_b128 s[20:23], s[0:1], 0x78
	s_load_b256 s[4:11], s[0:1], 0x58
	s_bfe_u32 s30, ttmp6, 0x4000c
	s_bfe_u32 s33, ttmp6, 0x40010
	s_add_co_i32 s30, s30, 1
	s_and_b32 s34, ttmp7, 0xffff
	s_add_co_i32 s33, s33, 1
	s_and_b32 s31, ttmp6, 15
	s_mul_i32 s30, ttmp9, s30
	s_mul_i32 s33, s34, s33
	s_bfe_u32 s35, ttmp6, 0x40004
	v_bfe_u32 v2, v0, 10, 10
	s_add_co_i32 s31, s31, s30
	s_add_co_i32 s35, s35, s33
	s_cmp_eq_u32 s2, 0
	s_delay_alu instid0(VALU_DEP_1)
	v_dual_mov_b32 v3, 0 :: v_dual_lshlrev_b32 v16, 4, v2
	s_cselect_b32 s2, s34, s35
	v_and_b32_e32 v4, 0x3ff, v0
	s_cselect_b32 s34, ttmp9, s31
	s_lshl_b32 s36, s2, 6
	s_mov_b32 s37, s29
	v_and_b32_e32 v5, 3, v0
	v_add_nc_u64_e32 v[6:7], s[36:37], v[2:3]
	v_dual_add_nc_u32 v1, v16, v4 :: v_dual_mov_b32 v9, v3
	s_ashr_i32 s35, s34, 31
	s_load_b32 s30, s[0:1], 0x50
	s_lshl_b64 s[34:35], s[34:35], 6
	s_delay_alu instid0(VALU_DEP_1)
	v_dual_lshrrev_b32 v17, 6, v1 :: v_dual_lshrrev_b32 v8, 2, v1
	v_and_b32_e32 v2, 63, v1
	s_wait_kmcnt 0x0
	v_mul_u64_e32 v[10:11], s[6:7], v[6:7]
	v_mul_u64_e32 v[0:1], s[20:21], v[6:7]
	v_mad_nc_u64_u32 v[14:15], s14, v17, s[34:35]
	v_mad_nc_u64_u32 v[12:13], s24, v5, v[8:9]
	s_load_b96 s[0:2], s[0:1], 0x10
	v_dual_lshlrev_b32 v6, 2, v5 :: v_dual_lshlrev_b32 v7, 2, v2
	v_lshlrev_b32_e32 v36, 2, v4
	v_add_nc_u32_e32 v37, 0x400, v16
	s_delay_alu instid0(VALU_DEP_3) | instskip(NEXT) | instid1(VALU_DEP_4)
	v_lshl_or_b32 v6, v8, 4, v6
	v_lshl_or_b32 v34, v17, 8, v7
	v_mad_u32 v15, s15, v17, v15
	v_mad_u32 v13, s25, v5, v13
	v_mov_b32_e32 v5, v3
	v_add_nc_u32_e32 v35, 0x400, v6
	s_cmp_eq_f32 s30, 0
	s_cselect_b32 s31, -1, 0
	s_lshl_b64 s[20:21], s[20:21], 4
	s_lshl_b64 s[6:7], s[6:7], 4
	s_delay_alu instid0(VALU_DEP_4) | instskip(NEXT) | instid1(VALU_DEP_4)
	v_add_nc_u64_e32 v[8:9], v[14:15], v[2:3]
	v_add_nc_u64_e32 v[6:7], s[36:37], v[12:13]
	v_add_nc_u64_e32 v[2:3], s[34:35], v[4:5]
	s_lshl_b64 s[16:17], s[16:17], 1
	s_lshl_b64 s[14:15], s[14:15], 3
	s_delay_alu instid0(VALU_DEP_3)
	v_lshl_add_u64 v[8:9], v[8:9], 1, s[12:13]
	v_lshl_add_u64 v[4:5], v[10:11], 1, s[4:5]
	s_lshl_b64 s[4:5], s[26:27], 1
	s_wait_kmcnt 0x0
	v_cmp_gt_i64_e64 s26, s[0:1], 0
	v_lshl_add_u64 v[6:7], v[6:7], 1, s[18:19]
	s_lshl_b64 s[12:13], s[24:25], 3
	s_branch .LBB425_4
.LBB425_2:                              ;   in Loop: Header=BB425_4 Depth=1
	s_or_b32 exec_lo, exec_lo, s18
	global_store_d16_hi_b16 v[16:17], v11, off offset:96
.LBB425_3:                              ;   in Loop: Header=BB425_4 Depth=1
	s_add_co_i32 s28, s28, 0x10000
	s_delay_alu instid0(SALU_CYCLE_1)
	s_cmp_lt_i32 s28, s3
	s_cbranch_scc0 .LBB425_202
.LBB425_4:                              ; =>This Loop Header: Depth=1
                                        ;     Child Loop BB425_6 Depth 2
	v_dual_mov_b32 v25, 0 :: v_dual_mov_b32 v24, 0
	v_dual_mov_b32 v23, 0 :: v_dual_mov_b32 v22, 0
	;; [unrolled: 1-line block ×4, first 2 shown]
	s_wait_xcnt 0x0
	v_dual_mov_b32 v17, 0 :: v_dual_mov_b32 v16, 0
	v_dual_mov_b32 v15, 0 :: v_dual_mov_b32 v14, 0
	;; [unrolled: 1-line block ×4, first 2 shown]
	s_and_not1_b32 vcc_lo, exec_lo, s26
	s_cbranch_vccnz .LBB425_7
; %bb.5:                                ;   in Loop: Header=BB425_4 Depth=1
	v_mad_nc_u64_u32 v[26:27], s4, s28, v[6:7]
	v_mad_nc_u64_u32 v[28:29], s16, s28, v[8:9]
	v_mov_b32_e32 v10, 0
	s_mov_b64 s[18:19], 0
	s_delay_alu instid0(VALU_DEP_1)
	v_dual_mov_b32 v11, v10 :: v_dual_mov_b32 v12, v10
	v_dual_mov_b32 v13, v10 :: v_dual_mov_b32 v14, v10
	v_mad_u32 v27, s5, s28, v27
	v_mad_u32 v29, s17, s28, v29
	v_dual_mov_b32 v15, v10 :: v_dual_mov_b32 v16, v10
	v_dual_mov_b32 v17, v10 :: v_dual_mov_b32 v18, v10
	;; [unrolled: 1-line block ×5, first 2 shown]
	v_mov_b32_e32 v25, v10
.LBB425_6:                              ;   Parent Loop BB425_4 Depth=1
                                        ; =>  This Inner Loop Header: Depth=2
	global_load_u16 v30, v[28:29], off
	global_load_u16 v31, v[26:27], off
	s_add_nc_u64 s[18:19], s[18:19], 4
	s_wait_xcnt 0x0
	v_add_nc_u64_e32 v[26:27], s[12:13], v[26:27]
	v_cmp_lt_i64_e64 s24, s[18:19], s[0:1]
	v_add_nc_u64_e32 v[28:29], s[14:15], v[28:29]
	s_and_b32 vcc_lo, exec_lo, s24
	s_wait_loadcnt 0x0
	v_dual_lshlrev_b32 v30, 16, v30 :: v_dual_lshlrev_b32 v31, 16, v31
	ds_store_b32 v34, v30
	ds_store_b32 v35, v31
	s_wait_dscnt 0x0
	s_barrier_signal -1
	s_barrier_wait -1
	ds_load_b128 v[30:33], v37
	ds_load_2addr_b32 v[50:51], v36 offset1:16
	ds_load_2addr_b32 v[52:53], v36 offset0:32 offset1:48
	ds_load_b128 v[38:41], v37 offset:256
	ds_load_b128 v[42:45], v37 offset:512
	;; [unrolled: 1-line block ×3, first 2 shown]
	ds_load_2addr_b32 v[54:55], v36 offset0:64 offset1:80
	ds_load_2addr_b32 v[56:57], v36 offset0:96 offset1:112
	;; [unrolled: 1-line block ×6, first 2 shown]
	s_wait_dscnt 0x0
	s_barrier_signal -1
	s_barrier_wait -1
	v_mov_b32_e32 v66, v33
	v_pk_fma_f32 v[24:25], v[50:51], v[30:31], v[24:25] op_sel_hi:[1,0,1]
	v_pk_fma_f32 v[22:23], v[52:53], v[30:31], v[22:23] op_sel_hi:[1,0,1]
	;; [unrolled: 1-line block ×8, first 2 shown]
	v_pk_fma_f32 v[24:25], v[54:55], v[30:31], v[24:25] op_sel:[0,1,0]
	v_pk_fma_f32 v[22:23], v[56:57], v[30:31], v[22:23] op_sel:[0,1,0]
	;; [unrolled: 1-line block ×8, first 2 shown]
	v_dual_mov_b32 v50, v41 :: v_dual_mov_b32 v52, v45
	v_mov_b32_e32 v68, v49
	v_pk_fma_f32 v[24:25], v[58:59], v[32:33], v[24:25] op_sel_hi:[1,0,1]
	v_pk_fma_f32 v[22:23], v[60:61], v[32:33], v[22:23] op_sel_hi:[1,0,1]
	;; [unrolled: 1-line block ×16, first 2 shown]
	s_cbranch_vccnz .LBB425_6
.LBB425_7:                              ;   in Loop: Header=BB425_4 Depth=1
	s_mul_u64 s[18:19], s[22:23], s[28:29]
	s_and_not1_b32 vcc_lo, exec_lo, s31
	s_lshl_b64 s[18:19], s[18:19], 1
	s_delay_alu instid0(SALU_CYCLE_1)
	s_add_nc_u64 s[18:19], s[10:11], s[18:19]
	s_cbranch_vccnz .LBB425_73
; %bb.8:                                ;   in Loop: Header=BB425_4 Depth=1
	v_mul_f32_e32 v26, s2, v24
	s_mov_b32 s24, exec_lo
                                        ; implicit-def: $vgpr30
	s_delay_alu instid0(VALU_DEP_1) | instskip(NEXT) | instid1(VALU_DEP_1)
	v_and_b32_e32 v27, 0x7f800000, v26
	v_cmpx_ne_u32_e32 0x7f800000, v27
	s_xor_b32 s24, exec_lo, s24
; %bb.9:                                ;   in Loop: Header=BB425_4 Depth=1
	v_bfe_u32 v27, v26, 16, 1
	s_delay_alu instid0(VALU_DEP_1)
	v_add3_u32 v30, v26, v27, 0x7fff
                                        ; implicit-def: $vgpr26
; %bb.10:                               ;   in Loop: Header=BB425_4 Depth=1
	s_and_not1_saveexec_b32 s24, s24
; %bb.11:                               ;   in Loop: Header=BB425_4 Depth=1
	v_and_b32_e32 v27, 0xffff, v26
	v_or_b32_e32 v28, 0x10000, v26
	s_delay_alu instid0(VALU_DEP_2) | instskip(NEXT) | instid1(VALU_DEP_2)
	v_cmp_eq_u32_e32 vcc_lo, 0, v27
	v_cndmask_b32_e32 v30, v28, v26, vcc_lo
; %bb.12:                               ;   in Loop: Header=BB425_4 Depth=1
	s_or_b32 exec_lo, exec_lo, s24
	v_mul_f32_e32 v31, s2, v25
	v_lshl_add_u64 v[26:27], v[0:1], 1, s[18:19]
	s_delay_alu instid0(VALU_DEP_2) | instskip(NEXT) | instid1(VALU_DEP_2)
	v_and_b32_e32 v32, 0x7f800000, v31
	v_lshl_add_u64 v[28:29], v[2:3], 1, v[26:27]
	s_delay_alu instid0(VALU_DEP_2) | instskip(SKIP_3) | instid1(SALU_CYCLE_1)
	v_cmp_ne_u32_e32 vcc_lo, 0x7f800000, v32
	global_store_d16_hi_b16 v[28:29], v30, off
                                        ; implicit-def: $vgpr32
	s_wait_xcnt 0x0
	s_and_saveexec_b32 s24, vcc_lo
	s_xor_b32 s24, exec_lo, s24
; %bb.13:                               ;   in Loop: Header=BB425_4 Depth=1
	v_bfe_u32 v30, v31, 16, 1
	s_delay_alu instid0(VALU_DEP_1)
	v_add3_u32 v32, v31, v30, 0x7fff
                                        ; implicit-def: $vgpr31
; %bb.14:                               ;   in Loop: Header=BB425_4 Depth=1
	s_and_not1_saveexec_b32 s24, s24
; %bb.15:                               ;   in Loop: Header=BB425_4 Depth=1
	v_and_b32_e32 v30, 0xffff, v31
	v_or_b32_e32 v32, 0x10000, v31
	s_delay_alu instid0(VALU_DEP_2) | instskip(NEXT) | instid1(VALU_DEP_2)
	v_cmp_eq_u32_e32 vcc_lo, 0, v30
	v_cndmask_b32_e32 v32, v32, v31, vcc_lo
; %bb.16:                               ;   in Loop: Header=BB425_4 Depth=1
	s_or_b32 exec_lo, exec_lo, s24
	v_mul_f32_e32 v30, s2, v22
	global_store_d16_hi_b16 v[28:29], v32, off offset:32
	v_and_b32_e32 v31, 0x7f800000, v30
	s_delay_alu instid0(VALU_DEP_1) | instskip(SKIP_2) | instid1(SALU_CYCLE_1)
	v_cmp_ne_u32_e32 vcc_lo, 0x7f800000, v31
                                        ; implicit-def: $vgpr31
	s_wait_xcnt 0x0
	s_and_saveexec_b32 s24, vcc_lo
	s_xor_b32 s24, exec_lo, s24
; %bb.17:                               ;   in Loop: Header=BB425_4 Depth=1
	v_bfe_u32 v31, v30, 16, 1
	s_delay_alu instid0(VALU_DEP_1)
	v_add3_u32 v31, v30, v31, 0x7fff
                                        ; implicit-def: $vgpr30
; %bb.18:                               ;   in Loop: Header=BB425_4 Depth=1
	s_and_not1_saveexec_b32 s24, s24
; %bb.19:                               ;   in Loop: Header=BB425_4 Depth=1
	v_and_b32_e32 v31, 0xffff, v30
	v_or_b32_e32 v32, 0x10000, v30
	s_delay_alu instid0(VALU_DEP_2) | instskip(NEXT) | instid1(VALU_DEP_2)
	v_cmp_eq_u32_e32 vcc_lo, 0, v31
	v_cndmask_b32_e32 v31, v32, v30, vcc_lo
; %bb.20:                               ;   in Loop: Header=BB425_4 Depth=1
	s_or_b32 exec_lo, exec_lo, s24
	v_mul_f32_e32 v30, s2, v23
	global_store_d16_hi_b16 v[28:29], v31, off offset:64
	v_and_b32_e32 v32, 0x7f800000, v30
	s_delay_alu instid0(VALU_DEP_1) | instskip(SKIP_2) | instid1(SALU_CYCLE_1)
	v_cmp_ne_u32_e32 vcc_lo, 0x7f800000, v32
                                        ; implicit-def: $vgpr32
	s_wait_xcnt 0x0
	s_and_saveexec_b32 s24, vcc_lo
	s_xor_b32 s24, exec_lo, s24
; %bb.21:                               ;   in Loop: Header=BB425_4 Depth=1
	v_bfe_u32 v31, v30, 16, 1
	s_delay_alu instid0(VALU_DEP_1)
	v_add3_u32 v32, v30, v31, 0x7fff
                                        ; implicit-def: $vgpr30
; %bb.22:                               ;   in Loop: Header=BB425_4 Depth=1
	s_and_not1_saveexec_b32 s24, s24
; %bb.23:                               ;   in Loop: Header=BB425_4 Depth=1
	v_and_b32_e32 v31, 0xffff, v30
	v_or_b32_e32 v32, 0x10000, v30
	s_delay_alu instid0(VALU_DEP_2) | instskip(NEXT) | instid1(VALU_DEP_2)
	v_cmp_eq_u32_e32 vcc_lo, 0, v31
	v_cndmask_b32_e32 v32, v32, v30, vcc_lo
; %bb.24:                               ;   in Loop: Header=BB425_4 Depth=1
	s_or_b32 exec_lo, exec_lo, s24
	v_mul_f32_e32 v31, s2, v20
	global_store_d16_hi_b16 v[28:29], v32, off offset:96
	v_and_b32_e32 v30, 0x7f800000, v31
	s_delay_alu instid0(VALU_DEP_1) | instskip(SKIP_2) | instid1(SALU_CYCLE_1)
	v_cmp_ne_u32_e32 vcc_lo, 0x7f800000, v30
                                        ; implicit-def: $vgpr30
	s_wait_xcnt 0x0
	s_and_saveexec_b32 s24, vcc_lo
	s_xor_b32 s24, exec_lo, s24
; %bb.25:                               ;   in Loop: Header=BB425_4 Depth=1
	v_bfe_u32 v28, v31, 16, 1
	s_delay_alu instid0(VALU_DEP_1)
	v_add3_u32 v30, v31, v28, 0x7fff
                                        ; implicit-def: $vgpr31
; %bb.26:                               ;   in Loop: Header=BB425_4 Depth=1
	s_and_not1_saveexec_b32 s24, s24
; %bb.27:                               ;   in Loop: Header=BB425_4 Depth=1
	v_and_b32_e32 v28, 0xffff, v31
	v_or_b32_e32 v29, 0x10000, v31
	s_delay_alu instid0(VALU_DEP_2) | instskip(NEXT) | instid1(VALU_DEP_2)
	v_cmp_eq_u32_e32 vcc_lo, 0, v28
	v_cndmask_b32_e32 v30, v29, v31, vcc_lo
; %bb.28:                               ;   in Loop: Header=BB425_4 Depth=1
	s_or_b32 exec_lo, exec_lo, s24
	v_mul_f32_e32 v31, s2, v21
	v_lshl_add_u64 v[26:27], s[20:21], 1, v[26:27]
	s_delay_alu instid0(VALU_DEP_2) | instskip(NEXT) | instid1(VALU_DEP_2)
	v_and_b32_e32 v32, 0x7f800000, v31
	v_lshl_add_u64 v[28:29], v[2:3], 1, v[26:27]
	s_delay_alu instid0(VALU_DEP_2) | instskip(SKIP_3) | instid1(SALU_CYCLE_1)
	v_cmp_ne_u32_e32 vcc_lo, 0x7f800000, v32
	global_store_d16_hi_b16 v[28:29], v30, off
                                        ; implicit-def: $vgpr32
	s_wait_xcnt 0x0
	s_and_saveexec_b32 s24, vcc_lo
	s_xor_b32 s24, exec_lo, s24
; %bb.29:                               ;   in Loop: Header=BB425_4 Depth=1
	v_bfe_u32 v30, v31, 16, 1
	s_delay_alu instid0(VALU_DEP_1)
	v_add3_u32 v32, v31, v30, 0x7fff
                                        ; implicit-def: $vgpr31
; %bb.30:                               ;   in Loop: Header=BB425_4 Depth=1
	s_and_not1_saveexec_b32 s24, s24
; %bb.31:                               ;   in Loop: Header=BB425_4 Depth=1
	v_and_b32_e32 v30, 0xffff, v31
	v_or_b32_e32 v32, 0x10000, v31
	s_delay_alu instid0(VALU_DEP_2) | instskip(NEXT) | instid1(VALU_DEP_2)
	v_cmp_eq_u32_e32 vcc_lo, 0, v30
	v_cndmask_b32_e32 v32, v32, v31, vcc_lo
; %bb.32:                               ;   in Loop: Header=BB425_4 Depth=1
	s_or_b32 exec_lo, exec_lo, s24
	v_mul_f32_e32 v30, s2, v18
	global_store_d16_hi_b16 v[28:29], v32, off offset:32
	v_and_b32_e32 v31, 0x7f800000, v30
	s_delay_alu instid0(VALU_DEP_1) | instskip(SKIP_2) | instid1(SALU_CYCLE_1)
	v_cmp_ne_u32_e32 vcc_lo, 0x7f800000, v31
                                        ; implicit-def: $vgpr31
	s_wait_xcnt 0x0
	s_and_saveexec_b32 s24, vcc_lo
	s_xor_b32 s24, exec_lo, s24
; %bb.33:                               ;   in Loop: Header=BB425_4 Depth=1
	v_bfe_u32 v31, v30, 16, 1
	s_delay_alu instid0(VALU_DEP_1)
	v_add3_u32 v31, v30, v31, 0x7fff
                                        ; implicit-def: $vgpr30
; %bb.34:                               ;   in Loop: Header=BB425_4 Depth=1
	s_and_not1_saveexec_b32 s24, s24
; %bb.35:                               ;   in Loop: Header=BB425_4 Depth=1
	v_and_b32_e32 v31, 0xffff, v30
	v_or_b32_e32 v32, 0x10000, v30
	s_delay_alu instid0(VALU_DEP_2) | instskip(NEXT) | instid1(VALU_DEP_2)
	v_cmp_eq_u32_e32 vcc_lo, 0, v31
	v_cndmask_b32_e32 v31, v32, v30, vcc_lo
; %bb.36:                               ;   in Loop: Header=BB425_4 Depth=1
	s_or_b32 exec_lo, exec_lo, s24
	v_mul_f32_e32 v30, s2, v19
	global_store_d16_hi_b16 v[28:29], v31, off offset:64
	v_and_b32_e32 v32, 0x7f800000, v30
	s_delay_alu instid0(VALU_DEP_1) | instskip(SKIP_2) | instid1(SALU_CYCLE_1)
	v_cmp_ne_u32_e32 vcc_lo, 0x7f800000, v32
                                        ; implicit-def: $vgpr32
	s_wait_xcnt 0x0
	s_and_saveexec_b32 s24, vcc_lo
	s_xor_b32 s24, exec_lo, s24
; %bb.37:                               ;   in Loop: Header=BB425_4 Depth=1
	v_bfe_u32 v31, v30, 16, 1
	s_delay_alu instid0(VALU_DEP_1)
	v_add3_u32 v32, v30, v31, 0x7fff
                                        ; implicit-def: $vgpr30
; %bb.38:                               ;   in Loop: Header=BB425_4 Depth=1
	s_and_not1_saveexec_b32 s24, s24
; %bb.39:                               ;   in Loop: Header=BB425_4 Depth=1
	v_and_b32_e32 v31, 0xffff, v30
	v_or_b32_e32 v32, 0x10000, v30
	s_delay_alu instid0(VALU_DEP_2) | instskip(NEXT) | instid1(VALU_DEP_2)
	v_cmp_eq_u32_e32 vcc_lo, 0, v31
	v_cndmask_b32_e32 v32, v32, v30, vcc_lo
; %bb.40:                               ;   in Loop: Header=BB425_4 Depth=1
	s_or_b32 exec_lo, exec_lo, s24
	v_mul_f32_e32 v31, s2, v16
	global_store_d16_hi_b16 v[28:29], v32, off offset:96
	v_and_b32_e32 v30, 0x7f800000, v31
	s_delay_alu instid0(VALU_DEP_1) | instskip(SKIP_2) | instid1(SALU_CYCLE_1)
	v_cmp_ne_u32_e32 vcc_lo, 0x7f800000, v30
                                        ; implicit-def: $vgpr30
	s_wait_xcnt 0x0
	s_and_saveexec_b32 s24, vcc_lo
	s_xor_b32 s24, exec_lo, s24
; %bb.41:                               ;   in Loop: Header=BB425_4 Depth=1
	v_bfe_u32 v28, v31, 16, 1
	s_delay_alu instid0(VALU_DEP_1)
	v_add3_u32 v30, v31, v28, 0x7fff
                                        ; implicit-def: $vgpr31
; %bb.42:                               ;   in Loop: Header=BB425_4 Depth=1
	s_and_not1_saveexec_b32 s24, s24
; %bb.43:                               ;   in Loop: Header=BB425_4 Depth=1
	v_and_b32_e32 v28, 0xffff, v31
	v_or_b32_e32 v29, 0x10000, v31
	s_delay_alu instid0(VALU_DEP_2) | instskip(NEXT) | instid1(VALU_DEP_2)
	v_cmp_eq_u32_e32 vcc_lo, 0, v28
	v_cndmask_b32_e32 v30, v29, v31, vcc_lo
; %bb.44:                               ;   in Loop: Header=BB425_4 Depth=1
	s_or_b32 exec_lo, exec_lo, s24
	v_mul_f32_e32 v31, s2, v17
	v_lshl_add_u64 v[26:27], s[20:21], 1, v[26:27]
	s_delay_alu instid0(VALU_DEP_2) | instskip(NEXT) | instid1(VALU_DEP_2)
	v_and_b32_e32 v32, 0x7f800000, v31
	v_lshl_add_u64 v[28:29], v[2:3], 1, v[26:27]
	s_delay_alu instid0(VALU_DEP_2) | instskip(SKIP_3) | instid1(SALU_CYCLE_1)
	v_cmp_ne_u32_e32 vcc_lo, 0x7f800000, v32
	global_store_d16_hi_b16 v[28:29], v30, off
                                        ; implicit-def: $vgpr32
	s_wait_xcnt 0x0
	s_and_saveexec_b32 s24, vcc_lo
	s_xor_b32 s24, exec_lo, s24
; %bb.45:                               ;   in Loop: Header=BB425_4 Depth=1
	v_bfe_u32 v30, v31, 16, 1
	s_delay_alu instid0(VALU_DEP_1)
	v_add3_u32 v32, v31, v30, 0x7fff
                                        ; implicit-def: $vgpr31
; %bb.46:                               ;   in Loop: Header=BB425_4 Depth=1
	s_and_not1_saveexec_b32 s24, s24
; %bb.47:                               ;   in Loop: Header=BB425_4 Depth=1
	v_and_b32_e32 v30, 0xffff, v31
	v_or_b32_e32 v32, 0x10000, v31
	s_delay_alu instid0(VALU_DEP_2) | instskip(NEXT) | instid1(VALU_DEP_2)
	v_cmp_eq_u32_e32 vcc_lo, 0, v30
	v_cndmask_b32_e32 v32, v32, v31, vcc_lo
; %bb.48:                               ;   in Loop: Header=BB425_4 Depth=1
	s_or_b32 exec_lo, exec_lo, s24
	v_mul_f32_e32 v30, s2, v14
	global_store_d16_hi_b16 v[28:29], v32, off offset:32
	v_and_b32_e32 v31, 0x7f800000, v30
	s_delay_alu instid0(VALU_DEP_1) | instskip(SKIP_2) | instid1(SALU_CYCLE_1)
	v_cmp_ne_u32_e32 vcc_lo, 0x7f800000, v31
                                        ; implicit-def: $vgpr31
	s_wait_xcnt 0x0
	s_and_saveexec_b32 s24, vcc_lo
	s_xor_b32 s24, exec_lo, s24
; %bb.49:                               ;   in Loop: Header=BB425_4 Depth=1
	v_bfe_u32 v31, v30, 16, 1
	s_delay_alu instid0(VALU_DEP_1)
	v_add3_u32 v31, v30, v31, 0x7fff
                                        ; implicit-def: $vgpr30
; %bb.50:                               ;   in Loop: Header=BB425_4 Depth=1
	s_and_not1_saveexec_b32 s24, s24
; %bb.51:                               ;   in Loop: Header=BB425_4 Depth=1
	v_and_b32_e32 v31, 0xffff, v30
	v_or_b32_e32 v32, 0x10000, v30
	s_delay_alu instid0(VALU_DEP_2) | instskip(NEXT) | instid1(VALU_DEP_2)
	v_cmp_eq_u32_e32 vcc_lo, 0, v31
	v_cndmask_b32_e32 v31, v32, v30, vcc_lo
; %bb.52:                               ;   in Loop: Header=BB425_4 Depth=1
	s_or_b32 exec_lo, exec_lo, s24
	v_mul_f32_e32 v30, s2, v15
	s_mov_b32 s24, exec_lo
	global_store_d16_hi_b16 v[28:29], v31, off offset:64
                                        ; implicit-def: $vgpr31
	v_and_b32_e32 v32, 0x7f800000, v30
	s_wait_xcnt 0x0
	s_delay_alu instid0(VALU_DEP_1)
	v_cmpx_ne_u32_e32 0x7f800000, v32
	s_xor_b32 s24, exec_lo, s24
; %bb.53:                               ;   in Loop: Header=BB425_4 Depth=1
	v_bfe_u32 v31, v30, 16, 1
	s_delay_alu instid0(VALU_DEP_1)
	v_add3_u32 v31, v30, v31, 0x7fff
                                        ; implicit-def: $vgpr30
; %bb.54:                               ;   in Loop: Header=BB425_4 Depth=1
	s_and_not1_saveexec_b32 s24, s24
; %bb.55:                               ;   in Loop: Header=BB425_4 Depth=1
	v_and_b32_e32 v31, 0xffff, v30
	v_or_b32_e32 v32, 0x10000, v30
	s_delay_alu instid0(VALU_DEP_2) | instskip(NEXT) | instid1(VALU_DEP_2)
	v_cmp_eq_u32_e32 vcc_lo, 0, v31
	v_cndmask_b32_e32 v31, v32, v30, vcc_lo
; %bb.56:                               ;   in Loop: Header=BB425_4 Depth=1
	s_or_b32 exec_lo, exec_lo, s24
	v_mul_f32_e32 v30, s2, v12
	s_mov_b32 s24, exec_lo
	global_store_d16_hi_b16 v[28:29], v31, off offset:96
                                        ; implicit-def: $vgpr28
	v_and_b32_e32 v32, 0x7f800000, v30
	s_wait_xcnt 0x0
	s_delay_alu instid0(VALU_DEP_1)
	v_cmpx_ne_u32_e32 0x7f800000, v32
	s_xor_b32 s24, exec_lo, s24
; %bb.57:                               ;   in Loop: Header=BB425_4 Depth=1
	v_bfe_u32 v28, v30, 16, 1
	s_delay_alu instid0(VALU_DEP_1)
	v_add3_u32 v28, v30, v28, 0x7fff
                                        ; implicit-def: $vgpr30
; %bb.58:                               ;   in Loop: Header=BB425_4 Depth=1
	s_and_not1_saveexec_b32 s24, s24
; %bb.59:                               ;   in Loop: Header=BB425_4 Depth=1
	v_and_b32_e32 v28, 0xffff, v30
	v_or_b32_e32 v29, 0x10000, v30
	s_delay_alu instid0(VALU_DEP_2) | instskip(NEXT) | instid1(VALU_DEP_2)
	v_cmp_eq_u32_e32 vcc_lo, 0, v28
	v_cndmask_b32_e32 v28, v29, v30, vcc_lo
; %bb.60:                               ;   in Loop: Header=BB425_4 Depth=1
	s_or_b32 exec_lo, exec_lo, s24
	v_mul_f32_e32 v29, s2, v13
	v_lshl_add_u64 v[26:27], s[20:21], 1, v[26:27]
	s_delay_alu instid0(VALU_DEP_2) | instskip(NEXT) | instid1(VALU_DEP_2)
	v_and_b32_e32 v30, 0x7f800000, v29
	v_lshl_add_u64 v[26:27], v[2:3], 1, v[26:27]
	s_delay_alu instid0(VALU_DEP_2) | instskip(SKIP_3) | instid1(SALU_CYCLE_1)
	v_cmp_ne_u32_e32 vcc_lo, 0x7f800000, v30
	global_store_d16_hi_b16 v[26:27], v28, off
                                        ; implicit-def: $vgpr30
	s_wait_xcnt 0x0
	s_and_saveexec_b32 s24, vcc_lo
	s_xor_b32 s24, exec_lo, s24
; %bb.61:                               ;   in Loop: Header=BB425_4 Depth=1
	v_bfe_u32 v28, v29, 16, 1
	s_delay_alu instid0(VALU_DEP_1)
	v_add3_u32 v30, v29, v28, 0x7fff
                                        ; implicit-def: $vgpr29
; %bb.62:                               ;   in Loop: Header=BB425_4 Depth=1
	s_and_not1_saveexec_b32 s24, s24
; %bb.63:                               ;   in Loop: Header=BB425_4 Depth=1
	v_and_b32_e32 v28, 0xffff, v29
	v_or_b32_e32 v30, 0x10000, v29
	s_delay_alu instid0(VALU_DEP_2) | instskip(NEXT) | instid1(VALU_DEP_2)
	v_cmp_eq_u32_e32 vcc_lo, 0, v28
	v_cndmask_b32_e32 v30, v30, v29, vcc_lo
; %bb.64:                               ;   in Loop: Header=BB425_4 Depth=1
	s_or_b32 exec_lo, exec_lo, s24
	v_mul_f32_e32 v28, s2, v10
	global_store_d16_hi_b16 v[26:27], v30, off offset:32
	v_and_b32_e32 v29, 0x7f800000, v28
	s_delay_alu instid0(VALU_DEP_1) | instskip(SKIP_2) | instid1(SALU_CYCLE_1)
	v_cmp_ne_u32_e32 vcc_lo, 0x7f800000, v29
                                        ; implicit-def: $vgpr29
	s_wait_xcnt 0x0
	s_and_saveexec_b32 s24, vcc_lo
	s_xor_b32 s24, exec_lo, s24
; %bb.65:                               ;   in Loop: Header=BB425_4 Depth=1
	v_bfe_u32 v29, v28, 16, 1
	s_delay_alu instid0(VALU_DEP_1)
	v_add3_u32 v29, v28, v29, 0x7fff
                                        ; implicit-def: $vgpr28
; %bb.66:                               ;   in Loop: Header=BB425_4 Depth=1
	s_and_not1_saveexec_b32 s24, s24
; %bb.67:                               ;   in Loop: Header=BB425_4 Depth=1
	v_and_b32_e32 v29, 0xffff, v28
	v_or_b32_e32 v30, 0x10000, v28
	s_delay_alu instid0(VALU_DEP_2) | instskip(NEXT) | instid1(VALU_DEP_2)
	v_cmp_eq_u32_e32 vcc_lo, 0, v29
	v_cndmask_b32_e32 v29, v30, v28, vcc_lo
; %bb.68:                               ;   in Loop: Header=BB425_4 Depth=1
	s_or_b32 exec_lo, exec_lo, s24
	v_mul_f32_e32 v28, s2, v11
	s_mov_b32 s24, exec_lo
	global_store_d16_hi_b16 v[26:27], v29, off offset:64
                                        ; implicit-def: $vgpr29
	v_and_b32_e32 v30, 0x7f800000, v28
	s_wait_xcnt 0x0
	s_delay_alu instid0(VALU_DEP_1)
	v_cmpx_ne_u32_e32 0x7f800000, v30
	s_xor_b32 s24, exec_lo, s24
; %bb.69:                               ;   in Loop: Header=BB425_4 Depth=1
	v_bfe_u32 v29, v28, 16, 1
	s_delay_alu instid0(VALU_DEP_1)
	v_add3_u32 v29, v28, v29, 0x7fff
                                        ; implicit-def: $vgpr28
; %bb.70:                               ;   in Loop: Header=BB425_4 Depth=1
	s_and_not1_saveexec_b32 s24, s24
; %bb.71:                               ;   in Loop: Header=BB425_4 Depth=1
	v_and_b32_e32 v29, 0xffff, v28
	v_or_b32_e32 v30, 0x10000, v28
	s_delay_alu instid0(VALU_DEP_2) | instskip(NEXT) | instid1(VALU_DEP_2)
	v_cmp_eq_u32_e32 vcc_lo, 0, v29
	v_cndmask_b32_e32 v29, v30, v28, vcc_lo
; %bb.72:                               ;   in Loop: Header=BB425_4 Depth=1
	s_or_b32 exec_lo, exec_lo, s24
	global_store_d16_hi_b16 v[26:27], v29, off offset:96
	s_branch .LBB425_3
.LBB425_73:                             ;   in Loop: Header=BB425_4 Depth=1
	s_cbranch_execz .LBB425_3
; %bb.74:                               ;   in Loop: Header=BB425_4 Depth=1
	s_mul_u64 s[24:25], s[8:9], s[28:29]
	s_wait_xcnt 0x0
	v_lshl_add_u64 v[26:27], s[24:25], 1, v[4:5]
	s_delay_alu instid0(VALU_DEP_1) | instskip(SKIP_3) | instid1(VALU_DEP_1)
	v_lshl_add_u64 v[30:31], v[2:3], 1, v[26:27]
	global_load_u16 v28, v[30:31], off
	s_wait_loadcnt 0x0
	v_lshlrev_b32_e32 v28, 16, v28
	v_mul_f32_e32 v28, s30, v28
	s_delay_alu instid0(VALU_DEP_1) | instskip(NEXT) | instid1(VALU_DEP_1)
	v_and_b32_e32 v29, 0x7f800000, v28
	v_cmp_ne_u32_e32 vcc_lo, 0x7f800000, v29
                                        ; implicit-def: $vgpr29
	s_wait_xcnt 0x0
	s_and_saveexec_b32 s24, vcc_lo
	s_delay_alu instid0(SALU_CYCLE_1)
	s_xor_b32 s24, exec_lo, s24
; %bb.75:                               ;   in Loop: Header=BB425_4 Depth=1
	v_bfe_u32 v29, v28, 16, 1
	s_delay_alu instid0(VALU_DEP_1)
	v_add3_u32 v29, v28, v29, 0x7fff
                                        ; implicit-def: $vgpr28
; %bb.76:                               ;   in Loop: Header=BB425_4 Depth=1
	s_and_not1_saveexec_b32 s24, s24
; %bb.77:                               ;   in Loop: Header=BB425_4 Depth=1
	v_and_b32_e32 v29, 0xffff, v28
	v_or_b32_e32 v32, 0x10000, v28
	s_delay_alu instid0(VALU_DEP_2) | instskip(NEXT) | instid1(VALU_DEP_2)
	v_cmp_eq_u32_e32 vcc_lo, 0, v29
	v_cndmask_b32_e32 v29, v32, v28, vcc_lo
; %bb.78:                               ;   in Loop: Header=BB425_4 Depth=1
	s_or_b32 exec_lo, exec_lo, s24
	s_delay_alu instid0(VALU_DEP_1) | instskip(SKIP_1) | instid1(VALU_DEP_1)
	v_fma_mix_f32_bf16 v24, s2, v24, v29 op_sel:[0,0,1] op_sel_hi:[0,0,1]
	s_mov_b32 s24, exec_lo
                                        ; implicit-def: $vgpr38
	v_and_b32_e32 v28, 0x7f800000, v24
	s_delay_alu instid0(VALU_DEP_1)
	v_cmpx_ne_u32_e32 0x7f800000, v28
	s_xor_b32 s24, exec_lo, s24
; %bb.79:                               ;   in Loop: Header=BB425_4 Depth=1
	v_bfe_u32 v28, v24, 16, 1
	s_delay_alu instid0(VALU_DEP_1)
	v_add3_u32 v38, v24, v28, 0x7fff
                                        ; implicit-def: $vgpr24
; %bb.80:                               ;   in Loop: Header=BB425_4 Depth=1
	s_and_not1_saveexec_b32 s24, s24
; %bb.81:                               ;   in Loop: Header=BB425_4 Depth=1
	v_and_b32_e32 v28, 0xffff, v24
	v_or_b32_e32 v29, 0x10000, v24
	s_delay_alu instid0(VALU_DEP_2) | instskip(NEXT) | instid1(VALU_DEP_2)
	v_cmp_eq_u32_e32 vcc_lo, 0, v28
	v_cndmask_b32_e32 v38, v29, v24, vcc_lo
; %bb.82:                               ;   in Loop: Header=BB425_4 Depth=1
	s_or_b32 exec_lo, exec_lo, s24
	v_lshl_add_u64 v[28:29], v[0:1], 1, s[18:19]
	s_delay_alu instid0(VALU_DEP_1) | instskip(SKIP_4) | instid1(VALU_DEP_1)
	v_lshl_add_u64 v[32:33], v[2:3], 1, v[28:29]
	global_store_d16_hi_b16 v[32:33], v38, off
	global_load_u16 v24, v[30:31], off offset:32
	s_wait_loadcnt 0x0
	v_lshlrev_b32_e32 v24, 16, v24
	v_mul_f32_e32 v24, s30, v24
	s_wait_xcnt 0x1
	s_delay_alu instid0(VALU_DEP_1) | instskip(NEXT) | instid1(VALU_DEP_1)
	v_and_b32_e32 v38, 0x7f800000, v24
	v_cmp_ne_u32_e32 vcc_lo, 0x7f800000, v38
                                        ; implicit-def: $vgpr38
	s_wait_xcnt 0x0
	s_and_saveexec_b32 s18, vcc_lo
	s_delay_alu instid0(SALU_CYCLE_1)
	s_xor_b32 s18, exec_lo, s18
; %bb.83:                               ;   in Loop: Header=BB425_4 Depth=1
	v_bfe_u32 v38, v24, 16, 1
	s_delay_alu instid0(VALU_DEP_1)
	v_add3_u32 v38, v24, v38, 0x7fff
                                        ; implicit-def: $vgpr24
; %bb.84:                               ;   in Loop: Header=BB425_4 Depth=1
	s_and_not1_saveexec_b32 s18, s18
; %bb.85:                               ;   in Loop: Header=BB425_4 Depth=1
	v_and_b32_e32 v38, 0xffff, v24
	v_or_b32_e32 v39, 0x10000, v24
	s_delay_alu instid0(VALU_DEP_2) | instskip(NEXT) | instid1(VALU_DEP_2)
	v_cmp_eq_u32_e32 vcc_lo, 0, v38
	v_cndmask_b32_e32 v38, v39, v24, vcc_lo
; %bb.86:                               ;   in Loop: Header=BB425_4 Depth=1
	s_or_b32 exec_lo, exec_lo, s18
	s_delay_alu instid0(VALU_DEP_1) | instskip(NEXT) | instid1(VALU_DEP_1)
	v_fma_mix_f32_bf16 v24, s2, v25, v38 op_sel:[0,0,1] op_sel_hi:[0,0,1]
	v_and_b32_e32 v25, 0x7f800000, v24
	s_delay_alu instid0(VALU_DEP_1) | instskip(SKIP_1) | instid1(SALU_CYCLE_1)
	v_cmp_ne_u32_e32 vcc_lo, 0x7f800000, v25
                                        ; implicit-def: $vgpr25
	s_and_saveexec_b32 s18, vcc_lo
	s_xor_b32 s18, exec_lo, s18
; %bb.87:                               ;   in Loop: Header=BB425_4 Depth=1
	v_bfe_u32 v25, v24, 16, 1
	s_delay_alu instid0(VALU_DEP_1)
	v_add3_u32 v25, v24, v25, 0x7fff
                                        ; implicit-def: $vgpr24
; %bb.88:                               ;   in Loop: Header=BB425_4 Depth=1
	s_and_not1_saveexec_b32 s18, s18
; %bb.89:                               ;   in Loop: Header=BB425_4 Depth=1
	v_and_b32_e32 v25, 0xffff, v24
	v_or_b32_e32 v38, 0x10000, v24
	s_delay_alu instid0(VALU_DEP_2) | instskip(NEXT) | instid1(VALU_DEP_2)
	v_cmp_eq_u32_e32 vcc_lo, 0, v25
	v_cndmask_b32_e32 v25, v38, v24, vcc_lo
; %bb.90:                               ;   in Loop: Header=BB425_4 Depth=1
	s_or_b32 exec_lo, exec_lo, s18
	global_store_d16_hi_b16 v[32:33], v25, off offset:32
	global_load_u16 v24, v[30:31], off offset:64
	s_wait_loadcnt 0x0
	v_lshlrev_b32_e32 v24, 16, v24
	s_delay_alu instid0(VALU_DEP_1) | instskip(SKIP_1) | instid1(VALU_DEP_1)
	v_mul_f32_e32 v24, s30, v24
	s_wait_xcnt 0x1
	v_and_b32_e32 v25, 0x7f800000, v24
	s_delay_alu instid0(VALU_DEP_1) | instskip(SKIP_2) | instid1(SALU_CYCLE_1)
	v_cmp_ne_u32_e32 vcc_lo, 0x7f800000, v25
                                        ; implicit-def: $vgpr25
	s_wait_xcnt 0x0
	s_and_saveexec_b32 s18, vcc_lo
	s_xor_b32 s18, exec_lo, s18
; %bb.91:                               ;   in Loop: Header=BB425_4 Depth=1
	v_bfe_u32 v25, v24, 16, 1
	s_delay_alu instid0(VALU_DEP_1)
	v_add3_u32 v25, v24, v25, 0x7fff
                                        ; implicit-def: $vgpr24
; %bb.92:                               ;   in Loop: Header=BB425_4 Depth=1
	s_and_not1_saveexec_b32 s18, s18
; %bb.93:                               ;   in Loop: Header=BB425_4 Depth=1
	v_and_b32_e32 v25, 0xffff, v24
	v_or_b32_e32 v38, 0x10000, v24
	s_delay_alu instid0(VALU_DEP_2) | instskip(NEXT) | instid1(VALU_DEP_2)
	v_cmp_eq_u32_e32 vcc_lo, 0, v25
	v_cndmask_b32_e32 v25, v38, v24, vcc_lo
; %bb.94:                               ;   in Loop: Header=BB425_4 Depth=1
	s_or_b32 exec_lo, exec_lo, s18
	s_delay_alu instid0(VALU_DEP_1) | instskip(NEXT) | instid1(VALU_DEP_1)
	v_fma_mix_f32_bf16 v22, s2, v22, v25 op_sel:[0,0,1] op_sel_hi:[0,0,1]
	v_and_b32_e32 v24, 0x7f800000, v22
	s_delay_alu instid0(VALU_DEP_1) | instskip(SKIP_1) | instid1(SALU_CYCLE_1)
	v_cmp_ne_u32_e32 vcc_lo, 0x7f800000, v24
                                        ; implicit-def: $vgpr24
	s_and_saveexec_b32 s18, vcc_lo
	s_xor_b32 s18, exec_lo, s18
; %bb.95:                               ;   in Loop: Header=BB425_4 Depth=1
	v_bfe_u32 v24, v22, 16, 1
	s_delay_alu instid0(VALU_DEP_1)
	v_add3_u32 v24, v22, v24, 0x7fff
                                        ; implicit-def: $vgpr22
; %bb.96:                               ;   in Loop: Header=BB425_4 Depth=1
	s_and_not1_saveexec_b32 s18, s18
; %bb.97:                               ;   in Loop: Header=BB425_4 Depth=1
	v_and_b32_e32 v24, 0xffff, v22
	v_or_b32_e32 v25, 0x10000, v22
	s_delay_alu instid0(VALU_DEP_2) | instskip(NEXT) | instid1(VALU_DEP_2)
	v_cmp_eq_u32_e32 vcc_lo, 0, v24
	v_cndmask_b32_e32 v24, v25, v22, vcc_lo
; %bb.98:                               ;   in Loop: Header=BB425_4 Depth=1
	s_or_b32 exec_lo, exec_lo, s18
	global_store_d16_hi_b16 v[32:33], v24, off offset:64
	global_load_u16 v22, v[30:31], off offset:96
	s_wait_loadcnt 0x0
	v_lshlrev_b32_e32 v22, 16, v22
	s_delay_alu instid0(VALU_DEP_1) | instskip(SKIP_1) | instid1(VALU_DEP_1)
	v_mul_f32_e32 v22, s30, v22
	s_wait_xcnt 0x1
	v_and_b32_e32 v24, 0x7f800000, v22
	s_delay_alu instid0(VALU_DEP_1) | instskip(SKIP_2) | instid1(SALU_CYCLE_1)
	v_cmp_ne_u32_e32 vcc_lo, 0x7f800000, v24
                                        ; implicit-def: $vgpr24
	s_wait_xcnt 0x0
	s_and_saveexec_b32 s18, vcc_lo
	s_xor_b32 s18, exec_lo, s18
; %bb.99:                               ;   in Loop: Header=BB425_4 Depth=1
	v_bfe_u32 v24, v22, 16, 1
	s_delay_alu instid0(VALU_DEP_1)
	v_add3_u32 v24, v22, v24, 0x7fff
                                        ; implicit-def: $vgpr22
; %bb.100:                              ;   in Loop: Header=BB425_4 Depth=1
	s_and_not1_saveexec_b32 s18, s18
; %bb.101:                              ;   in Loop: Header=BB425_4 Depth=1
	v_and_b32_e32 v24, 0xffff, v22
	v_or_b32_e32 v25, 0x10000, v22
	s_delay_alu instid0(VALU_DEP_2) | instskip(NEXT) | instid1(VALU_DEP_2)
	v_cmp_eq_u32_e32 vcc_lo, 0, v24
	v_cndmask_b32_e32 v24, v25, v22, vcc_lo
; %bb.102:                              ;   in Loop: Header=BB425_4 Depth=1
	s_or_b32 exec_lo, exec_lo, s18
	s_delay_alu instid0(VALU_DEP_1) | instskip(SKIP_1) | instid1(VALU_DEP_1)
	v_fma_mix_f32_bf16 v22, s2, v23, v24 op_sel:[0,0,1] op_sel_hi:[0,0,1]
	s_mov_b32 s18, exec_lo
                                        ; implicit-def: $vgpr24
	v_and_b32_e32 v23, 0x7f800000, v22
	s_delay_alu instid0(VALU_DEP_1)
	v_cmpx_ne_u32_e32 0x7f800000, v23
	s_xor_b32 s18, exec_lo, s18
; %bb.103:                              ;   in Loop: Header=BB425_4 Depth=1
	v_bfe_u32 v23, v22, 16, 1
	s_delay_alu instid0(VALU_DEP_1)
	v_add3_u32 v24, v22, v23, 0x7fff
                                        ; implicit-def: $vgpr22
; %bb.104:                              ;   in Loop: Header=BB425_4 Depth=1
	s_and_not1_saveexec_b32 s18, s18
; %bb.105:                              ;   in Loop: Header=BB425_4 Depth=1
	v_and_b32_e32 v23, 0xffff, v22
	v_or_b32_e32 v24, 0x10000, v22
	s_delay_alu instid0(VALU_DEP_2) | instskip(NEXT) | instid1(VALU_DEP_2)
	v_cmp_eq_u32_e32 vcc_lo, 0, v23
	v_cndmask_b32_e32 v24, v24, v22, vcc_lo
; %bb.106:                              ;   in Loop: Header=BB425_4 Depth=1
	s_or_b32 exec_lo, exec_lo, s18
	v_lshl_add_u64 v[22:23], s[6:7], 1, v[26:27]
	global_store_d16_hi_b16 v[32:33], v24, off offset:96
	v_lshl_add_u64 v[26:27], v[2:3], 1, v[22:23]
	global_load_u16 v24, v[26:27], off
	s_wait_loadcnt 0x0
	v_lshlrev_b32_e32 v24, 16, v24
	s_delay_alu instid0(VALU_DEP_1) | instskip(NEXT) | instid1(VALU_DEP_1)
	v_mul_f32_e32 v24, s30, v24
	v_and_b32_e32 v25, 0x7f800000, v24
	s_delay_alu instid0(VALU_DEP_1) | instskip(SKIP_2) | instid1(SALU_CYCLE_1)
	v_cmp_ne_u32_e32 vcc_lo, 0x7f800000, v25
                                        ; implicit-def: $vgpr25
	s_wait_xcnt 0x0
	s_and_saveexec_b32 s18, vcc_lo
	s_xor_b32 s18, exec_lo, s18
; %bb.107:                              ;   in Loop: Header=BB425_4 Depth=1
	v_bfe_u32 v25, v24, 16, 1
	s_delay_alu instid0(VALU_DEP_1)
	v_add3_u32 v25, v24, v25, 0x7fff
                                        ; implicit-def: $vgpr24
; %bb.108:                              ;   in Loop: Header=BB425_4 Depth=1
	s_and_not1_saveexec_b32 s18, s18
; %bb.109:                              ;   in Loop: Header=BB425_4 Depth=1
	v_and_b32_e32 v25, 0xffff, v24
	v_or_b32_e32 v30, 0x10000, v24
	s_delay_alu instid0(VALU_DEP_2) | instskip(NEXT) | instid1(VALU_DEP_2)
	v_cmp_eq_u32_e32 vcc_lo, 0, v25
	v_cndmask_b32_e32 v25, v30, v24, vcc_lo
; %bb.110:                              ;   in Loop: Header=BB425_4 Depth=1
	s_or_b32 exec_lo, exec_lo, s18
	s_delay_alu instid0(VALU_DEP_1) | instskip(SKIP_1) | instid1(VALU_DEP_1)
	v_fma_mix_f32_bf16 v20, s2, v20, v25 op_sel:[0,0,1] op_sel_hi:[0,0,1]
	s_mov_b32 s18, exec_lo
                                        ; implicit-def: $vgpr30
	v_and_b32_e32 v24, 0x7f800000, v20
	s_delay_alu instid0(VALU_DEP_1)
	v_cmpx_ne_u32_e32 0x7f800000, v24
	s_xor_b32 s18, exec_lo, s18
; %bb.111:                              ;   in Loop: Header=BB425_4 Depth=1
	v_bfe_u32 v24, v20, 16, 1
	s_delay_alu instid0(VALU_DEP_1)
	v_add3_u32 v30, v20, v24, 0x7fff
                                        ; implicit-def: $vgpr20
; %bb.112:                              ;   in Loop: Header=BB425_4 Depth=1
	s_and_not1_saveexec_b32 s18, s18
; %bb.113:                              ;   in Loop: Header=BB425_4 Depth=1
	v_and_b32_e32 v24, 0xffff, v20
	v_or_b32_e32 v25, 0x10000, v20
	s_delay_alu instid0(VALU_DEP_2) | instskip(NEXT) | instid1(VALU_DEP_2)
	v_cmp_eq_u32_e32 vcc_lo, 0, v24
	v_cndmask_b32_e32 v30, v25, v20, vcc_lo
; %bb.114:                              ;   in Loop: Header=BB425_4 Depth=1
	s_or_b32 exec_lo, exec_lo, s18
	v_lshl_add_u64 v[24:25], s[20:21], 1, v[28:29]
	s_delay_alu instid0(VALU_DEP_1) | instskip(SKIP_4) | instid1(VALU_DEP_1)
	v_lshl_add_u64 v[28:29], v[2:3], 1, v[24:25]
	global_store_d16_hi_b16 v[28:29], v30, off
	global_load_u16 v20, v[26:27], off offset:32
	s_wait_loadcnt 0x0
	v_lshlrev_b32_e32 v20, 16, v20
	v_mul_f32_e32 v20, s30, v20
	s_wait_xcnt 0x1
	s_delay_alu instid0(VALU_DEP_1) | instskip(NEXT) | instid1(VALU_DEP_1)
	v_and_b32_e32 v30, 0x7f800000, v20
	v_cmp_ne_u32_e32 vcc_lo, 0x7f800000, v30
                                        ; implicit-def: $vgpr30
	s_wait_xcnt 0x0
	s_and_saveexec_b32 s18, vcc_lo
	s_delay_alu instid0(SALU_CYCLE_1)
	s_xor_b32 s18, exec_lo, s18
; %bb.115:                              ;   in Loop: Header=BB425_4 Depth=1
	v_bfe_u32 v30, v20, 16, 1
	s_delay_alu instid0(VALU_DEP_1)
	v_add3_u32 v30, v20, v30, 0x7fff
                                        ; implicit-def: $vgpr20
; %bb.116:                              ;   in Loop: Header=BB425_4 Depth=1
	s_and_not1_saveexec_b32 s18, s18
; %bb.117:                              ;   in Loop: Header=BB425_4 Depth=1
	v_and_b32_e32 v30, 0xffff, v20
	v_or_b32_e32 v31, 0x10000, v20
	s_delay_alu instid0(VALU_DEP_2) | instskip(NEXT) | instid1(VALU_DEP_2)
	v_cmp_eq_u32_e32 vcc_lo, 0, v30
	v_cndmask_b32_e32 v30, v31, v20, vcc_lo
; %bb.118:                              ;   in Loop: Header=BB425_4 Depth=1
	s_or_b32 exec_lo, exec_lo, s18
	s_delay_alu instid0(VALU_DEP_1) | instskip(NEXT) | instid1(VALU_DEP_1)
	v_fma_mix_f32_bf16 v20, s2, v21, v30 op_sel:[0,0,1] op_sel_hi:[0,0,1]
	v_and_b32_e32 v21, 0x7f800000, v20
	s_delay_alu instid0(VALU_DEP_1) | instskip(SKIP_1) | instid1(SALU_CYCLE_1)
	v_cmp_ne_u32_e32 vcc_lo, 0x7f800000, v21
                                        ; implicit-def: $vgpr21
	s_and_saveexec_b32 s18, vcc_lo
	s_xor_b32 s18, exec_lo, s18
; %bb.119:                              ;   in Loop: Header=BB425_4 Depth=1
	v_bfe_u32 v21, v20, 16, 1
	s_delay_alu instid0(VALU_DEP_1)
	v_add3_u32 v21, v20, v21, 0x7fff
                                        ; implicit-def: $vgpr20
; %bb.120:                              ;   in Loop: Header=BB425_4 Depth=1
	s_and_not1_saveexec_b32 s18, s18
; %bb.121:                              ;   in Loop: Header=BB425_4 Depth=1
	v_and_b32_e32 v21, 0xffff, v20
	v_or_b32_e32 v30, 0x10000, v20
	s_delay_alu instid0(VALU_DEP_2) | instskip(NEXT) | instid1(VALU_DEP_2)
	v_cmp_eq_u32_e32 vcc_lo, 0, v21
	v_cndmask_b32_e32 v21, v30, v20, vcc_lo
; %bb.122:                              ;   in Loop: Header=BB425_4 Depth=1
	s_or_b32 exec_lo, exec_lo, s18
	global_store_d16_hi_b16 v[28:29], v21, off offset:32
	global_load_u16 v20, v[26:27], off offset:64
	s_wait_loadcnt 0x0
	v_lshlrev_b32_e32 v20, 16, v20
	s_delay_alu instid0(VALU_DEP_1) | instskip(SKIP_1) | instid1(VALU_DEP_1)
	v_mul_f32_e32 v20, s30, v20
	s_wait_xcnt 0x1
	v_and_b32_e32 v21, 0x7f800000, v20
	s_delay_alu instid0(VALU_DEP_1) | instskip(SKIP_2) | instid1(SALU_CYCLE_1)
	v_cmp_ne_u32_e32 vcc_lo, 0x7f800000, v21
                                        ; implicit-def: $vgpr21
	s_wait_xcnt 0x0
	s_and_saveexec_b32 s18, vcc_lo
	s_xor_b32 s18, exec_lo, s18
; %bb.123:                              ;   in Loop: Header=BB425_4 Depth=1
	v_bfe_u32 v21, v20, 16, 1
	s_delay_alu instid0(VALU_DEP_1)
	v_add3_u32 v21, v20, v21, 0x7fff
                                        ; implicit-def: $vgpr20
; %bb.124:                              ;   in Loop: Header=BB425_4 Depth=1
	s_and_not1_saveexec_b32 s18, s18
; %bb.125:                              ;   in Loop: Header=BB425_4 Depth=1
	v_and_b32_e32 v21, 0xffff, v20
	v_or_b32_e32 v30, 0x10000, v20
	s_delay_alu instid0(VALU_DEP_2) | instskip(NEXT) | instid1(VALU_DEP_2)
	v_cmp_eq_u32_e32 vcc_lo, 0, v21
	v_cndmask_b32_e32 v21, v30, v20, vcc_lo
; %bb.126:                              ;   in Loop: Header=BB425_4 Depth=1
	s_or_b32 exec_lo, exec_lo, s18
	s_delay_alu instid0(VALU_DEP_1) | instskip(NEXT) | instid1(VALU_DEP_1)
	v_fma_mix_f32_bf16 v18, s2, v18, v21 op_sel:[0,0,1] op_sel_hi:[0,0,1]
	v_and_b32_e32 v20, 0x7f800000, v18
	s_delay_alu instid0(VALU_DEP_1) | instskip(SKIP_1) | instid1(SALU_CYCLE_1)
	v_cmp_ne_u32_e32 vcc_lo, 0x7f800000, v20
                                        ; implicit-def: $vgpr20
	s_and_saveexec_b32 s18, vcc_lo
	s_xor_b32 s18, exec_lo, s18
; %bb.127:                              ;   in Loop: Header=BB425_4 Depth=1
	v_bfe_u32 v20, v18, 16, 1
	s_delay_alu instid0(VALU_DEP_1)
	v_add3_u32 v20, v18, v20, 0x7fff
                                        ; implicit-def: $vgpr18
; %bb.128:                              ;   in Loop: Header=BB425_4 Depth=1
	s_and_not1_saveexec_b32 s18, s18
; %bb.129:                              ;   in Loop: Header=BB425_4 Depth=1
	v_and_b32_e32 v20, 0xffff, v18
	v_or_b32_e32 v21, 0x10000, v18
	s_delay_alu instid0(VALU_DEP_2) | instskip(NEXT) | instid1(VALU_DEP_2)
	v_cmp_eq_u32_e32 vcc_lo, 0, v20
	v_cndmask_b32_e32 v20, v21, v18, vcc_lo
; %bb.130:                              ;   in Loop: Header=BB425_4 Depth=1
	s_or_b32 exec_lo, exec_lo, s18
	global_store_d16_hi_b16 v[28:29], v20, off offset:64
	global_load_u16 v18, v[26:27], off offset:96
	s_wait_loadcnt 0x0
	v_lshlrev_b32_e32 v18, 16, v18
	s_delay_alu instid0(VALU_DEP_1) | instskip(SKIP_1) | instid1(VALU_DEP_1)
	v_mul_f32_e32 v18, s30, v18
	s_wait_xcnt 0x1
	v_and_b32_e32 v20, 0x7f800000, v18
	s_delay_alu instid0(VALU_DEP_1) | instskip(SKIP_2) | instid1(SALU_CYCLE_1)
	v_cmp_ne_u32_e32 vcc_lo, 0x7f800000, v20
                                        ; implicit-def: $vgpr20
	s_wait_xcnt 0x0
	s_and_saveexec_b32 s18, vcc_lo
	s_xor_b32 s18, exec_lo, s18
; %bb.131:                              ;   in Loop: Header=BB425_4 Depth=1
	v_bfe_u32 v20, v18, 16, 1
	s_delay_alu instid0(VALU_DEP_1)
	v_add3_u32 v20, v18, v20, 0x7fff
                                        ; implicit-def: $vgpr18
; %bb.132:                              ;   in Loop: Header=BB425_4 Depth=1
	s_and_not1_saveexec_b32 s18, s18
; %bb.133:                              ;   in Loop: Header=BB425_4 Depth=1
	v_and_b32_e32 v20, 0xffff, v18
	v_or_b32_e32 v21, 0x10000, v18
	s_delay_alu instid0(VALU_DEP_2) | instskip(NEXT) | instid1(VALU_DEP_2)
	v_cmp_eq_u32_e32 vcc_lo, 0, v20
	v_cndmask_b32_e32 v20, v21, v18, vcc_lo
; %bb.134:                              ;   in Loop: Header=BB425_4 Depth=1
	s_or_b32 exec_lo, exec_lo, s18
	s_delay_alu instid0(VALU_DEP_1) | instskip(SKIP_1) | instid1(VALU_DEP_1)
	v_fma_mix_f32_bf16 v18, s2, v19, v20 op_sel:[0,0,1] op_sel_hi:[0,0,1]
	s_mov_b32 s18, exec_lo
                                        ; implicit-def: $vgpr20
	v_and_b32_e32 v19, 0x7f800000, v18
	s_delay_alu instid0(VALU_DEP_1)
	v_cmpx_ne_u32_e32 0x7f800000, v19
	s_xor_b32 s18, exec_lo, s18
; %bb.135:                              ;   in Loop: Header=BB425_4 Depth=1
	v_bfe_u32 v19, v18, 16, 1
	s_delay_alu instid0(VALU_DEP_1)
	v_add3_u32 v20, v18, v19, 0x7fff
                                        ; implicit-def: $vgpr18
; %bb.136:                              ;   in Loop: Header=BB425_4 Depth=1
	s_and_not1_saveexec_b32 s18, s18
; %bb.137:                              ;   in Loop: Header=BB425_4 Depth=1
	v_and_b32_e32 v19, 0xffff, v18
	v_or_b32_e32 v20, 0x10000, v18
	s_delay_alu instid0(VALU_DEP_2) | instskip(NEXT) | instid1(VALU_DEP_2)
	v_cmp_eq_u32_e32 vcc_lo, 0, v19
	v_cndmask_b32_e32 v20, v20, v18, vcc_lo
; %bb.138:                              ;   in Loop: Header=BB425_4 Depth=1
	s_or_b32 exec_lo, exec_lo, s18
	v_lshl_add_u64 v[18:19], s[6:7], 1, v[22:23]
	global_store_d16_hi_b16 v[28:29], v20, off offset:96
	v_lshl_add_u64 v[22:23], v[2:3], 1, v[18:19]
	global_load_u16 v20, v[22:23], off
	s_wait_loadcnt 0x0
	v_lshlrev_b32_e32 v20, 16, v20
	s_delay_alu instid0(VALU_DEP_1) | instskip(NEXT) | instid1(VALU_DEP_1)
	v_mul_f32_e32 v20, s30, v20
	v_and_b32_e32 v21, 0x7f800000, v20
	s_delay_alu instid0(VALU_DEP_1) | instskip(SKIP_2) | instid1(SALU_CYCLE_1)
	v_cmp_ne_u32_e32 vcc_lo, 0x7f800000, v21
                                        ; implicit-def: $vgpr21
	s_wait_xcnt 0x0
	s_and_saveexec_b32 s18, vcc_lo
	s_xor_b32 s18, exec_lo, s18
; %bb.139:                              ;   in Loop: Header=BB425_4 Depth=1
	v_bfe_u32 v21, v20, 16, 1
	s_delay_alu instid0(VALU_DEP_1)
	v_add3_u32 v21, v20, v21, 0x7fff
                                        ; implicit-def: $vgpr20
; %bb.140:                              ;   in Loop: Header=BB425_4 Depth=1
	s_and_not1_saveexec_b32 s18, s18
; %bb.141:                              ;   in Loop: Header=BB425_4 Depth=1
	v_and_b32_e32 v21, 0xffff, v20
	v_or_b32_e32 v26, 0x10000, v20
	s_delay_alu instid0(VALU_DEP_2) | instskip(NEXT) | instid1(VALU_DEP_2)
	v_cmp_eq_u32_e32 vcc_lo, 0, v21
	v_cndmask_b32_e32 v21, v26, v20, vcc_lo
; %bb.142:                              ;   in Loop: Header=BB425_4 Depth=1
	s_or_b32 exec_lo, exec_lo, s18
	s_delay_alu instid0(VALU_DEP_1) | instskip(SKIP_1) | instid1(VALU_DEP_1)
	v_fma_mix_f32_bf16 v16, s2, v16, v21 op_sel:[0,0,1] op_sel_hi:[0,0,1]
	s_mov_b32 s18, exec_lo
                                        ; implicit-def: $vgpr26
	v_and_b32_e32 v20, 0x7f800000, v16
	s_delay_alu instid0(VALU_DEP_1)
	v_cmpx_ne_u32_e32 0x7f800000, v20
	s_xor_b32 s18, exec_lo, s18
; %bb.143:                              ;   in Loop: Header=BB425_4 Depth=1
	v_bfe_u32 v20, v16, 16, 1
	s_delay_alu instid0(VALU_DEP_1)
	v_add3_u32 v26, v16, v20, 0x7fff
                                        ; implicit-def: $vgpr16
; %bb.144:                              ;   in Loop: Header=BB425_4 Depth=1
	s_and_not1_saveexec_b32 s18, s18
; %bb.145:                              ;   in Loop: Header=BB425_4 Depth=1
	v_and_b32_e32 v20, 0xffff, v16
	v_or_b32_e32 v21, 0x10000, v16
	s_delay_alu instid0(VALU_DEP_2) | instskip(NEXT) | instid1(VALU_DEP_2)
	v_cmp_eq_u32_e32 vcc_lo, 0, v20
	v_cndmask_b32_e32 v26, v21, v16, vcc_lo
; %bb.146:                              ;   in Loop: Header=BB425_4 Depth=1
	s_or_b32 exec_lo, exec_lo, s18
	v_lshl_add_u64 v[20:21], s[20:21], 1, v[24:25]
	s_delay_alu instid0(VALU_DEP_1) | instskip(SKIP_4) | instid1(VALU_DEP_1)
	v_lshl_add_u64 v[24:25], v[2:3], 1, v[20:21]
	global_store_d16_hi_b16 v[24:25], v26, off
	global_load_u16 v16, v[22:23], off offset:32
	s_wait_loadcnt 0x0
	v_lshlrev_b32_e32 v16, 16, v16
	v_mul_f32_e32 v16, s30, v16
	s_wait_xcnt 0x1
	s_delay_alu instid0(VALU_DEP_1) | instskip(NEXT) | instid1(VALU_DEP_1)
	v_and_b32_e32 v26, 0x7f800000, v16
	v_cmp_ne_u32_e32 vcc_lo, 0x7f800000, v26
                                        ; implicit-def: $vgpr26
	s_wait_xcnt 0x0
	s_and_saveexec_b32 s18, vcc_lo
	s_delay_alu instid0(SALU_CYCLE_1)
	s_xor_b32 s18, exec_lo, s18
; %bb.147:                              ;   in Loop: Header=BB425_4 Depth=1
	v_bfe_u32 v26, v16, 16, 1
	s_delay_alu instid0(VALU_DEP_1)
	v_add3_u32 v26, v16, v26, 0x7fff
                                        ; implicit-def: $vgpr16
; %bb.148:                              ;   in Loop: Header=BB425_4 Depth=1
	s_and_not1_saveexec_b32 s18, s18
; %bb.149:                              ;   in Loop: Header=BB425_4 Depth=1
	v_and_b32_e32 v26, 0xffff, v16
	v_or_b32_e32 v27, 0x10000, v16
	s_delay_alu instid0(VALU_DEP_2) | instskip(NEXT) | instid1(VALU_DEP_2)
	v_cmp_eq_u32_e32 vcc_lo, 0, v26
	v_cndmask_b32_e32 v26, v27, v16, vcc_lo
; %bb.150:                              ;   in Loop: Header=BB425_4 Depth=1
	s_or_b32 exec_lo, exec_lo, s18
	s_delay_alu instid0(VALU_DEP_1) | instskip(NEXT) | instid1(VALU_DEP_1)
	v_fma_mix_f32_bf16 v16, s2, v17, v26 op_sel:[0,0,1] op_sel_hi:[0,0,1]
	v_and_b32_e32 v17, 0x7f800000, v16
	s_delay_alu instid0(VALU_DEP_1) | instskip(SKIP_1) | instid1(SALU_CYCLE_1)
	v_cmp_ne_u32_e32 vcc_lo, 0x7f800000, v17
                                        ; implicit-def: $vgpr17
	s_and_saveexec_b32 s18, vcc_lo
	s_xor_b32 s18, exec_lo, s18
; %bb.151:                              ;   in Loop: Header=BB425_4 Depth=1
	v_bfe_u32 v17, v16, 16, 1
	s_delay_alu instid0(VALU_DEP_1)
	v_add3_u32 v17, v16, v17, 0x7fff
                                        ; implicit-def: $vgpr16
; %bb.152:                              ;   in Loop: Header=BB425_4 Depth=1
	s_and_not1_saveexec_b32 s18, s18
; %bb.153:                              ;   in Loop: Header=BB425_4 Depth=1
	v_and_b32_e32 v17, 0xffff, v16
	v_or_b32_e32 v26, 0x10000, v16
	s_delay_alu instid0(VALU_DEP_2) | instskip(NEXT) | instid1(VALU_DEP_2)
	v_cmp_eq_u32_e32 vcc_lo, 0, v17
	v_cndmask_b32_e32 v17, v26, v16, vcc_lo
; %bb.154:                              ;   in Loop: Header=BB425_4 Depth=1
	s_or_b32 exec_lo, exec_lo, s18
	global_store_d16_hi_b16 v[24:25], v17, off offset:32
	global_load_u16 v16, v[22:23], off offset:64
	s_wait_loadcnt 0x0
	v_lshlrev_b32_e32 v16, 16, v16
	s_delay_alu instid0(VALU_DEP_1) | instskip(SKIP_1) | instid1(VALU_DEP_1)
	v_mul_f32_e32 v16, s30, v16
	s_wait_xcnt 0x1
	v_and_b32_e32 v17, 0x7f800000, v16
	s_delay_alu instid0(VALU_DEP_1) | instskip(SKIP_2) | instid1(SALU_CYCLE_1)
	v_cmp_ne_u32_e32 vcc_lo, 0x7f800000, v17
                                        ; implicit-def: $vgpr17
	s_wait_xcnt 0x0
	s_and_saveexec_b32 s18, vcc_lo
	s_xor_b32 s18, exec_lo, s18
; %bb.155:                              ;   in Loop: Header=BB425_4 Depth=1
	v_bfe_u32 v17, v16, 16, 1
	s_delay_alu instid0(VALU_DEP_1)
	v_add3_u32 v17, v16, v17, 0x7fff
                                        ; implicit-def: $vgpr16
; %bb.156:                              ;   in Loop: Header=BB425_4 Depth=1
	s_and_not1_saveexec_b32 s18, s18
; %bb.157:                              ;   in Loop: Header=BB425_4 Depth=1
	v_and_b32_e32 v17, 0xffff, v16
	v_or_b32_e32 v26, 0x10000, v16
	s_delay_alu instid0(VALU_DEP_2) | instskip(NEXT) | instid1(VALU_DEP_2)
	v_cmp_eq_u32_e32 vcc_lo, 0, v17
	v_cndmask_b32_e32 v17, v26, v16, vcc_lo
; %bb.158:                              ;   in Loop: Header=BB425_4 Depth=1
	s_or_b32 exec_lo, exec_lo, s18
	s_delay_alu instid0(VALU_DEP_1) | instskip(NEXT) | instid1(VALU_DEP_1)
	v_fma_mix_f32_bf16 v14, s2, v14, v17 op_sel:[0,0,1] op_sel_hi:[0,0,1]
	v_and_b32_e32 v16, 0x7f800000, v14
	s_delay_alu instid0(VALU_DEP_1) | instskip(SKIP_1) | instid1(SALU_CYCLE_1)
	v_cmp_ne_u32_e32 vcc_lo, 0x7f800000, v16
                                        ; implicit-def: $vgpr16
	s_and_saveexec_b32 s18, vcc_lo
	s_xor_b32 s18, exec_lo, s18
; %bb.159:                              ;   in Loop: Header=BB425_4 Depth=1
	v_bfe_u32 v16, v14, 16, 1
	s_delay_alu instid0(VALU_DEP_1)
	v_add3_u32 v16, v14, v16, 0x7fff
                                        ; implicit-def: $vgpr14
; %bb.160:                              ;   in Loop: Header=BB425_4 Depth=1
	s_and_not1_saveexec_b32 s18, s18
; %bb.161:                              ;   in Loop: Header=BB425_4 Depth=1
	v_and_b32_e32 v16, 0xffff, v14
	v_or_b32_e32 v17, 0x10000, v14
	s_delay_alu instid0(VALU_DEP_2) | instskip(NEXT) | instid1(VALU_DEP_2)
	v_cmp_eq_u32_e32 vcc_lo, 0, v16
	v_cndmask_b32_e32 v16, v17, v14, vcc_lo
; %bb.162:                              ;   in Loop: Header=BB425_4 Depth=1
	s_or_b32 exec_lo, exec_lo, s18
	global_store_d16_hi_b16 v[24:25], v16, off offset:64
	global_load_u16 v14, v[22:23], off offset:96
	s_wait_loadcnt 0x0
	v_lshlrev_b32_e32 v14, 16, v14
	s_delay_alu instid0(VALU_DEP_1) | instskip(SKIP_1) | instid1(VALU_DEP_1)
	v_mul_f32_e32 v14, s30, v14
	s_wait_xcnt 0x1
	v_and_b32_e32 v16, 0x7f800000, v14
	s_delay_alu instid0(VALU_DEP_1) | instskip(SKIP_2) | instid1(SALU_CYCLE_1)
	v_cmp_ne_u32_e32 vcc_lo, 0x7f800000, v16
                                        ; implicit-def: $vgpr16
	s_wait_xcnt 0x0
	s_and_saveexec_b32 s18, vcc_lo
	s_xor_b32 s18, exec_lo, s18
; %bb.163:                              ;   in Loop: Header=BB425_4 Depth=1
	v_bfe_u32 v16, v14, 16, 1
	s_delay_alu instid0(VALU_DEP_1)
	v_add3_u32 v16, v14, v16, 0x7fff
                                        ; implicit-def: $vgpr14
; %bb.164:                              ;   in Loop: Header=BB425_4 Depth=1
	s_and_not1_saveexec_b32 s18, s18
; %bb.165:                              ;   in Loop: Header=BB425_4 Depth=1
	v_and_b32_e32 v16, 0xffff, v14
	v_or_b32_e32 v17, 0x10000, v14
	s_delay_alu instid0(VALU_DEP_2) | instskip(NEXT) | instid1(VALU_DEP_2)
	v_cmp_eq_u32_e32 vcc_lo, 0, v16
	v_cndmask_b32_e32 v16, v17, v14, vcc_lo
; %bb.166:                              ;   in Loop: Header=BB425_4 Depth=1
	s_or_b32 exec_lo, exec_lo, s18
	s_delay_alu instid0(VALU_DEP_1) | instskip(SKIP_1) | instid1(VALU_DEP_1)
	v_fma_mix_f32_bf16 v14, s2, v15, v16 op_sel:[0,0,1] op_sel_hi:[0,0,1]
	s_mov_b32 s18, exec_lo
                                        ; implicit-def: $vgpr16
	v_and_b32_e32 v15, 0x7f800000, v14
	s_delay_alu instid0(VALU_DEP_1)
	v_cmpx_ne_u32_e32 0x7f800000, v15
	s_xor_b32 s18, exec_lo, s18
; %bb.167:                              ;   in Loop: Header=BB425_4 Depth=1
	v_bfe_u32 v15, v14, 16, 1
	s_delay_alu instid0(VALU_DEP_1)
	v_add3_u32 v16, v14, v15, 0x7fff
                                        ; implicit-def: $vgpr14
; %bb.168:                              ;   in Loop: Header=BB425_4 Depth=1
	s_and_not1_saveexec_b32 s18, s18
; %bb.169:                              ;   in Loop: Header=BB425_4 Depth=1
	v_and_b32_e32 v15, 0xffff, v14
	v_or_b32_e32 v16, 0x10000, v14
	s_delay_alu instid0(VALU_DEP_2) | instskip(NEXT) | instid1(VALU_DEP_2)
	v_cmp_eq_u32_e32 vcc_lo, 0, v15
	v_cndmask_b32_e32 v16, v16, v14, vcc_lo
; %bb.170:                              ;   in Loop: Header=BB425_4 Depth=1
	s_or_b32 exec_lo, exec_lo, s18
	v_lshl_add_u64 v[14:15], s[6:7], 1, v[18:19]
	global_store_d16_hi_b16 v[24:25], v16, off offset:96
	v_lshl_add_u64 v[14:15], v[2:3], 1, v[14:15]
	global_load_u16 v16, v[14:15], off
	s_wait_loadcnt 0x0
	v_lshlrev_b32_e32 v16, 16, v16
	s_delay_alu instid0(VALU_DEP_1) | instskip(NEXT) | instid1(VALU_DEP_1)
	v_mul_f32_e32 v16, s30, v16
	v_and_b32_e32 v17, 0x7f800000, v16
	s_delay_alu instid0(VALU_DEP_1) | instskip(SKIP_2) | instid1(SALU_CYCLE_1)
	v_cmp_ne_u32_e32 vcc_lo, 0x7f800000, v17
                                        ; implicit-def: $vgpr17
	s_wait_xcnt 0x0
	s_and_saveexec_b32 s18, vcc_lo
	s_xor_b32 s18, exec_lo, s18
; %bb.171:                              ;   in Loop: Header=BB425_4 Depth=1
	v_bfe_u32 v17, v16, 16, 1
	s_delay_alu instid0(VALU_DEP_1)
	v_add3_u32 v17, v16, v17, 0x7fff
                                        ; implicit-def: $vgpr16
; %bb.172:                              ;   in Loop: Header=BB425_4 Depth=1
	s_and_not1_saveexec_b32 s18, s18
; %bb.173:                              ;   in Loop: Header=BB425_4 Depth=1
	v_and_b32_e32 v17, 0xffff, v16
	v_or_b32_e32 v18, 0x10000, v16
	s_delay_alu instid0(VALU_DEP_2) | instskip(NEXT) | instid1(VALU_DEP_2)
	v_cmp_eq_u32_e32 vcc_lo, 0, v17
	v_cndmask_b32_e32 v17, v18, v16, vcc_lo
; %bb.174:                              ;   in Loop: Header=BB425_4 Depth=1
	s_or_b32 exec_lo, exec_lo, s18
	s_delay_alu instid0(VALU_DEP_1) | instskip(SKIP_1) | instid1(VALU_DEP_1)
	v_fma_mix_f32_bf16 v12, s2, v12, v17 op_sel:[0,0,1] op_sel_hi:[0,0,1]
	s_mov_b32 s18, exec_lo
                                        ; implicit-def: $vgpr18
	v_and_b32_e32 v16, 0x7f800000, v12
	s_delay_alu instid0(VALU_DEP_1)
	v_cmpx_ne_u32_e32 0x7f800000, v16
	s_xor_b32 s18, exec_lo, s18
; %bb.175:                              ;   in Loop: Header=BB425_4 Depth=1
	v_bfe_u32 v16, v12, 16, 1
	s_delay_alu instid0(VALU_DEP_1)
	v_add3_u32 v18, v12, v16, 0x7fff
                                        ; implicit-def: $vgpr12
; %bb.176:                              ;   in Loop: Header=BB425_4 Depth=1
	s_and_not1_saveexec_b32 s18, s18
; %bb.177:                              ;   in Loop: Header=BB425_4 Depth=1
	v_and_b32_e32 v16, 0xffff, v12
	v_or_b32_e32 v17, 0x10000, v12
	s_delay_alu instid0(VALU_DEP_2) | instskip(NEXT) | instid1(VALU_DEP_2)
	v_cmp_eq_u32_e32 vcc_lo, 0, v16
	v_cndmask_b32_e32 v18, v17, v12, vcc_lo
; %bb.178:                              ;   in Loop: Header=BB425_4 Depth=1
	s_or_b32 exec_lo, exec_lo, s18
	v_lshl_add_u64 v[16:17], s[20:21], 1, v[20:21]
	s_delay_alu instid0(VALU_DEP_1) | instskip(SKIP_4) | instid1(VALU_DEP_1)
	v_lshl_add_u64 v[16:17], v[2:3], 1, v[16:17]
	global_store_d16_hi_b16 v[16:17], v18, off
	global_load_u16 v12, v[14:15], off offset:32
	s_wait_loadcnt 0x0
	v_lshlrev_b32_e32 v12, 16, v12
	v_mul_f32_e32 v12, s30, v12
	s_wait_xcnt 0x1
	s_delay_alu instid0(VALU_DEP_1) | instskip(NEXT) | instid1(VALU_DEP_1)
	v_and_b32_e32 v18, 0x7f800000, v12
	v_cmp_ne_u32_e32 vcc_lo, 0x7f800000, v18
                                        ; implicit-def: $vgpr18
	s_wait_xcnt 0x0
	s_and_saveexec_b32 s18, vcc_lo
	s_delay_alu instid0(SALU_CYCLE_1)
	s_xor_b32 s18, exec_lo, s18
; %bb.179:                              ;   in Loop: Header=BB425_4 Depth=1
	v_bfe_u32 v18, v12, 16, 1
	s_delay_alu instid0(VALU_DEP_1)
	v_add3_u32 v18, v12, v18, 0x7fff
                                        ; implicit-def: $vgpr12
; %bb.180:                              ;   in Loop: Header=BB425_4 Depth=1
	s_and_not1_saveexec_b32 s18, s18
; %bb.181:                              ;   in Loop: Header=BB425_4 Depth=1
	v_and_b32_e32 v18, 0xffff, v12
	v_or_b32_e32 v19, 0x10000, v12
	s_delay_alu instid0(VALU_DEP_2) | instskip(NEXT) | instid1(VALU_DEP_2)
	v_cmp_eq_u32_e32 vcc_lo, 0, v18
	v_cndmask_b32_e32 v18, v19, v12, vcc_lo
; %bb.182:                              ;   in Loop: Header=BB425_4 Depth=1
	s_or_b32 exec_lo, exec_lo, s18
	s_delay_alu instid0(VALU_DEP_1) | instskip(NEXT) | instid1(VALU_DEP_1)
	v_fma_mix_f32_bf16 v12, s2, v13, v18 op_sel:[0,0,1] op_sel_hi:[0,0,1]
	v_and_b32_e32 v13, 0x7f800000, v12
	s_delay_alu instid0(VALU_DEP_1) | instskip(SKIP_1) | instid1(SALU_CYCLE_1)
	v_cmp_ne_u32_e32 vcc_lo, 0x7f800000, v13
                                        ; implicit-def: $vgpr13
	s_and_saveexec_b32 s18, vcc_lo
	s_xor_b32 s18, exec_lo, s18
; %bb.183:                              ;   in Loop: Header=BB425_4 Depth=1
	v_bfe_u32 v13, v12, 16, 1
	s_delay_alu instid0(VALU_DEP_1)
	v_add3_u32 v13, v12, v13, 0x7fff
                                        ; implicit-def: $vgpr12
; %bb.184:                              ;   in Loop: Header=BB425_4 Depth=1
	s_and_not1_saveexec_b32 s18, s18
; %bb.185:                              ;   in Loop: Header=BB425_4 Depth=1
	v_and_b32_e32 v13, 0xffff, v12
	v_or_b32_e32 v18, 0x10000, v12
	s_delay_alu instid0(VALU_DEP_2) | instskip(NEXT) | instid1(VALU_DEP_2)
	v_cmp_eq_u32_e32 vcc_lo, 0, v13
	v_cndmask_b32_e32 v13, v18, v12, vcc_lo
; %bb.186:                              ;   in Loop: Header=BB425_4 Depth=1
	s_or_b32 exec_lo, exec_lo, s18
	global_store_d16_hi_b16 v[16:17], v13, off offset:32
	global_load_u16 v12, v[14:15], off offset:64
	s_wait_loadcnt 0x0
	v_lshlrev_b32_e32 v12, 16, v12
	s_delay_alu instid0(VALU_DEP_1) | instskip(SKIP_1) | instid1(VALU_DEP_1)
	v_mul_f32_e32 v12, s30, v12
	s_wait_xcnt 0x1
	v_and_b32_e32 v13, 0x7f800000, v12
	s_delay_alu instid0(VALU_DEP_1) | instskip(SKIP_2) | instid1(SALU_CYCLE_1)
	v_cmp_ne_u32_e32 vcc_lo, 0x7f800000, v13
                                        ; implicit-def: $vgpr13
	s_wait_xcnt 0x0
	s_and_saveexec_b32 s18, vcc_lo
	s_xor_b32 s18, exec_lo, s18
; %bb.187:                              ;   in Loop: Header=BB425_4 Depth=1
	v_bfe_u32 v13, v12, 16, 1
	s_delay_alu instid0(VALU_DEP_1)
	v_add3_u32 v13, v12, v13, 0x7fff
                                        ; implicit-def: $vgpr12
; %bb.188:                              ;   in Loop: Header=BB425_4 Depth=1
	s_and_not1_saveexec_b32 s18, s18
; %bb.189:                              ;   in Loop: Header=BB425_4 Depth=1
	v_and_b32_e32 v13, 0xffff, v12
	v_or_b32_e32 v18, 0x10000, v12
	s_delay_alu instid0(VALU_DEP_2) | instskip(NEXT) | instid1(VALU_DEP_2)
	v_cmp_eq_u32_e32 vcc_lo, 0, v13
	v_cndmask_b32_e32 v13, v18, v12, vcc_lo
; %bb.190:                              ;   in Loop: Header=BB425_4 Depth=1
	s_or_b32 exec_lo, exec_lo, s18
	s_delay_alu instid0(VALU_DEP_1) | instskip(NEXT) | instid1(VALU_DEP_1)
	v_fma_mix_f32_bf16 v10, s2, v10, v13 op_sel:[0,0,1] op_sel_hi:[0,0,1]
	v_and_b32_e32 v12, 0x7f800000, v10
	s_delay_alu instid0(VALU_DEP_1) | instskip(SKIP_1) | instid1(SALU_CYCLE_1)
	v_cmp_ne_u32_e32 vcc_lo, 0x7f800000, v12
                                        ; implicit-def: $vgpr12
	s_and_saveexec_b32 s18, vcc_lo
	s_xor_b32 s18, exec_lo, s18
; %bb.191:                              ;   in Loop: Header=BB425_4 Depth=1
	v_bfe_u32 v12, v10, 16, 1
	s_delay_alu instid0(VALU_DEP_1)
	v_add3_u32 v12, v10, v12, 0x7fff
                                        ; implicit-def: $vgpr10
; %bb.192:                              ;   in Loop: Header=BB425_4 Depth=1
	s_and_not1_saveexec_b32 s18, s18
; %bb.193:                              ;   in Loop: Header=BB425_4 Depth=1
	v_and_b32_e32 v12, 0xffff, v10
	v_or_b32_e32 v13, 0x10000, v10
	s_delay_alu instid0(VALU_DEP_2) | instskip(NEXT) | instid1(VALU_DEP_2)
	v_cmp_eq_u32_e32 vcc_lo, 0, v12
	v_cndmask_b32_e32 v12, v13, v10, vcc_lo
; %bb.194:                              ;   in Loop: Header=BB425_4 Depth=1
	s_or_b32 exec_lo, exec_lo, s18
	global_store_d16_hi_b16 v[16:17], v12, off offset:64
	global_load_u16 v10, v[14:15], off offset:96
	s_wait_loadcnt 0x0
	v_lshlrev_b32_e32 v10, 16, v10
	s_delay_alu instid0(VALU_DEP_1) | instskip(SKIP_1) | instid1(VALU_DEP_1)
	v_mul_f32_e32 v10, s30, v10
	s_wait_xcnt 0x1
	v_and_b32_e32 v12, 0x7f800000, v10
	s_delay_alu instid0(VALU_DEP_1) | instskip(SKIP_2) | instid1(SALU_CYCLE_1)
	v_cmp_ne_u32_e32 vcc_lo, 0x7f800000, v12
                                        ; implicit-def: $vgpr12
	s_wait_xcnt 0x0
	s_and_saveexec_b32 s18, vcc_lo
	s_xor_b32 s18, exec_lo, s18
; %bb.195:                              ;   in Loop: Header=BB425_4 Depth=1
	v_bfe_u32 v12, v10, 16, 1
	s_delay_alu instid0(VALU_DEP_1)
	v_add3_u32 v12, v10, v12, 0x7fff
                                        ; implicit-def: $vgpr10
; %bb.196:                              ;   in Loop: Header=BB425_4 Depth=1
	s_and_not1_saveexec_b32 s18, s18
; %bb.197:                              ;   in Loop: Header=BB425_4 Depth=1
	v_and_b32_e32 v12, 0xffff, v10
	v_or_b32_e32 v13, 0x10000, v10
	s_delay_alu instid0(VALU_DEP_2) | instskip(NEXT) | instid1(VALU_DEP_2)
	v_cmp_eq_u32_e32 vcc_lo, 0, v12
	v_cndmask_b32_e32 v12, v13, v10, vcc_lo
; %bb.198:                              ;   in Loop: Header=BB425_4 Depth=1
	s_or_b32 exec_lo, exec_lo, s18
	s_delay_alu instid0(VALU_DEP_1) | instskip(NEXT) | instid1(VALU_DEP_1)
	v_fma_mix_f32_bf16 v10, s2, v11, v12 op_sel:[0,0,1] op_sel_hi:[0,0,1]
	v_and_b32_e32 v11, 0x7f800000, v10
	s_delay_alu instid0(VALU_DEP_1) | instskip(SKIP_1) | instid1(SALU_CYCLE_1)
	v_cmp_ne_u32_e32 vcc_lo, 0x7f800000, v11
                                        ; implicit-def: $vgpr11
	s_and_saveexec_b32 s18, vcc_lo
	s_xor_b32 s18, exec_lo, s18
; %bb.199:                              ;   in Loop: Header=BB425_4 Depth=1
	v_bfe_u32 v11, v10, 16, 1
	s_delay_alu instid0(VALU_DEP_1)
	v_add3_u32 v11, v10, v11, 0x7fff
                                        ; implicit-def: $vgpr10
; %bb.200:                              ;   in Loop: Header=BB425_4 Depth=1
	s_and_not1_saveexec_b32 s18, s18
	s_cbranch_execz .LBB425_2
; %bb.201:                              ;   in Loop: Header=BB425_4 Depth=1
	v_and_b32_e32 v11, 0xffff, v10
	v_or_b32_e32 v12, 0x10000, v10
	s_delay_alu instid0(VALU_DEP_2) | instskip(NEXT) | instid1(VALU_DEP_2)
	v_cmp_eq_u32_e32 vcc_lo, 0, v11
	v_cndmask_b32_e32 v11, v12, v10, vcc_lo
	s_branch .LBB425_2
.LBB425_202:
	s_sendmsg sendmsg(MSG_DEALLOC_VGPRS)
	s_endpgm
	.section	.rodata,"a",@progbits
	.p2align	6, 0x0
	.amdhsa_kernel _ZN12_GLOBAL__N_127rocblas_gemm_batched_kernelIfLi16ELi16ELi64ELi64ELi4ELi64ELi4ELi4ELi64ELc78ELc67EK16rocblas_bfloat16S2_S1_EEvlllT_PT11_llS5_llS3_PT12_llPT13_lli
		.amdhsa_group_segment_fixed_size 2048
		.amdhsa_private_segment_fixed_size 0
		.amdhsa_kernarg_size 140
		.amdhsa_user_sgpr_count 2
		.amdhsa_user_sgpr_dispatch_ptr 0
		.amdhsa_user_sgpr_queue_ptr 0
		.amdhsa_user_sgpr_kernarg_segment_ptr 1
		.amdhsa_user_sgpr_dispatch_id 0
		.amdhsa_user_sgpr_kernarg_preload_length 0
		.amdhsa_user_sgpr_kernarg_preload_offset 0
		.amdhsa_user_sgpr_private_segment_size 0
		.amdhsa_wavefront_size32 1
		.amdhsa_uses_dynamic_stack 0
		.amdhsa_enable_private_segment 0
		.amdhsa_system_sgpr_workgroup_id_x 1
		.amdhsa_system_sgpr_workgroup_id_y 1
		.amdhsa_system_sgpr_workgroup_id_z 1
		.amdhsa_system_sgpr_workgroup_info 0
		.amdhsa_system_vgpr_workitem_id 1
		.amdhsa_next_free_vgpr 70
		.amdhsa_next_free_sgpr 38
		.amdhsa_named_barrier_count 0
		.amdhsa_reserve_vcc 1
		.amdhsa_float_round_mode_32 0
		.amdhsa_float_round_mode_16_64 0
		.amdhsa_float_denorm_mode_32 3
		.amdhsa_float_denorm_mode_16_64 3
		.amdhsa_fp16_overflow 0
		.amdhsa_memory_ordered 1
		.amdhsa_forward_progress 1
		.amdhsa_inst_pref_size 55
		.amdhsa_round_robin_scheduling 0
		.amdhsa_exception_fp_ieee_invalid_op 0
		.amdhsa_exception_fp_denorm_src 0
		.amdhsa_exception_fp_ieee_div_zero 0
		.amdhsa_exception_fp_ieee_overflow 0
		.amdhsa_exception_fp_ieee_underflow 0
		.amdhsa_exception_fp_ieee_inexact 0
		.amdhsa_exception_int_div_zero 0
	.end_amdhsa_kernel
	.section	.text._ZN12_GLOBAL__N_127rocblas_gemm_batched_kernelIfLi16ELi16ELi64ELi64ELi4ELi64ELi4ELi4ELi64ELc78ELc67EK16rocblas_bfloat16S2_S1_EEvlllT_PT11_llS5_llS3_PT12_llPT13_lli,"axG",@progbits,_ZN12_GLOBAL__N_127rocblas_gemm_batched_kernelIfLi16ELi16ELi64ELi64ELi4ELi64ELi4ELi4ELi64ELc78ELc67EK16rocblas_bfloat16S2_S1_EEvlllT_PT11_llS5_llS3_PT12_llPT13_lli,comdat
.Lfunc_end425:
	.size	_ZN12_GLOBAL__N_127rocblas_gemm_batched_kernelIfLi16ELi16ELi64ELi64ELi4ELi64ELi4ELi4ELi64ELc78ELc67EK16rocblas_bfloat16S2_S1_EEvlllT_PT11_llS5_llS3_PT12_llPT13_lli, .Lfunc_end425-_ZN12_GLOBAL__N_127rocblas_gemm_batched_kernelIfLi16ELi16ELi64ELi64ELi4ELi64ELi4ELi4ELi64ELc78ELc67EK16rocblas_bfloat16S2_S1_EEvlllT_PT11_llS5_llS3_PT12_llPT13_lli
                                        ; -- End function
	.set _ZN12_GLOBAL__N_127rocblas_gemm_batched_kernelIfLi16ELi16ELi64ELi64ELi4ELi64ELi4ELi4ELi64ELc78ELc67EK16rocblas_bfloat16S2_S1_EEvlllT_PT11_llS5_llS3_PT12_llPT13_lli.num_vgpr, 70
	.set _ZN12_GLOBAL__N_127rocblas_gemm_batched_kernelIfLi16ELi16ELi64ELi64ELi4ELi64ELi4ELi4ELi64ELc78ELc67EK16rocblas_bfloat16S2_S1_EEvlllT_PT11_llS5_llS3_PT12_llPT13_lli.num_agpr, 0
	.set _ZN12_GLOBAL__N_127rocblas_gemm_batched_kernelIfLi16ELi16ELi64ELi64ELi4ELi64ELi4ELi4ELi64ELc78ELc67EK16rocblas_bfloat16S2_S1_EEvlllT_PT11_llS5_llS3_PT12_llPT13_lli.numbered_sgpr, 38
	.set _ZN12_GLOBAL__N_127rocblas_gemm_batched_kernelIfLi16ELi16ELi64ELi64ELi4ELi64ELi4ELi4ELi64ELc78ELc67EK16rocblas_bfloat16S2_S1_EEvlllT_PT11_llS5_llS3_PT12_llPT13_lli.num_named_barrier, 0
	.set _ZN12_GLOBAL__N_127rocblas_gemm_batched_kernelIfLi16ELi16ELi64ELi64ELi4ELi64ELi4ELi4ELi64ELc78ELc67EK16rocblas_bfloat16S2_S1_EEvlllT_PT11_llS5_llS3_PT12_llPT13_lli.private_seg_size, 0
	.set _ZN12_GLOBAL__N_127rocblas_gemm_batched_kernelIfLi16ELi16ELi64ELi64ELi4ELi64ELi4ELi4ELi64ELc78ELc67EK16rocblas_bfloat16S2_S1_EEvlllT_PT11_llS5_llS3_PT12_llPT13_lli.uses_vcc, 1
	.set _ZN12_GLOBAL__N_127rocblas_gemm_batched_kernelIfLi16ELi16ELi64ELi64ELi4ELi64ELi4ELi4ELi64ELc78ELc67EK16rocblas_bfloat16S2_S1_EEvlllT_PT11_llS5_llS3_PT12_llPT13_lli.uses_flat_scratch, 0
	.set _ZN12_GLOBAL__N_127rocblas_gemm_batched_kernelIfLi16ELi16ELi64ELi64ELi4ELi64ELi4ELi4ELi64ELc78ELc67EK16rocblas_bfloat16S2_S1_EEvlllT_PT11_llS5_llS3_PT12_llPT13_lli.has_dyn_sized_stack, 0
	.set _ZN12_GLOBAL__N_127rocblas_gemm_batched_kernelIfLi16ELi16ELi64ELi64ELi4ELi64ELi4ELi4ELi64ELc78ELc67EK16rocblas_bfloat16S2_S1_EEvlllT_PT11_llS5_llS3_PT12_llPT13_lli.has_recursion, 0
	.set _ZN12_GLOBAL__N_127rocblas_gemm_batched_kernelIfLi16ELi16ELi64ELi64ELi4ELi64ELi4ELi4ELi64ELc78ELc67EK16rocblas_bfloat16S2_S1_EEvlllT_PT11_llS5_llS3_PT12_llPT13_lli.has_indirect_call, 0
	.section	.AMDGPU.csdata,"",@progbits
; Kernel info:
; codeLenInByte = 6920
; TotalNumSgprs: 40
; NumVgprs: 70
; ScratchSize: 0
; MemoryBound: 0
; FloatMode: 240
; IeeeMode: 1
; LDSByteSize: 2048 bytes/workgroup (compile time only)
; SGPRBlocks: 0
; VGPRBlocks: 4
; NumSGPRsForWavesPerEU: 40
; NumVGPRsForWavesPerEU: 70
; NamedBarCnt: 0
; Occupancy: 12
; WaveLimiterHint : 0
; COMPUTE_PGM_RSRC2:SCRATCH_EN: 0
; COMPUTE_PGM_RSRC2:USER_SGPR: 2
; COMPUTE_PGM_RSRC2:TRAP_HANDLER: 0
; COMPUTE_PGM_RSRC2:TGID_X_EN: 1
; COMPUTE_PGM_RSRC2:TGID_Y_EN: 1
; COMPUTE_PGM_RSRC2:TGID_Z_EN: 1
; COMPUTE_PGM_RSRC2:TIDIG_COMP_CNT: 1
	.section	.text._ZN12_GLOBAL__N_127rocblas_gemm_batched_kernelIfLi16ELi16ELi64ELi64ELi4ELi64ELi4ELi4ELi64ELc84ELc67EK16rocblas_bfloat16S2_S1_EEvlllT_PT11_llS5_llS3_PT12_llPT13_lli,"axG",@progbits,_ZN12_GLOBAL__N_127rocblas_gemm_batched_kernelIfLi16ELi16ELi64ELi64ELi4ELi64ELi4ELi4ELi64ELc84ELc67EK16rocblas_bfloat16S2_S1_EEvlllT_PT11_llS5_llS3_PT12_llPT13_lli,comdat
	.globl	_ZN12_GLOBAL__N_127rocblas_gemm_batched_kernelIfLi16ELi16ELi64ELi64ELi4ELi64ELi4ELi4ELi64ELc84ELc67EK16rocblas_bfloat16S2_S1_EEvlllT_PT11_llS5_llS3_PT12_llPT13_lli ; -- Begin function _ZN12_GLOBAL__N_127rocblas_gemm_batched_kernelIfLi16ELi16ELi64ELi64ELi4ELi64ELi4ELi4ELi64ELc84ELc67EK16rocblas_bfloat16S2_S1_EEvlllT_PT11_llS5_llS3_PT12_llPT13_lli
	.p2align	8
	.type	_ZN12_GLOBAL__N_127rocblas_gemm_batched_kernelIfLi16ELi16ELi64ELi64ELi4ELi64ELi4ELi4ELi64ELc84ELc67EK16rocblas_bfloat16S2_S1_EEvlllT_PT11_llS5_llS3_PT12_llPT13_lli,@function
_ZN12_GLOBAL__N_127rocblas_gemm_batched_kernelIfLi16ELi16ELi64ELi64ELi4ELi64ELi4ELi4ELi64ELc84ELc67EK16rocblas_bfloat16S2_S1_EEvlllT_PT11_llS5_llS3_PT12_llPT13_lli: ; @_ZN12_GLOBAL__N_127rocblas_gemm_batched_kernelIfLi16ELi16ELi64ELi64ELi4ELi64ELi4ELi4ELi64ELc84ELc67EK16rocblas_bfloat16S2_S1_EEvlllT_PT11_llS5_llS3_PT12_llPT13_lli
; %bb.0:
	s_load_b32 s3, s[0:1], 0x88
	s_bfe_u32 s2, ttmp6, 0x40014
	s_lshr_b32 s4, ttmp7, 16
	s_add_co_i32 s2, s2, 1
	s_bfe_u32 s6, ttmp6, 0x40008
	s_mul_i32 s5, s4, s2
	s_getreg_b32 s2, hwreg(HW_REG_IB_STS2, 6, 4)
	s_add_co_i32 s6, s6, s5
	s_cmp_eq_u32 s2, 0
	s_mov_b32 s29, 0
	s_cselect_b32 s28, s4, s6
	s_wait_kmcnt 0x0
	s_cmp_ge_i32 s28, s3
	s_cbranch_scc1 .LBB426_202
; %bb.1:
	v_bfe_u32 v4, v0, 10, 10
	v_and_b32_e32 v2, 0x3ff, v0
	s_bfe_u32 s30, ttmp6, 0x4000c
	s_bfe_u32 s33, ttmp6, 0x40010
	s_clause 0x2
	s_load_b256 s[12:19], s[0:1], 0x20
	s_load_b128 s[24:27], s[0:1], 0x40
	s_load_b128 s[20:23], s[0:1], 0x78
	v_lshlrev_b32_e32 v16, 4, v4
	s_add_co_i32 s30, s30, 1
	s_and_b32 s34, ttmp7, 0xffff
	s_add_co_i32 s33, s33, 1
	s_and_b32 s31, ttmp6, 15
	s_mul_i32 s30, ttmp9, s30
	s_mul_i32 s33, s34, s33
	s_bfe_u32 s35, ttmp6, 0x40004
	v_dual_add_nc_u32 v3, v16, v2 :: v_dual_mov_b32 v5, 0
	s_add_co_i32 s31, s31, s30
	s_add_co_i32 s35, s35, s33
	s_load_b256 s[4:11], s[0:1], 0x58
	s_cmp_eq_u32 s2, 0
	v_and_b32_e32 v17, 63, v3
	s_cselect_b32 s30, ttmp9, s31
	s_cselect_b32 s2, s34, s35
	s_ashr_i32 s31, s30, 31
	s_lshl_b32 s36, s2, 6
	s_lshl_b64 s[34:35], s[30:31], 6
	s_mov_b32 s37, s29
	v_dual_mov_b32 v7, s35 :: v_dual_bitop2_b32 v6, s34, v17 bitop3:0x54
	v_add_nc_u64_e32 v[8:9], s[36:37], v[4:5]
	v_dual_lshrrev_b32 v10, 2, v3 :: v_dual_bitop2_b32 v4, 3, v0 bitop3:0x40
	v_mov_b32_e32 v11, v5
	s_wait_kmcnt 0x0
	v_mul_u64_e32 v[6:7], s[14:15], v[6:7]
	s_load_b32 s30, s[0:1], 0x50
	v_lshlrev_b32_e32 v36, 2, v2
	v_mul_u64_e32 v[0:1], s[20:21], v[8:9]
	s_wait_xcnt 0x0
	s_load_b96 s[0:2], s[0:1], 0x10
	v_mul_u64_e32 v[12:13], s[6:7], v[8:9]
	v_lshlrev_b32_e32 v8, 2, v4
	v_mad_nc_u64_u32 v[14:15], s24, v4, v[10:11]
	v_dual_lshrrev_b32 v9, 6, v3 :: v_dual_lshlrev_b32 v11, 2, v17
	v_mov_b32_e32 v3, v5
	v_add_nc_u32_e32 v37, 0x400, v16
	s_delay_alu instid0(VALU_DEP_3) | instskip(NEXT) | instid1(VALU_DEP_3)
	v_lshl_or_b32 v34, v9, 8, v11
	v_add_nc_u64_e32 v[2:3], s[34:35], v[2:3]
	v_mad_u32 v15, s25, v4, v15
	v_lshl_or_b32 v4, v10, 4, v8
	s_wait_kmcnt 0x0
	s_cmp_eq_f32 s30, 0
	s_delay_alu instid0(VALU_DEP_1)
	v_add_nc_u32_e32 v35, 0x400, v4
	v_lshlrev_b32_e32 v4, 1, v9
	s_cselect_b32 s31, -1, 0
	s_lshl_b64 s[14:15], s[20:21], 4
	v_cmp_gt_i64_e64 s20, s[0:1], 0
	v_add_nc_u64_e32 v[8:9], s[36:37], v[14:15]
	s_lshl_b64 s[6:7], s[6:7], 4
	s_lshl_b64 s[16:17], s[16:17], 1
	v_lshl_add_u64 v[10:11], v[6:7], 1, v[4:5]
	s_delay_alu instid0(VALU_DEP_2) | instskip(NEXT) | instid1(VALU_DEP_2)
	v_lshl_add_u64 v[6:7], v[8:9], 1, s[18:19]
	v_add_nc_u64_e32 v[8:9], s[12:13], v[10:11]
	v_lshl_add_u64 v[4:5], v[12:13], 1, s[4:5]
	s_lshl_b64 s[4:5], s[26:27], 1
	s_lshl_b64 s[12:13], s[24:25], 3
	s_branch .LBB426_4
.LBB426_2:                              ;   in Loop: Header=BB426_4 Depth=1
	s_or_b32 exec_lo, exec_lo, s18
	global_store_d16_hi_b16 v[16:17], v11, off offset:96
.LBB426_3:                              ;   in Loop: Header=BB426_4 Depth=1
	s_add_co_i32 s28, s28, 0x10000
	s_delay_alu instid0(SALU_CYCLE_1)
	s_cmp_lt_i32 s28, s3
	s_cbranch_scc0 .LBB426_202
.LBB426_4:                              ; =>This Loop Header: Depth=1
                                        ;     Child Loop BB426_6 Depth 2
	v_dual_mov_b32 v25, 0 :: v_dual_mov_b32 v24, 0
	v_dual_mov_b32 v23, 0 :: v_dual_mov_b32 v22, 0
	;; [unrolled: 1-line block ×4, first 2 shown]
	s_wait_xcnt 0x0
	v_dual_mov_b32 v17, 0 :: v_dual_mov_b32 v16, 0
	v_dual_mov_b32 v15, 0 :: v_dual_mov_b32 v14, 0
	;; [unrolled: 1-line block ×4, first 2 shown]
	s_and_not1_b32 vcc_lo, exec_lo, s20
	s_cbranch_vccnz .LBB426_7
; %bb.5:                                ;   in Loop: Header=BB426_4 Depth=1
	v_mad_nc_u64_u32 v[26:27], s4, s28, v[6:7]
	v_mad_nc_u64_u32 v[28:29], s16, s28, v[8:9]
	v_mov_b32_e32 v10, 0
	s_mov_b64 s[18:19], 0
	s_delay_alu instid0(VALU_DEP_1)
	v_dual_mov_b32 v11, v10 :: v_dual_mov_b32 v12, v10
	v_dual_mov_b32 v13, v10 :: v_dual_mov_b32 v14, v10
	v_mad_u32 v27, s5, s28, v27
	v_mad_u32 v29, s17, s28, v29
	v_dual_mov_b32 v15, v10 :: v_dual_mov_b32 v16, v10
	v_dual_mov_b32 v17, v10 :: v_dual_mov_b32 v18, v10
	;; [unrolled: 1-line block ×5, first 2 shown]
	v_mov_b32_e32 v25, v10
.LBB426_6:                              ;   Parent Loop BB426_4 Depth=1
                                        ; =>  This Inner Loop Header: Depth=2
	global_load_u16 v30, v[28:29], off
	global_load_u16 v31, v[26:27], off
	s_add_nc_u64 s[18:19], s[18:19], 4
	s_wait_xcnt 0x0
	v_add_nc_u64_e32 v[26:27], s[12:13], v[26:27]
	v_cmp_lt_i64_e64 s21, s[18:19], s[0:1]
	v_add_nc_u64_e32 v[28:29], 8, v[28:29]
	s_and_b32 vcc_lo, exec_lo, s21
	s_wait_loadcnt 0x0
	v_dual_lshlrev_b32 v30, 16, v30 :: v_dual_lshlrev_b32 v31, 16, v31
	ds_store_b32 v34, v30
	ds_store_b32 v35, v31
	s_wait_dscnt 0x0
	s_barrier_signal -1
	s_barrier_wait -1
	ds_load_b128 v[30:33], v37
	ds_load_2addr_b32 v[50:51], v36 offset1:16
	ds_load_2addr_b32 v[52:53], v36 offset0:32 offset1:48
	ds_load_b128 v[38:41], v37 offset:256
	ds_load_b128 v[42:45], v37 offset:512
	;; [unrolled: 1-line block ×3, first 2 shown]
	ds_load_2addr_b32 v[54:55], v36 offset0:64 offset1:80
	ds_load_2addr_b32 v[56:57], v36 offset0:96 offset1:112
	;; [unrolled: 1-line block ×6, first 2 shown]
	s_wait_dscnt 0x0
	s_barrier_signal -1
	s_barrier_wait -1
	v_mov_b32_e32 v66, v33
	v_pk_fma_f32 v[24:25], v[50:51], v[30:31], v[24:25] op_sel_hi:[1,0,1]
	v_pk_fma_f32 v[22:23], v[52:53], v[30:31], v[22:23] op_sel_hi:[1,0,1]
	;; [unrolled: 1-line block ×8, first 2 shown]
	v_pk_fma_f32 v[24:25], v[54:55], v[30:31], v[24:25] op_sel:[0,1,0]
	v_pk_fma_f32 v[22:23], v[56:57], v[30:31], v[22:23] op_sel:[0,1,0]
	v_pk_fma_f32 v[20:21], v[54:55], v[38:39], v[20:21] op_sel:[0,1,0]
	v_pk_fma_f32 v[16:17], v[54:55], v[42:43], v[16:17] op_sel:[0,1,0]
	v_pk_fma_f32 v[12:13], v[54:55], v[46:47], v[12:13] op_sel:[0,1,0]
	v_pk_fma_f32 v[18:19], v[56:57], v[38:39], v[18:19] op_sel:[0,1,0]
	v_pk_fma_f32 v[14:15], v[56:57], v[42:43], v[14:15] op_sel:[0,1,0]
	v_pk_fma_f32 v[10:11], v[56:57], v[46:47], v[10:11] op_sel:[0,1,0]
	v_dual_mov_b32 v50, v41 :: v_dual_mov_b32 v52, v45
	v_mov_b32_e32 v68, v49
	v_pk_fma_f32 v[24:25], v[58:59], v[32:33], v[24:25] op_sel_hi:[1,0,1]
	v_pk_fma_f32 v[22:23], v[60:61], v[32:33], v[22:23] op_sel_hi:[1,0,1]
	;; [unrolled: 1-line block ×16, first 2 shown]
	s_cbranch_vccnz .LBB426_6
.LBB426_7:                              ;   in Loop: Header=BB426_4 Depth=1
	s_mul_u64 s[18:19], s[22:23], s[28:29]
	s_and_not1_b32 vcc_lo, exec_lo, s31
	s_lshl_b64 s[18:19], s[18:19], 1
	s_delay_alu instid0(SALU_CYCLE_1)
	s_add_nc_u64 s[18:19], s[10:11], s[18:19]
	s_cbranch_vccnz .LBB426_73
; %bb.8:                                ;   in Loop: Header=BB426_4 Depth=1
	v_mul_f32_e32 v26, s2, v24
	s_mov_b32 s21, exec_lo
                                        ; implicit-def: $vgpr30
	s_delay_alu instid0(VALU_DEP_1) | instskip(NEXT) | instid1(VALU_DEP_1)
	v_and_b32_e32 v27, 0x7f800000, v26
	v_cmpx_ne_u32_e32 0x7f800000, v27
	s_xor_b32 s21, exec_lo, s21
; %bb.9:                                ;   in Loop: Header=BB426_4 Depth=1
	v_bfe_u32 v27, v26, 16, 1
	s_delay_alu instid0(VALU_DEP_1)
	v_add3_u32 v30, v26, v27, 0x7fff
                                        ; implicit-def: $vgpr26
; %bb.10:                               ;   in Loop: Header=BB426_4 Depth=1
	s_and_not1_saveexec_b32 s21, s21
; %bb.11:                               ;   in Loop: Header=BB426_4 Depth=1
	v_and_b32_e32 v27, 0xffff, v26
	v_or_b32_e32 v28, 0x10000, v26
	s_delay_alu instid0(VALU_DEP_2) | instskip(NEXT) | instid1(VALU_DEP_2)
	v_cmp_eq_u32_e32 vcc_lo, 0, v27
	v_cndmask_b32_e32 v30, v28, v26, vcc_lo
; %bb.12:                               ;   in Loop: Header=BB426_4 Depth=1
	s_or_b32 exec_lo, exec_lo, s21
	v_mul_f32_e32 v31, s2, v25
	v_lshl_add_u64 v[26:27], v[0:1], 1, s[18:19]
	s_delay_alu instid0(VALU_DEP_2) | instskip(NEXT) | instid1(VALU_DEP_2)
	v_and_b32_e32 v32, 0x7f800000, v31
	v_lshl_add_u64 v[28:29], v[2:3], 1, v[26:27]
	s_delay_alu instid0(VALU_DEP_2) | instskip(SKIP_3) | instid1(SALU_CYCLE_1)
	v_cmp_ne_u32_e32 vcc_lo, 0x7f800000, v32
	global_store_d16_hi_b16 v[28:29], v30, off
                                        ; implicit-def: $vgpr32
	s_wait_xcnt 0x0
	s_and_saveexec_b32 s21, vcc_lo
	s_xor_b32 s21, exec_lo, s21
; %bb.13:                               ;   in Loop: Header=BB426_4 Depth=1
	v_bfe_u32 v30, v31, 16, 1
	s_delay_alu instid0(VALU_DEP_1)
	v_add3_u32 v32, v31, v30, 0x7fff
                                        ; implicit-def: $vgpr31
; %bb.14:                               ;   in Loop: Header=BB426_4 Depth=1
	s_and_not1_saveexec_b32 s21, s21
; %bb.15:                               ;   in Loop: Header=BB426_4 Depth=1
	v_and_b32_e32 v30, 0xffff, v31
	v_or_b32_e32 v32, 0x10000, v31
	s_delay_alu instid0(VALU_DEP_2) | instskip(NEXT) | instid1(VALU_DEP_2)
	v_cmp_eq_u32_e32 vcc_lo, 0, v30
	v_cndmask_b32_e32 v32, v32, v31, vcc_lo
; %bb.16:                               ;   in Loop: Header=BB426_4 Depth=1
	s_or_b32 exec_lo, exec_lo, s21
	v_mul_f32_e32 v30, s2, v22
	global_store_d16_hi_b16 v[28:29], v32, off offset:32
	v_and_b32_e32 v31, 0x7f800000, v30
	s_delay_alu instid0(VALU_DEP_1) | instskip(SKIP_2) | instid1(SALU_CYCLE_1)
	v_cmp_ne_u32_e32 vcc_lo, 0x7f800000, v31
                                        ; implicit-def: $vgpr31
	s_wait_xcnt 0x0
	s_and_saveexec_b32 s21, vcc_lo
	s_xor_b32 s21, exec_lo, s21
; %bb.17:                               ;   in Loop: Header=BB426_4 Depth=1
	v_bfe_u32 v31, v30, 16, 1
	s_delay_alu instid0(VALU_DEP_1)
	v_add3_u32 v31, v30, v31, 0x7fff
                                        ; implicit-def: $vgpr30
; %bb.18:                               ;   in Loop: Header=BB426_4 Depth=1
	s_and_not1_saveexec_b32 s21, s21
; %bb.19:                               ;   in Loop: Header=BB426_4 Depth=1
	v_and_b32_e32 v31, 0xffff, v30
	v_or_b32_e32 v32, 0x10000, v30
	s_delay_alu instid0(VALU_DEP_2) | instskip(NEXT) | instid1(VALU_DEP_2)
	v_cmp_eq_u32_e32 vcc_lo, 0, v31
	v_cndmask_b32_e32 v31, v32, v30, vcc_lo
; %bb.20:                               ;   in Loop: Header=BB426_4 Depth=1
	s_or_b32 exec_lo, exec_lo, s21
	v_mul_f32_e32 v30, s2, v23
	global_store_d16_hi_b16 v[28:29], v31, off offset:64
	v_and_b32_e32 v32, 0x7f800000, v30
	s_delay_alu instid0(VALU_DEP_1) | instskip(SKIP_2) | instid1(SALU_CYCLE_1)
	v_cmp_ne_u32_e32 vcc_lo, 0x7f800000, v32
                                        ; implicit-def: $vgpr32
	s_wait_xcnt 0x0
	s_and_saveexec_b32 s21, vcc_lo
	s_xor_b32 s21, exec_lo, s21
; %bb.21:                               ;   in Loop: Header=BB426_4 Depth=1
	v_bfe_u32 v31, v30, 16, 1
	s_delay_alu instid0(VALU_DEP_1)
	v_add3_u32 v32, v30, v31, 0x7fff
                                        ; implicit-def: $vgpr30
; %bb.22:                               ;   in Loop: Header=BB426_4 Depth=1
	s_and_not1_saveexec_b32 s21, s21
; %bb.23:                               ;   in Loop: Header=BB426_4 Depth=1
	v_and_b32_e32 v31, 0xffff, v30
	v_or_b32_e32 v32, 0x10000, v30
	s_delay_alu instid0(VALU_DEP_2) | instskip(NEXT) | instid1(VALU_DEP_2)
	v_cmp_eq_u32_e32 vcc_lo, 0, v31
	v_cndmask_b32_e32 v32, v32, v30, vcc_lo
; %bb.24:                               ;   in Loop: Header=BB426_4 Depth=1
	s_or_b32 exec_lo, exec_lo, s21
	v_mul_f32_e32 v31, s2, v20
	global_store_d16_hi_b16 v[28:29], v32, off offset:96
	v_and_b32_e32 v30, 0x7f800000, v31
	s_delay_alu instid0(VALU_DEP_1) | instskip(SKIP_2) | instid1(SALU_CYCLE_1)
	v_cmp_ne_u32_e32 vcc_lo, 0x7f800000, v30
                                        ; implicit-def: $vgpr30
	s_wait_xcnt 0x0
	s_and_saveexec_b32 s21, vcc_lo
	s_xor_b32 s21, exec_lo, s21
; %bb.25:                               ;   in Loop: Header=BB426_4 Depth=1
	v_bfe_u32 v28, v31, 16, 1
	s_delay_alu instid0(VALU_DEP_1)
	v_add3_u32 v30, v31, v28, 0x7fff
                                        ; implicit-def: $vgpr31
; %bb.26:                               ;   in Loop: Header=BB426_4 Depth=1
	s_and_not1_saveexec_b32 s21, s21
; %bb.27:                               ;   in Loop: Header=BB426_4 Depth=1
	v_and_b32_e32 v28, 0xffff, v31
	v_or_b32_e32 v29, 0x10000, v31
	s_delay_alu instid0(VALU_DEP_2) | instskip(NEXT) | instid1(VALU_DEP_2)
	v_cmp_eq_u32_e32 vcc_lo, 0, v28
	v_cndmask_b32_e32 v30, v29, v31, vcc_lo
; %bb.28:                               ;   in Loop: Header=BB426_4 Depth=1
	s_or_b32 exec_lo, exec_lo, s21
	v_mul_f32_e32 v31, s2, v21
	v_lshl_add_u64 v[26:27], s[14:15], 1, v[26:27]
	s_delay_alu instid0(VALU_DEP_2) | instskip(NEXT) | instid1(VALU_DEP_2)
	v_and_b32_e32 v32, 0x7f800000, v31
	v_lshl_add_u64 v[28:29], v[2:3], 1, v[26:27]
	s_delay_alu instid0(VALU_DEP_2) | instskip(SKIP_3) | instid1(SALU_CYCLE_1)
	v_cmp_ne_u32_e32 vcc_lo, 0x7f800000, v32
	global_store_d16_hi_b16 v[28:29], v30, off
                                        ; implicit-def: $vgpr32
	s_wait_xcnt 0x0
	s_and_saveexec_b32 s21, vcc_lo
	s_xor_b32 s21, exec_lo, s21
; %bb.29:                               ;   in Loop: Header=BB426_4 Depth=1
	v_bfe_u32 v30, v31, 16, 1
	s_delay_alu instid0(VALU_DEP_1)
	v_add3_u32 v32, v31, v30, 0x7fff
                                        ; implicit-def: $vgpr31
; %bb.30:                               ;   in Loop: Header=BB426_4 Depth=1
	s_and_not1_saveexec_b32 s21, s21
; %bb.31:                               ;   in Loop: Header=BB426_4 Depth=1
	v_and_b32_e32 v30, 0xffff, v31
	v_or_b32_e32 v32, 0x10000, v31
	s_delay_alu instid0(VALU_DEP_2) | instskip(NEXT) | instid1(VALU_DEP_2)
	v_cmp_eq_u32_e32 vcc_lo, 0, v30
	v_cndmask_b32_e32 v32, v32, v31, vcc_lo
; %bb.32:                               ;   in Loop: Header=BB426_4 Depth=1
	s_or_b32 exec_lo, exec_lo, s21
	v_mul_f32_e32 v30, s2, v18
	global_store_d16_hi_b16 v[28:29], v32, off offset:32
	v_and_b32_e32 v31, 0x7f800000, v30
	s_delay_alu instid0(VALU_DEP_1) | instskip(SKIP_2) | instid1(SALU_CYCLE_1)
	v_cmp_ne_u32_e32 vcc_lo, 0x7f800000, v31
                                        ; implicit-def: $vgpr31
	s_wait_xcnt 0x0
	s_and_saveexec_b32 s21, vcc_lo
	s_xor_b32 s21, exec_lo, s21
; %bb.33:                               ;   in Loop: Header=BB426_4 Depth=1
	v_bfe_u32 v31, v30, 16, 1
	s_delay_alu instid0(VALU_DEP_1)
	v_add3_u32 v31, v30, v31, 0x7fff
                                        ; implicit-def: $vgpr30
; %bb.34:                               ;   in Loop: Header=BB426_4 Depth=1
	s_and_not1_saveexec_b32 s21, s21
; %bb.35:                               ;   in Loop: Header=BB426_4 Depth=1
	v_and_b32_e32 v31, 0xffff, v30
	v_or_b32_e32 v32, 0x10000, v30
	s_delay_alu instid0(VALU_DEP_2) | instskip(NEXT) | instid1(VALU_DEP_2)
	v_cmp_eq_u32_e32 vcc_lo, 0, v31
	v_cndmask_b32_e32 v31, v32, v30, vcc_lo
; %bb.36:                               ;   in Loop: Header=BB426_4 Depth=1
	s_or_b32 exec_lo, exec_lo, s21
	v_mul_f32_e32 v30, s2, v19
	global_store_d16_hi_b16 v[28:29], v31, off offset:64
	v_and_b32_e32 v32, 0x7f800000, v30
	s_delay_alu instid0(VALU_DEP_1) | instskip(SKIP_2) | instid1(SALU_CYCLE_1)
	v_cmp_ne_u32_e32 vcc_lo, 0x7f800000, v32
                                        ; implicit-def: $vgpr32
	s_wait_xcnt 0x0
	s_and_saveexec_b32 s21, vcc_lo
	s_xor_b32 s21, exec_lo, s21
; %bb.37:                               ;   in Loop: Header=BB426_4 Depth=1
	v_bfe_u32 v31, v30, 16, 1
	s_delay_alu instid0(VALU_DEP_1)
	v_add3_u32 v32, v30, v31, 0x7fff
                                        ; implicit-def: $vgpr30
; %bb.38:                               ;   in Loop: Header=BB426_4 Depth=1
	s_and_not1_saveexec_b32 s21, s21
; %bb.39:                               ;   in Loop: Header=BB426_4 Depth=1
	v_and_b32_e32 v31, 0xffff, v30
	v_or_b32_e32 v32, 0x10000, v30
	s_delay_alu instid0(VALU_DEP_2) | instskip(NEXT) | instid1(VALU_DEP_2)
	v_cmp_eq_u32_e32 vcc_lo, 0, v31
	v_cndmask_b32_e32 v32, v32, v30, vcc_lo
; %bb.40:                               ;   in Loop: Header=BB426_4 Depth=1
	s_or_b32 exec_lo, exec_lo, s21
	v_mul_f32_e32 v31, s2, v16
	global_store_d16_hi_b16 v[28:29], v32, off offset:96
	v_and_b32_e32 v30, 0x7f800000, v31
	s_delay_alu instid0(VALU_DEP_1) | instskip(SKIP_2) | instid1(SALU_CYCLE_1)
	v_cmp_ne_u32_e32 vcc_lo, 0x7f800000, v30
                                        ; implicit-def: $vgpr30
	s_wait_xcnt 0x0
	s_and_saveexec_b32 s21, vcc_lo
	s_xor_b32 s21, exec_lo, s21
; %bb.41:                               ;   in Loop: Header=BB426_4 Depth=1
	v_bfe_u32 v28, v31, 16, 1
	s_delay_alu instid0(VALU_DEP_1)
	v_add3_u32 v30, v31, v28, 0x7fff
                                        ; implicit-def: $vgpr31
; %bb.42:                               ;   in Loop: Header=BB426_4 Depth=1
	s_and_not1_saveexec_b32 s21, s21
; %bb.43:                               ;   in Loop: Header=BB426_4 Depth=1
	v_and_b32_e32 v28, 0xffff, v31
	v_or_b32_e32 v29, 0x10000, v31
	s_delay_alu instid0(VALU_DEP_2) | instskip(NEXT) | instid1(VALU_DEP_2)
	v_cmp_eq_u32_e32 vcc_lo, 0, v28
	v_cndmask_b32_e32 v30, v29, v31, vcc_lo
; %bb.44:                               ;   in Loop: Header=BB426_4 Depth=1
	s_or_b32 exec_lo, exec_lo, s21
	v_mul_f32_e32 v31, s2, v17
	v_lshl_add_u64 v[26:27], s[14:15], 1, v[26:27]
	s_delay_alu instid0(VALU_DEP_2) | instskip(NEXT) | instid1(VALU_DEP_2)
	v_and_b32_e32 v32, 0x7f800000, v31
	v_lshl_add_u64 v[28:29], v[2:3], 1, v[26:27]
	s_delay_alu instid0(VALU_DEP_2) | instskip(SKIP_3) | instid1(SALU_CYCLE_1)
	v_cmp_ne_u32_e32 vcc_lo, 0x7f800000, v32
	global_store_d16_hi_b16 v[28:29], v30, off
                                        ; implicit-def: $vgpr32
	s_wait_xcnt 0x0
	s_and_saveexec_b32 s21, vcc_lo
	s_xor_b32 s21, exec_lo, s21
; %bb.45:                               ;   in Loop: Header=BB426_4 Depth=1
	v_bfe_u32 v30, v31, 16, 1
	s_delay_alu instid0(VALU_DEP_1)
	v_add3_u32 v32, v31, v30, 0x7fff
                                        ; implicit-def: $vgpr31
; %bb.46:                               ;   in Loop: Header=BB426_4 Depth=1
	s_and_not1_saveexec_b32 s21, s21
; %bb.47:                               ;   in Loop: Header=BB426_4 Depth=1
	v_and_b32_e32 v30, 0xffff, v31
	v_or_b32_e32 v32, 0x10000, v31
	s_delay_alu instid0(VALU_DEP_2) | instskip(NEXT) | instid1(VALU_DEP_2)
	v_cmp_eq_u32_e32 vcc_lo, 0, v30
	v_cndmask_b32_e32 v32, v32, v31, vcc_lo
; %bb.48:                               ;   in Loop: Header=BB426_4 Depth=1
	s_or_b32 exec_lo, exec_lo, s21
	v_mul_f32_e32 v30, s2, v14
	global_store_d16_hi_b16 v[28:29], v32, off offset:32
	v_and_b32_e32 v31, 0x7f800000, v30
	s_delay_alu instid0(VALU_DEP_1) | instskip(SKIP_2) | instid1(SALU_CYCLE_1)
	v_cmp_ne_u32_e32 vcc_lo, 0x7f800000, v31
                                        ; implicit-def: $vgpr31
	s_wait_xcnt 0x0
	s_and_saveexec_b32 s21, vcc_lo
	s_xor_b32 s21, exec_lo, s21
; %bb.49:                               ;   in Loop: Header=BB426_4 Depth=1
	v_bfe_u32 v31, v30, 16, 1
	s_delay_alu instid0(VALU_DEP_1)
	v_add3_u32 v31, v30, v31, 0x7fff
                                        ; implicit-def: $vgpr30
; %bb.50:                               ;   in Loop: Header=BB426_4 Depth=1
	s_and_not1_saveexec_b32 s21, s21
; %bb.51:                               ;   in Loop: Header=BB426_4 Depth=1
	v_and_b32_e32 v31, 0xffff, v30
	v_or_b32_e32 v32, 0x10000, v30
	s_delay_alu instid0(VALU_DEP_2) | instskip(NEXT) | instid1(VALU_DEP_2)
	v_cmp_eq_u32_e32 vcc_lo, 0, v31
	v_cndmask_b32_e32 v31, v32, v30, vcc_lo
; %bb.52:                               ;   in Loop: Header=BB426_4 Depth=1
	s_or_b32 exec_lo, exec_lo, s21
	v_mul_f32_e32 v30, s2, v15
	s_mov_b32 s21, exec_lo
	global_store_d16_hi_b16 v[28:29], v31, off offset:64
                                        ; implicit-def: $vgpr31
	v_and_b32_e32 v32, 0x7f800000, v30
	s_wait_xcnt 0x0
	s_delay_alu instid0(VALU_DEP_1)
	v_cmpx_ne_u32_e32 0x7f800000, v32
	s_xor_b32 s21, exec_lo, s21
; %bb.53:                               ;   in Loop: Header=BB426_4 Depth=1
	v_bfe_u32 v31, v30, 16, 1
	s_delay_alu instid0(VALU_DEP_1)
	v_add3_u32 v31, v30, v31, 0x7fff
                                        ; implicit-def: $vgpr30
; %bb.54:                               ;   in Loop: Header=BB426_4 Depth=1
	s_and_not1_saveexec_b32 s21, s21
; %bb.55:                               ;   in Loop: Header=BB426_4 Depth=1
	v_and_b32_e32 v31, 0xffff, v30
	v_or_b32_e32 v32, 0x10000, v30
	s_delay_alu instid0(VALU_DEP_2) | instskip(NEXT) | instid1(VALU_DEP_2)
	v_cmp_eq_u32_e32 vcc_lo, 0, v31
	v_cndmask_b32_e32 v31, v32, v30, vcc_lo
; %bb.56:                               ;   in Loop: Header=BB426_4 Depth=1
	s_or_b32 exec_lo, exec_lo, s21
	v_mul_f32_e32 v30, s2, v12
	s_mov_b32 s21, exec_lo
	global_store_d16_hi_b16 v[28:29], v31, off offset:96
                                        ; implicit-def: $vgpr28
	v_and_b32_e32 v32, 0x7f800000, v30
	s_wait_xcnt 0x0
	s_delay_alu instid0(VALU_DEP_1)
	v_cmpx_ne_u32_e32 0x7f800000, v32
	s_xor_b32 s21, exec_lo, s21
; %bb.57:                               ;   in Loop: Header=BB426_4 Depth=1
	v_bfe_u32 v28, v30, 16, 1
	s_delay_alu instid0(VALU_DEP_1)
	v_add3_u32 v28, v30, v28, 0x7fff
                                        ; implicit-def: $vgpr30
; %bb.58:                               ;   in Loop: Header=BB426_4 Depth=1
	s_and_not1_saveexec_b32 s21, s21
; %bb.59:                               ;   in Loop: Header=BB426_4 Depth=1
	v_and_b32_e32 v28, 0xffff, v30
	v_or_b32_e32 v29, 0x10000, v30
	s_delay_alu instid0(VALU_DEP_2) | instskip(NEXT) | instid1(VALU_DEP_2)
	v_cmp_eq_u32_e32 vcc_lo, 0, v28
	v_cndmask_b32_e32 v28, v29, v30, vcc_lo
; %bb.60:                               ;   in Loop: Header=BB426_4 Depth=1
	s_or_b32 exec_lo, exec_lo, s21
	v_mul_f32_e32 v29, s2, v13
	v_lshl_add_u64 v[26:27], s[14:15], 1, v[26:27]
	s_delay_alu instid0(VALU_DEP_2) | instskip(NEXT) | instid1(VALU_DEP_2)
	v_and_b32_e32 v30, 0x7f800000, v29
	v_lshl_add_u64 v[26:27], v[2:3], 1, v[26:27]
	s_delay_alu instid0(VALU_DEP_2) | instskip(SKIP_3) | instid1(SALU_CYCLE_1)
	v_cmp_ne_u32_e32 vcc_lo, 0x7f800000, v30
	global_store_d16_hi_b16 v[26:27], v28, off
                                        ; implicit-def: $vgpr30
	s_wait_xcnt 0x0
	s_and_saveexec_b32 s21, vcc_lo
	s_xor_b32 s21, exec_lo, s21
; %bb.61:                               ;   in Loop: Header=BB426_4 Depth=1
	v_bfe_u32 v28, v29, 16, 1
	s_delay_alu instid0(VALU_DEP_1)
	v_add3_u32 v30, v29, v28, 0x7fff
                                        ; implicit-def: $vgpr29
; %bb.62:                               ;   in Loop: Header=BB426_4 Depth=1
	s_and_not1_saveexec_b32 s21, s21
; %bb.63:                               ;   in Loop: Header=BB426_4 Depth=1
	v_and_b32_e32 v28, 0xffff, v29
	v_or_b32_e32 v30, 0x10000, v29
	s_delay_alu instid0(VALU_DEP_2) | instskip(NEXT) | instid1(VALU_DEP_2)
	v_cmp_eq_u32_e32 vcc_lo, 0, v28
	v_cndmask_b32_e32 v30, v30, v29, vcc_lo
; %bb.64:                               ;   in Loop: Header=BB426_4 Depth=1
	s_or_b32 exec_lo, exec_lo, s21
	v_mul_f32_e32 v28, s2, v10
	global_store_d16_hi_b16 v[26:27], v30, off offset:32
	v_and_b32_e32 v29, 0x7f800000, v28
	s_delay_alu instid0(VALU_DEP_1) | instskip(SKIP_2) | instid1(SALU_CYCLE_1)
	v_cmp_ne_u32_e32 vcc_lo, 0x7f800000, v29
                                        ; implicit-def: $vgpr29
	s_wait_xcnt 0x0
	s_and_saveexec_b32 s21, vcc_lo
	s_xor_b32 s21, exec_lo, s21
; %bb.65:                               ;   in Loop: Header=BB426_4 Depth=1
	v_bfe_u32 v29, v28, 16, 1
	s_delay_alu instid0(VALU_DEP_1)
	v_add3_u32 v29, v28, v29, 0x7fff
                                        ; implicit-def: $vgpr28
; %bb.66:                               ;   in Loop: Header=BB426_4 Depth=1
	s_and_not1_saveexec_b32 s21, s21
; %bb.67:                               ;   in Loop: Header=BB426_4 Depth=1
	v_and_b32_e32 v29, 0xffff, v28
	v_or_b32_e32 v30, 0x10000, v28
	s_delay_alu instid0(VALU_DEP_2) | instskip(NEXT) | instid1(VALU_DEP_2)
	v_cmp_eq_u32_e32 vcc_lo, 0, v29
	v_cndmask_b32_e32 v29, v30, v28, vcc_lo
; %bb.68:                               ;   in Loop: Header=BB426_4 Depth=1
	s_or_b32 exec_lo, exec_lo, s21
	v_mul_f32_e32 v28, s2, v11
	s_mov_b32 s21, exec_lo
	global_store_d16_hi_b16 v[26:27], v29, off offset:64
                                        ; implicit-def: $vgpr29
	v_and_b32_e32 v30, 0x7f800000, v28
	s_wait_xcnt 0x0
	s_delay_alu instid0(VALU_DEP_1)
	v_cmpx_ne_u32_e32 0x7f800000, v30
	s_xor_b32 s21, exec_lo, s21
; %bb.69:                               ;   in Loop: Header=BB426_4 Depth=1
	v_bfe_u32 v29, v28, 16, 1
	s_delay_alu instid0(VALU_DEP_1)
	v_add3_u32 v29, v28, v29, 0x7fff
                                        ; implicit-def: $vgpr28
; %bb.70:                               ;   in Loop: Header=BB426_4 Depth=1
	s_and_not1_saveexec_b32 s21, s21
; %bb.71:                               ;   in Loop: Header=BB426_4 Depth=1
	v_and_b32_e32 v29, 0xffff, v28
	v_or_b32_e32 v30, 0x10000, v28
	s_delay_alu instid0(VALU_DEP_2) | instskip(NEXT) | instid1(VALU_DEP_2)
	v_cmp_eq_u32_e32 vcc_lo, 0, v29
	v_cndmask_b32_e32 v29, v30, v28, vcc_lo
; %bb.72:                               ;   in Loop: Header=BB426_4 Depth=1
	s_or_b32 exec_lo, exec_lo, s21
	global_store_d16_hi_b16 v[26:27], v29, off offset:96
	s_branch .LBB426_3
.LBB426_73:                             ;   in Loop: Header=BB426_4 Depth=1
	s_cbranch_execz .LBB426_3
; %bb.74:                               ;   in Loop: Header=BB426_4 Depth=1
	s_mul_u64 s[24:25], s[8:9], s[28:29]
	s_wait_xcnt 0x0
	v_lshl_add_u64 v[26:27], s[24:25], 1, v[4:5]
	s_delay_alu instid0(VALU_DEP_1) | instskip(SKIP_3) | instid1(VALU_DEP_1)
	v_lshl_add_u64 v[30:31], v[2:3], 1, v[26:27]
	global_load_u16 v28, v[30:31], off
	s_wait_loadcnt 0x0
	v_lshlrev_b32_e32 v28, 16, v28
	v_mul_f32_e32 v28, s30, v28
	s_delay_alu instid0(VALU_DEP_1) | instskip(NEXT) | instid1(VALU_DEP_1)
	v_and_b32_e32 v29, 0x7f800000, v28
	v_cmp_ne_u32_e32 vcc_lo, 0x7f800000, v29
                                        ; implicit-def: $vgpr29
	s_wait_xcnt 0x0
	s_and_saveexec_b32 s21, vcc_lo
	s_delay_alu instid0(SALU_CYCLE_1)
	s_xor_b32 s21, exec_lo, s21
; %bb.75:                               ;   in Loop: Header=BB426_4 Depth=1
	v_bfe_u32 v29, v28, 16, 1
	s_delay_alu instid0(VALU_DEP_1)
	v_add3_u32 v29, v28, v29, 0x7fff
                                        ; implicit-def: $vgpr28
; %bb.76:                               ;   in Loop: Header=BB426_4 Depth=1
	s_and_not1_saveexec_b32 s21, s21
; %bb.77:                               ;   in Loop: Header=BB426_4 Depth=1
	v_and_b32_e32 v29, 0xffff, v28
	v_or_b32_e32 v32, 0x10000, v28
	s_delay_alu instid0(VALU_DEP_2) | instskip(NEXT) | instid1(VALU_DEP_2)
	v_cmp_eq_u32_e32 vcc_lo, 0, v29
	v_cndmask_b32_e32 v29, v32, v28, vcc_lo
; %bb.78:                               ;   in Loop: Header=BB426_4 Depth=1
	s_or_b32 exec_lo, exec_lo, s21
	s_delay_alu instid0(VALU_DEP_1) | instskip(SKIP_1) | instid1(VALU_DEP_1)
	v_fma_mix_f32_bf16 v24, s2, v24, v29 op_sel:[0,0,1] op_sel_hi:[0,0,1]
	s_mov_b32 s21, exec_lo
                                        ; implicit-def: $vgpr38
	v_and_b32_e32 v28, 0x7f800000, v24
	s_delay_alu instid0(VALU_DEP_1)
	v_cmpx_ne_u32_e32 0x7f800000, v28
	s_xor_b32 s21, exec_lo, s21
; %bb.79:                               ;   in Loop: Header=BB426_4 Depth=1
	v_bfe_u32 v28, v24, 16, 1
	s_delay_alu instid0(VALU_DEP_1)
	v_add3_u32 v38, v24, v28, 0x7fff
                                        ; implicit-def: $vgpr24
; %bb.80:                               ;   in Loop: Header=BB426_4 Depth=1
	s_and_not1_saveexec_b32 s21, s21
; %bb.81:                               ;   in Loop: Header=BB426_4 Depth=1
	v_and_b32_e32 v28, 0xffff, v24
	v_or_b32_e32 v29, 0x10000, v24
	s_delay_alu instid0(VALU_DEP_2) | instskip(NEXT) | instid1(VALU_DEP_2)
	v_cmp_eq_u32_e32 vcc_lo, 0, v28
	v_cndmask_b32_e32 v38, v29, v24, vcc_lo
; %bb.82:                               ;   in Loop: Header=BB426_4 Depth=1
	s_or_b32 exec_lo, exec_lo, s21
	v_lshl_add_u64 v[28:29], v[0:1], 1, s[18:19]
	s_delay_alu instid0(VALU_DEP_1) | instskip(SKIP_4) | instid1(VALU_DEP_1)
	v_lshl_add_u64 v[32:33], v[2:3], 1, v[28:29]
	global_store_d16_hi_b16 v[32:33], v38, off
	global_load_u16 v24, v[30:31], off offset:32
	s_wait_loadcnt 0x0
	v_lshlrev_b32_e32 v24, 16, v24
	v_mul_f32_e32 v24, s30, v24
	s_wait_xcnt 0x1
	s_delay_alu instid0(VALU_DEP_1) | instskip(NEXT) | instid1(VALU_DEP_1)
	v_and_b32_e32 v38, 0x7f800000, v24
	v_cmp_ne_u32_e32 vcc_lo, 0x7f800000, v38
                                        ; implicit-def: $vgpr38
	s_wait_xcnt 0x0
	s_and_saveexec_b32 s18, vcc_lo
	s_delay_alu instid0(SALU_CYCLE_1)
	s_xor_b32 s18, exec_lo, s18
; %bb.83:                               ;   in Loop: Header=BB426_4 Depth=1
	v_bfe_u32 v38, v24, 16, 1
	s_delay_alu instid0(VALU_DEP_1)
	v_add3_u32 v38, v24, v38, 0x7fff
                                        ; implicit-def: $vgpr24
; %bb.84:                               ;   in Loop: Header=BB426_4 Depth=1
	s_and_not1_saveexec_b32 s18, s18
; %bb.85:                               ;   in Loop: Header=BB426_4 Depth=1
	v_and_b32_e32 v38, 0xffff, v24
	v_or_b32_e32 v39, 0x10000, v24
	s_delay_alu instid0(VALU_DEP_2) | instskip(NEXT) | instid1(VALU_DEP_2)
	v_cmp_eq_u32_e32 vcc_lo, 0, v38
	v_cndmask_b32_e32 v38, v39, v24, vcc_lo
; %bb.86:                               ;   in Loop: Header=BB426_4 Depth=1
	s_or_b32 exec_lo, exec_lo, s18
	s_delay_alu instid0(VALU_DEP_1) | instskip(NEXT) | instid1(VALU_DEP_1)
	v_fma_mix_f32_bf16 v24, s2, v25, v38 op_sel:[0,0,1] op_sel_hi:[0,0,1]
	v_and_b32_e32 v25, 0x7f800000, v24
	s_delay_alu instid0(VALU_DEP_1) | instskip(SKIP_1) | instid1(SALU_CYCLE_1)
	v_cmp_ne_u32_e32 vcc_lo, 0x7f800000, v25
                                        ; implicit-def: $vgpr25
	s_and_saveexec_b32 s18, vcc_lo
	s_xor_b32 s18, exec_lo, s18
; %bb.87:                               ;   in Loop: Header=BB426_4 Depth=1
	v_bfe_u32 v25, v24, 16, 1
	s_delay_alu instid0(VALU_DEP_1)
	v_add3_u32 v25, v24, v25, 0x7fff
                                        ; implicit-def: $vgpr24
; %bb.88:                               ;   in Loop: Header=BB426_4 Depth=1
	s_and_not1_saveexec_b32 s18, s18
; %bb.89:                               ;   in Loop: Header=BB426_4 Depth=1
	v_and_b32_e32 v25, 0xffff, v24
	v_or_b32_e32 v38, 0x10000, v24
	s_delay_alu instid0(VALU_DEP_2) | instskip(NEXT) | instid1(VALU_DEP_2)
	v_cmp_eq_u32_e32 vcc_lo, 0, v25
	v_cndmask_b32_e32 v25, v38, v24, vcc_lo
; %bb.90:                               ;   in Loop: Header=BB426_4 Depth=1
	s_or_b32 exec_lo, exec_lo, s18
	global_store_d16_hi_b16 v[32:33], v25, off offset:32
	global_load_u16 v24, v[30:31], off offset:64
	s_wait_loadcnt 0x0
	v_lshlrev_b32_e32 v24, 16, v24
	s_delay_alu instid0(VALU_DEP_1) | instskip(SKIP_1) | instid1(VALU_DEP_1)
	v_mul_f32_e32 v24, s30, v24
	s_wait_xcnt 0x1
	v_and_b32_e32 v25, 0x7f800000, v24
	s_delay_alu instid0(VALU_DEP_1) | instskip(SKIP_2) | instid1(SALU_CYCLE_1)
	v_cmp_ne_u32_e32 vcc_lo, 0x7f800000, v25
                                        ; implicit-def: $vgpr25
	s_wait_xcnt 0x0
	s_and_saveexec_b32 s18, vcc_lo
	s_xor_b32 s18, exec_lo, s18
; %bb.91:                               ;   in Loop: Header=BB426_4 Depth=1
	v_bfe_u32 v25, v24, 16, 1
	s_delay_alu instid0(VALU_DEP_1)
	v_add3_u32 v25, v24, v25, 0x7fff
                                        ; implicit-def: $vgpr24
; %bb.92:                               ;   in Loop: Header=BB426_4 Depth=1
	s_and_not1_saveexec_b32 s18, s18
; %bb.93:                               ;   in Loop: Header=BB426_4 Depth=1
	v_and_b32_e32 v25, 0xffff, v24
	v_or_b32_e32 v38, 0x10000, v24
	s_delay_alu instid0(VALU_DEP_2) | instskip(NEXT) | instid1(VALU_DEP_2)
	v_cmp_eq_u32_e32 vcc_lo, 0, v25
	v_cndmask_b32_e32 v25, v38, v24, vcc_lo
; %bb.94:                               ;   in Loop: Header=BB426_4 Depth=1
	s_or_b32 exec_lo, exec_lo, s18
	s_delay_alu instid0(VALU_DEP_1) | instskip(NEXT) | instid1(VALU_DEP_1)
	v_fma_mix_f32_bf16 v22, s2, v22, v25 op_sel:[0,0,1] op_sel_hi:[0,0,1]
	v_and_b32_e32 v24, 0x7f800000, v22
	s_delay_alu instid0(VALU_DEP_1) | instskip(SKIP_1) | instid1(SALU_CYCLE_1)
	v_cmp_ne_u32_e32 vcc_lo, 0x7f800000, v24
                                        ; implicit-def: $vgpr24
	s_and_saveexec_b32 s18, vcc_lo
	s_xor_b32 s18, exec_lo, s18
; %bb.95:                               ;   in Loop: Header=BB426_4 Depth=1
	v_bfe_u32 v24, v22, 16, 1
	s_delay_alu instid0(VALU_DEP_1)
	v_add3_u32 v24, v22, v24, 0x7fff
                                        ; implicit-def: $vgpr22
; %bb.96:                               ;   in Loop: Header=BB426_4 Depth=1
	s_and_not1_saveexec_b32 s18, s18
; %bb.97:                               ;   in Loop: Header=BB426_4 Depth=1
	v_and_b32_e32 v24, 0xffff, v22
	v_or_b32_e32 v25, 0x10000, v22
	s_delay_alu instid0(VALU_DEP_2) | instskip(NEXT) | instid1(VALU_DEP_2)
	v_cmp_eq_u32_e32 vcc_lo, 0, v24
	v_cndmask_b32_e32 v24, v25, v22, vcc_lo
; %bb.98:                               ;   in Loop: Header=BB426_4 Depth=1
	s_or_b32 exec_lo, exec_lo, s18
	global_store_d16_hi_b16 v[32:33], v24, off offset:64
	global_load_u16 v22, v[30:31], off offset:96
	s_wait_loadcnt 0x0
	v_lshlrev_b32_e32 v22, 16, v22
	s_delay_alu instid0(VALU_DEP_1) | instskip(SKIP_1) | instid1(VALU_DEP_1)
	v_mul_f32_e32 v22, s30, v22
	s_wait_xcnt 0x1
	v_and_b32_e32 v24, 0x7f800000, v22
	s_delay_alu instid0(VALU_DEP_1) | instskip(SKIP_2) | instid1(SALU_CYCLE_1)
	v_cmp_ne_u32_e32 vcc_lo, 0x7f800000, v24
                                        ; implicit-def: $vgpr24
	s_wait_xcnt 0x0
	s_and_saveexec_b32 s18, vcc_lo
	s_xor_b32 s18, exec_lo, s18
; %bb.99:                               ;   in Loop: Header=BB426_4 Depth=1
	v_bfe_u32 v24, v22, 16, 1
	s_delay_alu instid0(VALU_DEP_1)
	v_add3_u32 v24, v22, v24, 0x7fff
                                        ; implicit-def: $vgpr22
; %bb.100:                              ;   in Loop: Header=BB426_4 Depth=1
	s_and_not1_saveexec_b32 s18, s18
; %bb.101:                              ;   in Loop: Header=BB426_4 Depth=1
	v_and_b32_e32 v24, 0xffff, v22
	v_or_b32_e32 v25, 0x10000, v22
	s_delay_alu instid0(VALU_DEP_2) | instskip(NEXT) | instid1(VALU_DEP_2)
	v_cmp_eq_u32_e32 vcc_lo, 0, v24
	v_cndmask_b32_e32 v24, v25, v22, vcc_lo
; %bb.102:                              ;   in Loop: Header=BB426_4 Depth=1
	s_or_b32 exec_lo, exec_lo, s18
	s_delay_alu instid0(VALU_DEP_1) | instskip(SKIP_1) | instid1(VALU_DEP_1)
	v_fma_mix_f32_bf16 v22, s2, v23, v24 op_sel:[0,0,1] op_sel_hi:[0,0,1]
	s_mov_b32 s18, exec_lo
                                        ; implicit-def: $vgpr24
	v_and_b32_e32 v23, 0x7f800000, v22
	s_delay_alu instid0(VALU_DEP_1)
	v_cmpx_ne_u32_e32 0x7f800000, v23
	s_xor_b32 s18, exec_lo, s18
; %bb.103:                              ;   in Loop: Header=BB426_4 Depth=1
	v_bfe_u32 v23, v22, 16, 1
	s_delay_alu instid0(VALU_DEP_1)
	v_add3_u32 v24, v22, v23, 0x7fff
                                        ; implicit-def: $vgpr22
; %bb.104:                              ;   in Loop: Header=BB426_4 Depth=1
	s_and_not1_saveexec_b32 s18, s18
; %bb.105:                              ;   in Loop: Header=BB426_4 Depth=1
	v_and_b32_e32 v23, 0xffff, v22
	v_or_b32_e32 v24, 0x10000, v22
	s_delay_alu instid0(VALU_DEP_2) | instskip(NEXT) | instid1(VALU_DEP_2)
	v_cmp_eq_u32_e32 vcc_lo, 0, v23
	v_cndmask_b32_e32 v24, v24, v22, vcc_lo
; %bb.106:                              ;   in Loop: Header=BB426_4 Depth=1
	s_or_b32 exec_lo, exec_lo, s18
	v_lshl_add_u64 v[22:23], s[6:7], 1, v[26:27]
	global_store_d16_hi_b16 v[32:33], v24, off offset:96
	v_lshl_add_u64 v[26:27], v[2:3], 1, v[22:23]
	global_load_u16 v24, v[26:27], off
	s_wait_loadcnt 0x0
	v_lshlrev_b32_e32 v24, 16, v24
	s_delay_alu instid0(VALU_DEP_1) | instskip(NEXT) | instid1(VALU_DEP_1)
	v_mul_f32_e32 v24, s30, v24
	v_and_b32_e32 v25, 0x7f800000, v24
	s_delay_alu instid0(VALU_DEP_1) | instskip(SKIP_2) | instid1(SALU_CYCLE_1)
	v_cmp_ne_u32_e32 vcc_lo, 0x7f800000, v25
                                        ; implicit-def: $vgpr25
	s_wait_xcnt 0x0
	s_and_saveexec_b32 s18, vcc_lo
	s_xor_b32 s18, exec_lo, s18
; %bb.107:                              ;   in Loop: Header=BB426_4 Depth=1
	v_bfe_u32 v25, v24, 16, 1
	s_delay_alu instid0(VALU_DEP_1)
	v_add3_u32 v25, v24, v25, 0x7fff
                                        ; implicit-def: $vgpr24
; %bb.108:                              ;   in Loop: Header=BB426_4 Depth=1
	s_and_not1_saveexec_b32 s18, s18
; %bb.109:                              ;   in Loop: Header=BB426_4 Depth=1
	v_and_b32_e32 v25, 0xffff, v24
	v_or_b32_e32 v30, 0x10000, v24
	s_delay_alu instid0(VALU_DEP_2) | instskip(NEXT) | instid1(VALU_DEP_2)
	v_cmp_eq_u32_e32 vcc_lo, 0, v25
	v_cndmask_b32_e32 v25, v30, v24, vcc_lo
; %bb.110:                              ;   in Loop: Header=BB426_4 Depth=1
	s_or_b32 exec_lo, exec_lo, s18
	s_delay_alu instid0(VALU_DEP_1) | instskip(SKIP_1) | instid1(VALU_DEP_1)
	v_fma_mix_f32_bf16 v20, s2, v20, v25 op_sel:[0,0,1] op_sel_hi:[0,0,1]
	s_mov_b32 s18, exec_lo
                                        ; implicit-def: $vgpr30
	v_and_b32_e32 v24, 0x7f800000, v20
	s_delay_alu instid0(VALU_DEP_1)
	v_cmpx_ne_u32_e32 0x7f800000, v24
	s_xor_b32 s18, exec_lo, s18
; %bb.111:                              ;   in Loop: Header=BB426_4 Depth=1
	v_bfe_u32 v24, v20, 16, 1
	s_delay_alu instid0(VALU_DEP_1)
	v_add3_u32 v30, v20, v24, 0x7fff
                                        ; implicit-def: $vgpr20
; %bb.112:                              ;   in Loop: Header=BB426_4 Depth=1
	s_and_not1_saveexec_b32 s18, s18
; %bb.113:                              ;   in Loop: Header=BB426_4 Depth=1
	v_and_b32_e32 v24, 0xffff, v20
	v_or_b32_e32 v25, 0x10000, v20
	s_delay_alu instid0(VALU_DEP_2) | instskip(NEXT) | instid1(VALU_DEP_2)
	v_cmp_eq_u32_e32 vcc_lo, 0, v24
	v_cndmask_b32_e32 v30, v25, v20, vcc_lo
; %bb.114:                              ;   in Loop: Header=BB426_4 Depth=1
	s_or_b32 exec_lo, exec_lo, s18
	v_lshl_add_u64 v[24:25], s[14:15], 1, v[28:29]
	s_delay_alu instid0(VALU_DEP_1) | instskip(SKIP_4) | instid1(VALU_DEP_1)
	v_lshl_add_u64 v[28:29], v[2:3], 1, v[24:25]
	global_store_d16_hi_b16 v[28:29], v30, off
	global_load_u16 v20, v[26:27], off offset:32
	s_wait_loadcnt 0x0
	v_lshlrev_b32_e32 v20, 16, v20
	v_mul_f32_e32 v20, s30, v20
	s_wait_xcnt 0x1
	s_delay_alu instid0(VALU_DEP_1) | instskip(NEXT) | instid1(VALU_DEP_1)
	v_and_b32_e32 v30, 0x7f800000, v20
	v_cmp_ne_u32_e32 vcc_lo, 0x7f800000, v30
                                        ; implicit-def: $vgpr30
	s_wait_xcnt 0x0
	s_and_saveexec_b32 s18, vcc_lo
	s_delay_alu instid0(SALU_CYCLE_1)
	s_xor_b32 s18, exec_lo, s18
; %bb.115:                              ;   in Loop: Header=BB426_4 Depth=1
	v_bfe_u32 v30, v20, 16, 1
	s_delay_alu instid0(VALU_DEP_1)
	v_add3_u32 v30, v20, v30, 0x7fff
                                        ; implicit-def: $vgpr20
; %bb.116:                              ;   in Loop: Header=BB426_4 Depth=1
	s_and_not1_saveexec_b32 s18, s18
; %bb.117:                              ;   in Loop: Header=BB426_4 Depth=1
	v_and_b32_e32 v30, 0xffff, v20
	v_or_b32_e32 v31, 0x10000, v20
	s_delay_alu instid0(VALU_DEP_2) | instskip(NEXT) | instid1(VALU_DEP_2)
	v_cmp_eq_u32_e32 vcc_lo, 0, v30
	v_cndmask_b32_e32 v30, v31, v20, vcc_lo
; %bb.118:                              ;   in Loop: Header=BB426_4 Depth=1
	s_or_b32 exec_lo, exec_lo, s18
	s_delay_alu instid0(VALU_DEP_1) | instskip(NEXT) | instid1(VALU_DEP_1)
	v_fma_mix_f32_bf16 v20, s2, v21, v30 op_sel:[0,0,1] op_sel_hi:[0,0,1]
	v_and_b32_e32 v21, 0x7f800000, v20
	s_delay_alu instid0(VALU_DEP_1) | instskip(SKIP_1) | instid1(SALU_CYCLE_1)
	v_cmp_ne_u32_e32 vcc_lo, 0x7f800000, v21
                                        ; implicit-def: $vgpr21
	s_and_saveexec_b32 s18, vcc_lo
	s_xor_b32 s18, exec_lo, s18
; %bb.119:                              ;   in Loop: Header=BB426_4 Depth=1
	v_bfe_u32 v21, v20, 16, 1
	s_delay_alu instid0(VALU_DEP_1)
	v_add3_u32 v21, v20, v21, 0x7fff
                                        ; implicit-def: $vgpr20
; %bb.120:                              ;   in Loop: Header=BB426_4 Depth=1
	s_and_not1_saveexec_b32 s18, s18
; %bb.121:                              ;   in Loop: Header=BB426_4 Depth=1
	v_and_b32_e32 v21, 0xffff, v20
	v_or_b32_e32 v30, 0x10000, v20
	s_delay_alu instid0(VALU_DEP_2) | instskip(NEXT) | instid1(VALU_DEP_2)
	v_cmp_eq_u32_e32 vcc_lo, 0, v21
	v_cndmask_b32_e32 v21, v30, v20, vcc_lo
; %bb.122:                              ;   in Loop: Header=BB426_4 Depth=1
	s_or_b32 exec_lo, exec_lo, s18
	global_store_d16_hi_b16 v[28:29], v21, off offset:32
	global_load_u16 v20, v[26:27], off offset:64
	s_wait_loadcnt 0x0
	v_lshlrev_b32_e32 v20, 16, v20
	s_delay_alu instid0(VALU_DEP_1) | instskip(SKIP_1) | instid1(VALU_DEP_1)
	v_mul_f32_e32 v20, s30, v20
	s_wait_xcnt 0x1
	v_and_b32_e32 v21, 0x7f800000, v20
	s_delay_alu instid0(VALU_DEP_1) | instskip(SKIP_2) | instid1(SALU_CYCLE_1)
	v_cmp_ne_u32_e32 vcc_lo, 0x7f800000, v21
                                        ; implicit-def: $vgpr21
	s_wait_xcnt 0x0
	s_and_saveexec_b32 s18, vcc_lo
	s_xor_b32 s18, exec_lo, s18
; %bb.123:                              ;   in Loop: Header=BB426_4 Depth=1
	v_bfe_u32 v21, v20, 16, 1
	s_delay_alu instid0(VALU_DEP_1)
	v_add3_u32 v21, v20, v21, 0x7fff
                                        ; implicit-def: $vgpr20
; %bb.124:                              ;   in Loop: Header=BB426_4 Depth=1
	s_and_not1_saveexec_b32 s18, s18
; %bb.125:                              ;   in Loop: Header=BB426_4 Depth=1
	v_and_b32_e32 v21, 0xffff, v20
	v_or_b32_e32 v30, 0x10000, v20
	s_delay_alu instid0(VALU_DEP_2) | instskip(NEXT) | instid1(VALU_DEP_2)
	v_cmp_eq_u32_e32 vcc_lo, 0, v21
	v_cndmask_b32_e32 v21, v30, v20, vcc_lo
; %bb.126:                              ;   in Loop: Header=BB426_4 Depth=1
	s_or_b32 exec_lo, exec_lo, s18
	s_delay_alu instid0(VALU_DEP_1) | instskip(NEXT) | instid1(VALU_DEP_1)
	v_fma_mix_f32_bf16 v18, s2, v18, v21 op_sel:[0,0,1] op_sel_hi:[0,0,1]
	v_and_b32_e32 v20, 0x7f800000, v18
	s_delay_alu instid0(VALU_DEP_1) | instskip(SKIP_1) | instid1(SALU_CYCLE_1)
	v_cmp_ne_u32_e32 vcc_lo, 0x7f800000, v20
                                        ; implicit-def: $vgpr20
	s_and_saveexec_b32 s18, vcc_lo
	s_xor_b32 s18, exec_lo, s18
; %bb.127:                              ;   in Loop: Header=BB426_4 Depth=1
	v_bfe_u32 v20, v18, 16, 1
	s_delay_alu instid0(VALU_DEP_1)
	v_add3_u32 v20, v18, v20, 0x7fff
                                        ; implicit-def: $vgpr18
; %bb.128:                              ;   in Loop: Header=BB426_4 Depth=1
	s_and_not1_saveexec_b32 s18, s18
; %bb.129:                              ;   in Loop: Header=BB426_4 Depth=1
	v_and_b32_e32 v20, 0xffff, v18
	v_or_b32_e32 v21, 0x10000, v18
	s_delay_alu instid0(VALU_DEP_2) | instskip(NEXT) | instid1(VALU_DEP_2)
	v_cmp_eq_u32_e32 vcc_lo, 0, v20
	v_cndmask_b32_e32 v20, v21, v18, vcc_lo
; %bb.130:                              ;   in Loop: Header=BB426_4 Depth=1
	s_or_b32 exec_lo, exec_lo, s18
	global_store_d16_hi_b16 v[28:29], v20, off offset:64
	global_load_u16 v18, v[26:27], off offset:96
	s_wait_loadcnt 0x0
	v_lshlrev_b32_e32 v18, 16, v18
	s_delay_alu instid0(VALU_DEP_1) | instskip(SKIP_1) | instid1(VALU_DEP_1)
	v_mul_f32_e32 v18, s30, v18
	s_wait_xcnt 0x1
	v_and_b32_e32 v20, 0x7f800000, v18
	s_delay_alu instid0(VALU_DEP_1) | instskip(SKIP_2) | instid1(SALU_CYCLE_1)
	v_cmp_ne_u32_e32 vcc_lo, 0x7f800000, v20
                                        ; implicit-def: $vgpr20
	s_wait_xcnt 0x0
	s_and_saveexec_b32 s18, vcc_lo
	s_xor_b32 s18, exec_lo, s18
; %bb.131:                              ;   in Loop: Header=BB426_4 Depth=1
	v_bfe_u32 v20, v18, 16, 1
	s_delay_alu instid0(VALU_DEP_1)
	v_add3_u32 v20, v18, v20, 0x7fff
                                        ; implicit-def: $vgpr18
; %bb.132:                              ;   in Loop: Header=BB426_4 Depth=1
	s_and_not1_saveexec_b32 s18, s18
; %bb.133:                              ;   in Loop: Header=BB426_4 Depth=1
	v_and_b32_e32 v20, 0xffff, v18
	v_or_b32_e32 v21, 0x10000, v18
	s_delay_alu instid0(VALU_DEP_2) | instskip(NEXT) | instid1(VALU_DEP_2)
	v_cmp_eq_u32_e32 vcc_lo, 0, v20
	v_cndmask_b32_e32 v20, v21, v18, vcc_lo
; %bb.134:                              ;   in Loop: Header=BB426_4 Depth=1
	s_or_b32 exec_lo, exec_lo, s18
	s_delay_alu instid0(VALU_DEP_1) | instskip(SKIP_1) | instid1(VALU_DEP_1)
	v_fma_mix_f32_bf16 v18, s2, v19, v20 op_sel:[0,0,1] op_sel_hi:[0,0,1]
	s_mov_b32 s18, exec_lo
                                        ; implicit-def: $vgpr20
	v_and_b32_e32 v19, 0x7f800000, v18
	s_delay_alu instid0(VALU_DEP_1)
	v_cmpx_ne_u32_e32 0x7f800000, v19
	s_xor_b32 s18, exec_lo, s18
; %bb.135:                              ;   in Loop: Header=BB426_4 Depth=1
	v_bfe_u32 v19, v18, 16, 1
	s_delay_alu instid0(VALU_DEP_1)
	v_add3_u32 v20, v18, v19, 0x7fff
                                        ; implicit-def: $vgpr18
; %bb.136:                              ;   in Loop: Header=BB426_4 Depth=1
	s_and_not1_saveexec_b32 s18, s18
; %bb.137:                              ;   in Loop: Header=BB426_4 Depth=1
	v_and_b32_e32 v19, 0xffff, v18
	v_or_b32_e32 v20, 0x10000, v18
	s_delay_alu instid0(VALU_DEP_2) | instskip(NEXT) | instid1(VALU_DEP_2)
	v_cmp_eq_u32_e32 vcc_lo, 0, v19
	v_cndmask_b32_e32 v20, v20, v18, vcc_lo
; %bb.138:                              ;   in Loop: Header=BB426_4 Depth=1
	s_or_b32 exec_lo, exec_lo, s18
	v_lshl_add_u64 v[18:19], s[6:7], 1, v[22:23]
	global_store_d16_hi_b16 v[28:29], v20, off offset:96
	v_lshl_add_u64 v[22:23], v[2:3], 1, v[18:19]
	global_load_u16 v20, v[22:23], off
	s_wait_loadcnt 0x0
	v_lshlrev_b32_e32 v20, 16, v20
	s_delay_alu instid0(VALU_DEP_1) | instskip(NEXT) | instid1(VALU_DEP_1)
	v_mul_f32_e32 v20, s30, v20
	v_and_b32_e32 v21, 0x7f800000, v20
	s_delay_alu instid0(VALU_DEP_1) | instskip(SKIP_2) | instid1(SALU_CYCLE_1)
	v_cmp_ne_u32_e32 vcc_lo, 0x7f800000, v21
                                        ; implicit-def: $vgpr21
	s_wait_xcnt 0x0
	s_and_saveexec_b32 s18, vcc_lo
	s_xor_b32 s18, exec_lo, s18
; %bb.139:                              ;   in Loop: Header=BB426_4 Depth=1
	v_bfe_u32 v21, v20, 16, 1
	s_delay_alu instid0(VALU_DEP_1)
	v_add3_u32 v21, v20, v21, 0x7fff
                                        ; implicit-def: $vgpr20
; %bb.140:                              ;   in Loop: Header=BB426_4 Depth=1
	s_and_not1_saveexec_b32 s18, s18
; %bb.141:                              ;   in Loop: Header=BB426_4 Depth=1
	v_and_b32_e32 v21, 0xffff, v20
	v_or_b32_e32 v26, 0x10000, v20
	s_delay_alu instid0(VALU_DEP_2) | instskip(NEXT) | instid1(VALU_DEP_2)
	v_cmp_eq_u32_e32 vcc_lo, 0, v21
	v_cndmask_b32_e32 v21, v26, v20, vcc_lo
; %bb.142:                              ;   in Loop: Header=BB426_4 Depth=1
	s_or_b32 exec_lo, exec_lo, s18
	s_delay_alu instid0(VALU_DEP_1) | instskip(SKIP_1) | instid1(VALU_DEP_1)
	v_fma_mix_f32_bf16 v16, s2, v16, v21 op_sel:[0,0,1] op_sel_hi:[0,0,1]
	s_mov_b32 s18, exec_lo
                                        ; implicit-def: $vgpr26
	v_and_b32_e32 v20, 0x7f800000, v16
	s_delay_alu instid0(VALU_DEP_1)
	v_cmpx_ne_u32_e32 0x7f800000, v20
	s_xor_b32 s18, exec_lo, s18
; %bb.143:                              ;   in Loop: Header=BB426_4 Depth=1
	v_bfe_u32 v20, v16, 16, 1
	s_delay_alu instid0(VALU_DEP_1)
	v_add3_u32 v26, v16, v20, 0x7fff
                                        ; implicit-def: $vgpr16
; %bb.144:                              ;   in Loop: Header=BB426_4 Depth=1
	s_and_not1_saveexec_b32 s18, s18
; %bb.145:                              ;   in Loop: Header=BB426_4 Depth=1
	v_and_b32_e32 v20, 0xffff, v16
	v_or_b32_e32 v21, 0x10000, v16
	s_delay_alu instid0(VALU_DEP_2) | instskip(NEXT) | instid1(VALU_DEP_2)
	v_cmp_eq_u32_e32 vcc_lo, 0, v20
	v_cndmask_b32_e32 v26, v21, v16, vcc_lo
; %bb.146:                              ;   in Loop: Header=BB426_4 Depth=1
	s_or_b32 exec_lo, exec_lo, s18
	v_lshl_add_u64 v[20:21], s[14:15], 1, v[24:25]
	s_delay_alu instid0(VALU_DEP_1) | instskip(SKIP_4) | instid1(VALU_DEP_1)
	v_lshl_add_u64 v[24:25], v[2:3], 1, v[20:21]
	global_store_d16_hi_b16 v[24:25], v26, off
	global_load_u16 v16, v[22:23], off offset:32
	s_wait_loadcnt 0x0
	v_lshlrev_b32_e32 v16, 16, v16
	v_mul_f32_e32 v16, s30, v16
	s_wait_xcnt 0x1
	s_delay_alu instid0(VALU_DEP_1) | instskip(NEXT) | instid1(VALU_DEP_1)
	v_and_b32_e32 v26, 0x7f800000, v16
	v_cmp_ne_u32_e32 vcc_lo, 0x7f800000, v26
                                        ; implicit-def: $vgpr26
	s_wait_xcnt 0x0
	s_and_saveexec_b32 s18, vcc_lo
	s_delay_alu instid0(SALU_CYCLE_1)
	s_xor_b32 s18, exec_lo, s18
; %bb.147:                              ;   in Loop: Header=BB426_4 Depth=1
	v_bfe_u32 v26, v16, 16, 1
	s_delay_alu instid0(VALU_DEP_1)
	v_add3_u32 v26, v16, v26, 0x7fff
                                        ; implicit-def: $vgpr16
; %bb.148:                              ;   in Loop: Header=BB426_4 Depth=1
	s_and_not1_saveexec_b32 s18, s18
; %bb.149:                              ;   in Loop: Header=BB426_4 Depth=1
	v_and_b32_e32 v26, 0xffff, v16
	v_or_b32_e32 v27, 0x10000, v16
	s_delay_alu instid0(VALU_DEP_2) | instskip(NEXT) | instid1(VALU_DEP_2)
	v_cmp_eq_u32_e32 vcc_lo, 0, v26
	v_cndmask_b32_e32 v26, v27, v16, vcc_lo
; %bb.150:                              ;   in Loop: Header=BB426_4 Depth=1
	s_or_b32 exec_lo, exec_lo, s18
	s_delay_alu instid0(VALU_DEP_1) | instskip(NEXT) | instid1(VALU_DEP_1)
	v_fma_mix_f32_bf16 v16, s2, v17, v26 op_sel:[0,0,1] op_sel_hi:[0,0,1]
	v_and_b32_e32 v17, 0x7f800000, v16
	s_delay_alu instid0(VALU_DEP_1) | instskip(SKIP_1) | instid1(SALU_CYCLE_1)
	v_cmp_ne_u32_e32 vcc_lo, 0x7f800000, v17
                                        ; implicit-def: $vgpr17
	s_and_saveexec_b32 s18, vcc_lo
	s_xor_b32 s18, exec_lo, s18
; %bb.151:                              ;   in Loop: Header=BB426_4 Depth=1
	v_bfe_u32 v17, v16, 16, 1
	s_delay_alu instid0(VALU_DEP_1)
	v_add3_u32 v17, v16, v17, 0x7fff
                                        ; implicit-def: $vgpr16
; %bb.152:                              ;   in Loop: Header=BB426_4 Depth=1
	s_and_not1_saveexec_b32 s18, s18
; %bb.153:                              ;   in Loop: Header=BB426_4 Depth=1
	v_and_b32_e32 v17, 0xffff, v16
	v_or_b32_e32 v26, 0x10000, v16
	s_delay_alu instid0(VALU_DEP_2) | instskip(NEXT) | instid1(VALU_DEP_2)
	v_cmp_eq_u32_e32 vcc_lo, 0, v17
	v_cndmask_b32_e32 v17, v26, v16, vcc_lo
; %bb.154:                              ;   in Loop: Header=BB426_4 Depth=1
	s_or_b32 exec_lo, exec_lo, s18
	global_store_d16_hi_b16 v[24:25], v17, off offset:32
	global_load_u16 v16, v[22:23], off offset:64
	s_wait_loadcnt 0x0
	v_lshlrev_b32_e32 v16, 16, v16
	s_delay_alu instid0(VALU_DEP_1) | instskip(SKIP_1) | instid1(VALU_DEP_1)
	v_mul_f32_e32 v16, s30, v16
	s_wait_xcnt 0x1
	v_and_b32_e32 v17, 0x7f800000, v16
	s_delay_alu instid0(VALU_DEP_1) | instskip(SKIP_2) | instid1(SALU_CYCLE_1)
	v_cmp_ne_u32_e32 vcc_lo, 0x7f800000, v17
                                        ; implicit-def: $vgpr17
	s_wait_xcnt 0x0
	s_and_saveexec_b32 s18, vcc_lo
	s_xor_b32 s18, exec_lo, s18
; %bb.155:                              ;   in Loop: Header=BB426_4 Depth=1
	v_bfe_u32 v17, v16, 16, 1
	s_delay_alu instid0(VALU_DEP_1)
	v_add3_u32 v17, v16, v17, 0x7fff
                                        ; implicit-def: $vgpr16
; %bb.156:                              ;   in Loop: Header=BB426_4 Depth=1
	s_and_not1_saveexec_b32 s18, s18
; %bb.157:                              ;   in Loop: Header=BB426_4 Depth=1
	v_and_b32_e32 v17, 0xffff, v16
	v_or_b32_e32 v26, 0x10000, v16
	s_delay_alu instid0(VALU_DEP_2) | instskip(NEXT) | instid1(VALU_DEP_2)
	v_cmp_eq_u32_e32 vcc_lo, 0, v17
	v_cndmask_b32_e32 v17, v26, v16, vcc_lo
; %bb.158:                              ;   in Loop: Header=BB426_4 Depth=1
	s_or_b32 exec_lo, exec_lo, s18
	s_delay_alu instid0(VALU_DEP_1) | instskip(NEXT) | instid1(VALU_DEP_1)
	v_fma_mix_f32_bf16 v14, s2, v14, v17 op_sel:[0,0,1] op_sel_hi:[0,0,1]
	v_and_b32_e32 v16, 0x7f800000, v14
	s_delay_alu instid0(VALU_DEP_1) | instskip(SKIP_1) | instid1(SALU_CYCLE_1)
	v_cmp_ne_u32_e32 vcc_lo, 0x7f800000, v16
                                        ; implicit-def: $vgpr16
	s_and_saveexec_b32 s18, vcc_lo
	s_xor_b32 s18, exec_lo, s18
; %bb.159:                              ;   in Loop: Header=BB426_4 Depth=1
	v_bfe_u32 v16, v14, 16, 1
	s_delay_alu instid0(VALU_DEP_1)
	v_add3_u32 v16, v14, v16, 0x7fff
                                        ; implicit-def: $vgpr14
; %bb.160:                              ;   in Loop: Header=BB426_4 Depth=1
	s_and_not1_saveexec_b32 s18, s18
; %bb.161:                              ;   in Loop: Header=BB426_4 Depth=1
	v_and_b32_e32 v16, 0xffff, v14
	v_or_b32_e32 v17, 0x10000, v14
	s_delay_alu instid0(VALU_DEP_2) | instskip(NEXT) | instid1(VALU_DEP_2)
	v_cmp_eq_u32_e32 vcc_lo, 0, v16
	v_cndmask_b32_e32 v16, v17, v14, vcc_lo
; %bb.162:                              ;   in Loop: Header=BB426_4 Depth=1
	s_or_b32 exec_lo, exec_lo, s18
	global_store_d16_hi_b16 v[24:25], v16, off offset:64
	global_load_u16 v14, v[22:23], off offset:96
	s_wait_loadcnt 0x0
	v_lshlrev_b32_e32 v14, 16, v14
	s_delay_alu instid0(VALU_DEP_1) | instskip(SKIP_1) | instid1(VALU_DEP_1)
	v_mul_f32_e32 v14, s30, v14
	s_wait_xcnt 0x1
	v_and_b32_e32 v16, 0x7f800000, v14
	s_delay_alu instid0(VALU_DEP_1) | instskip(SKIP_2) | instid1(SALU_CYCLE_1)
	v_cmp_ne_u32_e32 vcc_lo, 0x7f800000, v16
                                        ; implicit-def: $vgpr16
	s_wait_xcnt 0x0
	s_and_saveexec_b32 s18, vcc_lo
	s_xor_b32 s18, exec_lo, s18
; %bb.163:                              ;   in Loop: Header=BB426_4 Depth=1
	v_bfe_u32 v16, v14, 16, 1
	s_delay_alu instid0(VALU_DEP_1)
	v_add3_u32 v16, v14, v16, 0x7fff
                                        ; implicit-def: $vgpr14
; %bb.164:                              ;   in Loop: Header=BB426_4 Depth=1
	s_and_not1_saveexec_b32 s18, s18
; %bb.165:                              ;   in Loop: Header=BB426_4 Depth=1
	v_and_b32_e32 v16, 0xffff, v14
	v_or_b32_e32 v17, 0x10000, v14
	s_delay_alu instid0(VALU_DEP_2) | instskip(NEXT) | instid1(VALU_DEP_2)
	v_cmp_eq_u32_e32 vcc_lo, 0, v16
	v_cndmask_b32_e32 v16, v17, v14, vcc_lo
; %bb.166:                              ;   in Loop: Header=BB426_4 Depth=1
	s_or_b32 exec_lo, exec_lo, s18
	s_delay_alu instid0(VALU_DEP_1) | instskip(SKIP_1) | instid1(VALU_DEP_1)
	v_fma_mix_f32_bf16 v14, s2, v15, v16 op_sel:[0,0,1] op_sel_hi:[0,0,1]
	s_mov_b32 s18, exec_lo
                                        ; implicit-def: $vgpr16
	v_and_b32_e32 v15, 0x7f800000, v14
	s_delay_alu instid0(VALU_DEP_1)
	v_cmpx_ne_u32_e32 0x7f800000, v15
	s_xor_b32 s18, exec_lo, s18
; %bb.167:                              ;   in Loop: Header=BB426_4 Depth=1
	v_bfe_u32 v15, v14, 16, 1
	s_delay_alu instid0(VALU_DEP_1)
	v_add3_u32 v16, v14, v15, 0x7fff
                                        ; implicit-def: $vgpr14
; %bb.168:                              ;   in Loop: Header=BB426_4 Depth=1
	s_and_not1_saveexec_b32 s18, s18
; %bb.169:                              ;   in Loop: Header=BB426_4 Depth=1
	v_and_b32_e32 v15, 0xffff, v14
	v_or_b32_e32 v16, 0x10000, v14
	s_delay_alu instid0(VALU_DEP_2) | instskip(NEXT) | instid1(VALU_DEP_2)
	v_cmp_eq_u32_e32 vcc_lo, 0, v15
	v_cndmask_b32_e32 v16, v16, v14, vcc_lo
; %bb.170:                              ;   in Loop: Header=BB426_4 Depth=1
	s_or_b32 exec_lo, exec_lo, s18
	v_lshl_add_u64 v[14:15], s[6:7], 1, v[18:19]
	global_store_d16_hi_b16 v[24:25], v16, off offset:96
	v_lshl_add_u64 v[14:15], v[2:3], 1, v[14:15]
	global_load_u16 v16, v[14:15], off
	s_wait_loadcnt 0x0
	v_lshlrev_b32_e32 v16, 16, v16
	s_delay_alu instid0(VALU_DEP_1) | instskip(NEXT) | instid1(VALU_DEP_1)
	v_mul_f32_e32 v16, s30, v16
	v_and_b32_e32 v17, 0x7f800000, v16
	s_delay_alu instid0(VALU_DEP_1) | instskip(SKIP_2) | instid1(SALU_CYCLE_1)
	v_cmp_ne_u32_e32 vcc_lo, 0x7f800000, v17
                                        ; implicit-def: $vgpr17
	s_wait_xcnt 0x0
	s_and_saveexec_b32 s18, vcc_lo
	s_xor_b32 s18, exec_lo, s18
; %bb.171:                              ;   in Loop: Header=BB426_4 Depth=1
	v_bfe_u32 v17, v16, 16, 1
	s_delay_alu instid0(VALU_DEP_1)
	v_add3_u32 v17, v16, v17, 0x7fff
                                        ; implicit-def: $vgpr16
; %bb.172:                              ;   in Loop: Header=BB426_4 Depth=1
	s_and_not1_saveexec_b32 s18, s18
; %bb.173:                              ;   in Loop: Header=BB426_4 Depth=1
	v_and_b32_e32 v17, 0xffff, v16
	v_or_b32_e32 v18, 0x10000, v16
	s_delay_alu instid0(VALU_DEP_2) | instskip(NEXT) | instid1(VALU_DEP_2)
	v_cmp_eq_u32_e32 vcc_lo, 0, v17
	v_cndmask_b32_e32 v17, v18, v16, vcc_lo
; %bb.174:                              ;   in Loop: Header=BB426_4 Depth=1
	s_or_b32 exec_lo, exec_lo, s18
	s_delay_alu instid0(VALU_DEP_1) | instskip(SKIP_1) | instid1(VALU_DEP_1)
	v_fma_mix_f32_bf16 v12, s2, v12, v17 op_sel:[0,0,1] op_sel_hi:[0,0,1]
	s_mov_b32 s18, exec_lo
                                        ; implicit-def: $vgpr18
	v_and_b32_e32 v16, 0x7f800000, v12
	s_delay_alu instid0(VALU_DEP_1)
	v_cmpx_ne_u32_e32 0x7f800000, v16
	s_xor_b32 s18, exec_lo, s18
; %bb.175:                              ;   in Loop: Header=BB426_4 Depth=1
	v_bfe_u32 v16, v12, 16, 1
	s_delay_alu instid0(VALU_DEP_1)
	v_add3_u32 v18, v12, v16, 0x7fff
                                        ; implicit-def: $vgpr12
; %bb.176:                              ;   in Loop: Header=BB426_4 Depth=1
	s_and_not1_saveexec_b32 s18, s18
; %bb.177:                              ;   in Loop: Header=BB426_4 Depth=1
	v_and_b32_e32 v16, 0xffff, v12
	v_or_b32_e32 v17, 0x10000, v12
	s_delay_alu instid0(VALU_DEP_2) | instskip(NEXT) | instid1(VALU_DEP_2)
	v_cmp_eq_u32_e32 vcc_lo, 0, v16
	v_cndmask_b32_e32 v18, v17, v12, vcc_lo
; %bb.178:                              ;   in Loop: Header=BB426_4 Depth=1
	s_or_b32 exec_lo, exec_lo, s18
	v_lshl_add_u64 v[16:17], s[14:15], 1, v[20:21]
	s_delay_alu instid0(VALU_DEP_1) | instskip(SKIP_4) | instid1(VALU_DEP_1)
	v_lshl_add_u64 v[16:17], v[2:3], 1, v[16:17]
	global_store_d16_hi_b16 v[16:17], v18, off
	global_load_u16 v12, v[14:15], off offset:32
	s_wait_loadcnt 0x0
	v_lshlrev_b32_e32 v12, 16, v12
	v_mul_f32_e32 v12, s30, v12
	s_wait_xcnt 0x1
	s_delay_alu instid0(VALU_DEP_1) | instskip(NEXT) | instid1(VALU_DEP_1)
	v_and_b32_e32 v18, 0x7f800000, v12
	v_cmp_ne_u32_e32 vcc_lo, 0x7f800000, v18
                                        ; implicit-def: $vgpr18
	s_wait_xcnt 0x0
	s_and_saveexec_b32 s18, vcc_lo
	s_delay_alu instid0(SALU_CYCLE_1)
	s_xor_b32 s18, exec_lo, s18
; %bb.179:                              ;   in Loop: Header=BB426_4 Depth=1
	v_bfe_u32 v18, v12, 16, 1
	s_delay_alu instid0(VALU_DEP_1)
	v_add3_u32 v18, v12, v18, 0x7fff
                                        ; implicit-def: $vgpr12
; %bb.180:                              ;   in Loop: Header=BB426_4 Depth=1
	s_and_not1_saveexec_b32 s18, s18
; %bb.181:                              ;   in Loop: Header=BB426_4 Depth=1
	v_and_b32_e32 v18, 0xffff, v12
	v_or_b32_e32 v19, 0x10000, v12
	s_delay_alu instid0(VALU_DEP_2) | instskip(NEXT) | instid1(VALU_DEP_2)
	v_cmp_eq_u32_e32 vcc_lo, 0, v18
	v_cndmask_b32_e32 v18, v19, v12, vcc_lo
; %bb.182:                              ;   in Loop: Header=BB426_4 Depth=1
	s_or_b32 exec_lo, exec_lo, s18
	s_delay_alu instid0(VALU_DEP_1) | instskip(NEXT) | instid1(VALU_DEP_1)
	v_fma_mix_f32_bf16 v12, s2, v13, v18 op_sel:[0,0,1] op_sel_hi:[0,0,1]
	v_and_b32_e32 v13, 0x7f800000, v12
	s_delay_alu instid0(VALU_DEP_1) | instskip(SKIP_1) | instid1(SALU_CYCLE_1)
	v_cmp_ne_u32_e32 vcc_lo, 0x7f800000, v13
                                        ; implicit-def: $vgpr13
	s_and_saveexec_b32 s18, vcc_lo
	s_xor_b32 s18, exec_lo, s18
; %bb.183:                              ;   in Loop: Header=BB426_4 Depth=1
	v_bfe_u32 v13, v12, 16, 1
	s_delay_alu instid0(VALU_DEP_1)
	v_add3_u32 v13, v12, v13, 0x7fff
                                        ; implicit-def: $vgpr12
; %bb.184:                              ;   in Loop: Header=BB426_4 Depth=1
	s_and_not1_saveexec_b32 s18, s18
; %bb.185:                              ;   in Loop: Header=BB426_4 Depth=1
	v_and_b32_e32 v13, 0xffff, v12
	v_or_b32_e32 v18, 0x10000, v12
	s_delay_alu instid0(VALU_DEP_2) | instskip(NEXT) | instid1(VALU_DEP_2)
	v_cmp_eq_u32_e32 vcc_lo, 0, v13
	v_cndmask_b32_e32 v13, v18, v12, vcc_lo
; %bb.186:                              ;   in Loop: Header=BB426_4 Depth=1
	s_or_b32 exec_lo, exec_lo, s18
	global_store_d16_hi_b16 v[16:17], v13, off offset:32
	global_load_u16 v12, v[14:15], off offset:64
	s_wait_loadcnt 0x0
	v_lshlrev_b32_e32 v12, 16, v12
	s_delay_alu instid0(VALU_DEP_1) | instskip(SKIP_1) | instid1(VALU_DEP_1)
	v_mul_f32_e32 v12, s30, v12
	s_wait_xcnt 0x1
	v_and_b32_e32 v13, 0x7f800000, v12
	s_delay_alu instid0(VALU_DEP_1) | instskip(SKIP_2) | instid1(SALU_CYCLE_1)
	v_cmp_ne_u32_e32 vcc_lo, 0x7f800000, v13
                                        ; implicit-def: $vgpr13
	s_wait_xcnt 0x0
	s_and_saveexec_b32 s18, vcc_lo
	s_xor_b32 s18, exec_lo, s18
; %bb.187:                              ;   in Loop: Header=BB426_4 Depth=1
	v_bfe_u32 v13, v12, 16, 1
	s_delay_alu instid0(VALU_DEP_1)
	v_add3_u32 v13, v12, v13, 0x7fff
                                        ; implicit-def: $vgpr12
; %bb.188:                              ;   in Loop: Header=BB426_4 Depth=1
	s_and_not1_saveexec_b32 s18, s18
; %bb.189:                              ;   in Loop: Header=BB426_4 Depth=1
	v_and_b32_e32 v13, 0xffff, v12
	v_or_b32_e32 v18, 0x10000, v12
	s_delay_alu instid0(VALU_DEP_2) | instskip(NEXT) | instid1(VALU_DEP_2)
	v_cmp_eq_u32_e32 vcc_lo, 0, v13
	v_cndmask_b32_e32 v13, v18, v12, vcc_lo
; %bb.190:                              ;   in Loop: Header=BB426_4 Depth=1
	s_or_b32 exec_lo, exec_lo, s18
	s_delay_alu instid0(VALU_DEP_1) | instskip(NEXT) | instid1(VALU_DEP_1)
	v_fma_mix_f32_bf16 v10, s2, v10, v13 op_sel:[0,0,1] op_sel_hi:[0,0,1]
	v_and_b32_e32 v12, 0x7f800000, v10
	s_delay_alu instid0(VALU_DEP_1) | instskip(SKIP_1) | instid1(SALU_CYCLE_1)
	v_cmp_ne_u32_e32 vcc_lo, 0x7f800000, v12
                                        ; implicit-def: $vgpr12
	s_and_saveexec_b32 s18, vcc_lo
	s_xor_b32 s18, exec_lo, s18
; %bb.191:                              ;   in Loop: Header=BB426_4 Depth=1
	v_bfe_u32 v12, v10, 16, 1
	s_delay_alu instid0(VALU_DEP_1)
	v_add3_u32 v12, v10, v12, 0x7fff
                                        ; implicit-def: $vgpr10
; %bb.192:                              ;   in Loop: Header=BB426_4 Depth=1
	s_and_not1_saveexec_b32 s18, s18
; %bb.193:                              ;   in Loop: Header=BB426_4 Depth=1
	v_and_b32_e32 v12, 0xffff, v10
	v_or_b32_e32 v13, 0x10000, v10
	s_delay_alu instid0(VALU_DEP_2) | instskip(NEXT) | instid1(VALU_DEP_2)
	v_cmp_eq_u32_e32 vcc_lo, 0, v12
	v_cndmask_b32_e32 v12, v13, v10, vcc_lo
; %bb.194:                              ;   in Loop: Header=BB426_4 Depth=1
	s_or_b32 exec_lo, exec_lo, s18
	global_store_d16_hi_b16 v[16:17], v12, off offset:64
	global_load_u16 v10, v[14:15], off offset:96
	s_wait_loadcnt 0x0
	v_lshlrev_b32_e32 v10, 16, v10
	s_delay_alu instid0(VALU_DEP_1) | instskip(SKIP_1) | instid1(VALU_DEP_1)
	v_mul_f32_e32 v10, s30, v10
	s_wait_xcnt 0x1
	v_and_b32_e32 v12, 0x7f800000, v10
	s_delay_alu instid0(VALU_DEP_1) | instskip(SKIP_2) | instid1(SALU_CYCLE_1)
	v_cmp_ne_u32_e32 vcc_lo, 0x7f800000, v12
                                        ; implicit-def: $vgpr12
	s_wait_xcnt 0x0
	s_and_saveexec_b32 s18, vcc_lo
	s_xor_b32 s18, exec_lo, s18
; %bb.195:                              ;   in Loop: Header=BB426_4 Depth=1
	v_bfe_u32 v12, v10, 16, 1
	s_delay_alu instid0(VALU_DEP_1)
	v_add3_u32 v12, v10, v12, 0x7fff
                                        ; implicit-def: $vgpr10
; %bb.196:                              ;   in Loop: Header=BB426_4 Depth=1
	s_and_not1_saveexec_b32 s18, s18
; %bb.197:                              ;   in Loop: Header=BB426_4 Depth=1
	v_and_b32_e32 v12, 0xffff, v10
	v_or_b32_e32 v13, 0x10000, v10
	s_delay_alu instid0(VALU_DEP_2) | instskip(NEXT) | instid1(VALU_DEP_2)
	v_cmp_eq_u32_e32 vcc_lo, 0, v12
	v_cndmask_b32_e32 v12, v13, v10, vcc_lo
; %bb.198:                              ;   in Loop: Header=BB426_4 Depth=1
	s_or_b32 exec_lo, exec_lo, s18
	s_delay_alu instid0(VALU_DEP_1) | instskip(NEXT) | instid1(VALU_DEP_1)
	v_fma_mix_f32_bf16 v10, s2, v11, v12 op_sel:[0,0,1] op_sel_hi:[0,0,1]
	v_and_b32_e32 v11, 0x7f800000, v10
	s_delay_alu instid0(VALU_DEP_1) | instskip(SKIP_1) | instid1(SALU_CYCLE_1)
	v_cmp_ne_u32_e32 vcc_lo, 0x7f800000, v11
                                        ; implicit-def: $vgpr11
	s_and_saveexec_b32 s18, vcc_lo
	s_xor_b32 s18, exec_lo, s18
; %bb.199:                              ;   in Loop: Header=BB426_4 Depth=1
	v_bfe_u32 v11, v10, 16, 1
	s_delay_alu instid0(VALU_DEP_1)
	v_add3_u32 v11, v10, v11, 0x7fff
                                        ; implicit-def: $vgpr10
; %bb.200:                              ;   in Loop: Header=BB426_4 Depth=1
	s_and_not1_saveexec_b32 s18, s18
	s_cbranch_execz .LBB426_2
; %bb.201:                              ;   in Loop: Header=BB426_4 Depth=1
	v_and_b32_e32 v11, 0xffff, v10
	v_or_b32_e32 v12, 0x10000, v10
	s_delay_alu instid0(VALU_DEP_2) | instskip(NEXT) | instid1(VALU_DEP_2)
	v_cmp_eq_u32_e32 vcc_lo, 0, v11
	v_cndmask_b32_e32 v11, v12, v10, vcc_lo
	s_branch .LBB426_2
.LBB426_202:
	s_sendmsg sendmsg(MSG_DEALLOC_VGPRS)
	s_endpgm
	.section	.rodata,"a",@progbits
	.p2align	6, 0x0
	.amdhsa_kernel _ZN12_GLOBAL__N_127rocblas_gemm_batched_kernelIfLi16ELi16ELi64ELi64ELi4ELi64ELi4ELi4ELi64ELc84ELc67EK16rocblas_bfloat16S2_S1_EEvlllT_PT11_llS5_llS3_PT12_llPT13_lli
		.amdhsa_group_segment_fixed_size 2048
		.amdhsa_private_segment_fixed_size 0
		.amdhsa_kernarg_size 140
		.amdhsa_user_sgpr_count 2
		.amdhsa_user_sgpr_dispatch_ptr 0
		.amdhsa_user_sgpr_queue_ptr 0
		.amdhsa_user_sgpr_kernarg_segment_ptr 1
		.amdhsa_user_sgpr_dispatch_id 0
		.amdhsa_user_sgpr_kernarg_preload_length 0
		.amdhsa_user_sgpr_kernarg_preload_offset 0
		.amdhsa_user_sgpr_private_segment_size 0
		.amdhsa_wavefront_size32 1
		.amdhsa_uses_dynamic_stack 0
		.amdhsa_enable_private_segment 0
		.amdhsa_system_sgpr_workgroup_id_x 1
		.amdhsa_system_sgpr_workgroup_id_y 1
		.amdhsa_system_sgpr_workgroup_id_z 1
		.amdhsa_system_sgpr_workgroup_info 0
		.amdhsa_system_vgpr_workitem_id 1
		.amdhsa_next_free_vgpr 70
		.amdhsa_next_free_sgpr 38
		.amdhsa_named_barrier_count 0
		.amdhsa_reserve_vcc 1
		.amdhsa_float_round_mode_32 0
		.amdhsa_float_round_mode_16_64 0
		.amdhsa_float_denorm_mode_32 3
		.amdhsa_float_denorm_mode_16_64 3
		.amdhsa_fp16_overflow 0
		.amdhsa_memory_ordered 1
		.amdhsa_forward_progress 1
		.amdhsa_inst_pref_size 55
		.amdhsa_round_robin_scheduling 0
		.amdhsa_exception_fp_ieee_invalid_op 0
		.amdhsa_exception_fp_denorm_src 0
		.amdhsa_exception_fp_ieee_div_zero 0
		.amdhsa_exception_fp_ieee_overflow 0
		.amdhsa_exception_fp_ieee_underflow 0
		.amdhsa_exception_fp_ieee_inexact 0
		.amdhsa_exception_int_div_zero 0
	.end_amdhsa_kernel
	.section	.text._ZN12_GLOBAL__N_127rocblas_gemm_batched_kernelIfLi16ELi16ELi64ELi64ELi4ELi64ELi4ELi4ELi64ELc84ELc67EK16rocblas_bfloat16S2_S1_EEvlllT_PT11_llS5_llS3_PT12_llPT13_lli,"axG",@progbits,_ZN12_GLOBAL__N_127rocblas_gemm_batched_kernelIfLi16ELi16ELi64ELi64ELi4ELi64ELi4ELi4ELi64ELc84ELc67EK16rocblas_bfloat16S2_S1_EEvlllT_PT11_llS5_llS3_PT12_llPT13_lli,comdat
.Lfunc_end426:
	.size	_ZN12_GLOBAL__N_127rocblas_gemm_batched_kernelIfLi16ELi16ELi64ELi64ELi4ELi64ELi4ELi4ELi64ELc84ELc67EK16rocblas_bfloat16S2_S1_EEvlllT_PT11_llS5_llS3_PT12_llPT13_lli, .Lfunc_end426-_ZN12_GLOBAL__N_127rocblas_gemm_batched_kernelIfLi16ELi16ELi64ELi64ELi4ELi64ELi4ELi4ELi64ELc84ELc67EK16rocblas_bfloat16S2_S1_EEvlllT_PT11_llS5_llS3_PT12_llPT13_lli
                                        ; -- End function
	.set _ZN12_GLOBAL__N_127rocblas_gemm_batched_kernelIfLi16ELi16ELi64ELi64ELi4ELi64ELi4ELi4ELi64ELc84ELc67EK16rocblas_bfloat16S2_S1_EEvlllT_PT11_llS5_llS3_PT12_llPT13_lli.num_vgpr, 70
	.set _ZN12_GLOBAL__N_127rocblas_gemm_batched_kernelIfLi16ELi16ELi64ELi64ELi4ELi64ELi4ELi4ELi64ELc84ELc67EK16rocblas_bfloat16S2_S1_EEvlllT_PT11_llS5_llS3_PT12_llPT13_lli.num_agpr, 0
	.set _ZN12_GLOBAL__N_127rocblas_gemm_batched_kernelIfLi16ELi16ELi64ELi64ELi4ELi64ELi4ELi4ELi64ELc84ELc67EK16rocblas_bfloat16S2_S1_EEvlllT_PT11_llS5_llS3_PT12_llPT13_lli.numbered_sgpr, 38
	.set _ZN12_GLOBAL__N_127rocblas_gemm_batched_kernelIfLi16ELi16ELi64ELi64ELi4ELi64ELi4ELi4ELi64ELc84ELc67EK16rocblas_bfloat16S2_S1_EEvlllT_PT11_llS5_llS3_PT12_llPT13_lli.num_named_barrier, 0
	.set _ZN12_GLOBAL__N_127rocblas_gemm_batched_kernelIfLi16ELi16ELi64ELi64ELi4ELi64ELi4ELi4ELi64ELc84ELc67EK16rocblas_bfloat16S2_S1_EEvlllT_PT11_llS5_llS3_PT12_llPT13_lli.private_seg_size, 0
	.set _ZN12_GLOBAL__N_127rocblas_gemm_batched_kernelIfLi16ELi16ELi64ELi64ELi4ELi64ELi4ELi4ELi64ELc84ELc67EK16rocblas_bfloat16S2_S1_EEvlllT_PT11_llS5_llS3_PT12_llPT13_lli.uses_vcc, 1
	.set _ZN12_GLOBAL__N_127rocblas_gemm_batched_kernelIfLi16ELi16ELi64ELi64ELi4ELi64ELi4ELi4ELi64ELc84ELc67EK16rocblas_bfloat16S2_S1_EEvlllT_PT11_llS5_llS3_PT12_llPT13_lli.uses_flat_scratch, 0
	.set _ZN12_GLOBAL__N_127rocblas_gemm_batched_kernelIfLi16ELi16ELi64ELi64ELi4ELi64ELi4ELi4ELi64ELc84ELc67EK16rocblas_bfloat16S2_S1_EEvlllT_PT11_llS5_llS3_PT12_llPT13_lli.has_dyn_sized_stack, 0
	.set _ZN12_GLOBAL__N_127rocblas_gemm_batched_kernelIfLi16ELi16ELi64ELi64ELi4ELi64ELi4ELi4ELi64ELc84ELc67EK16rocblas_bfloat16S2_S1_EEvlllT_PT11_llS5_llS3_PT12_llPT13_lli.has_recursion, 0
	.set _ZN12_GLOBAL__N_127rocblas_gemm_batched_kernelIfLi16ELi16ELi64ELi64ELi4ELi64ELi4ELi4ELi64ELc84ELc67EK16rocblas_bfloat16S2_S1_EEvlllT_PT11_llS5_llS3_PT12_llPT13_lli.has_indirect_call, 0
	.section	.AMDGPU.csdata,"",@progbits
; Kernel info:
; codeLenInByte = 6916
; TotalNumSgprs: 40
; NumVgprs: 70
; ScratchSize: 0
; MemoryBound: 0
; FloatMode: 240
; IeeeMode: 1
; LDSByteSize: 2048 bytes/workgroup (compile time only)
; SGPRBlocks: 0
; VGPRBlocks: 4
; NumSGPRsForWavesPerEU: 40
; NumVGPRsForWavesPerEU: 70
; NamedBarCnt: 0
; Occupancy: 12
; WaveLimiterHint : 0
; COMPUTE_PGM_RSRC2:SCRATCH_EN: 0
; COMPUTE_PGM_RSRC2:USER_SGPR: 2
; COMPUTE_PGM_RSRC2:TRAP_HANDLER: 0
; COMPUTE_PGM_RSRC2:TGID_X_EN: 1
; COMPUTE_PGM_RSRC2:TGID_Y_EN: 1
; COMPUTE_PGM_RSRC2:TGID_Z_EN: 1
; COMPUTE_PGM_RSRC2:TIDIG_COMP_CNT: 1
	.section	.text._ZN12_GLOBAL__N_127rocblas_gemm_batched_kernelIfLi16ELi16ELi32ELi32ELi8ELi32ELi8ELi8ELi32ELc78ELc78EK16rocblas_bfloat16S2_S1_EEvlllT_PT11_llS5_llS3_PT12_llPT13_lli,"axG",@progbits,_ZN12_GLOBAL__N_127rocblas_gemm_batched_kernelIfLi16ELi16ELi32ELi32ELi8ELi32ELi8ELi8ELi32ELc78ELc78EK16rocblas_bfloat16S2_S1_EEvlllT_PT11_llS5_llS3_PT12_llPT13_lli,comdat
	.globl	_ZN12_GLOBAL__N_127rocblas_gemm_batched_kernelIfLi16ELi16ELi32ELi32ELi8ELi32ELi8ELi8ELi32ELc78ELc78EK16rocblas_bfloat16S2_S1_EEvlllT_PT11_llS5_llS3_PT12_llPT13_lli ; -- Begin function _ZN12_GLOBAL__N_127rocblas_gemm_batched_kernelIfLi16ELi16ELi32ELi32ELi8ELi32ELi8ELi8ELi32ELc78ELc78EK16rocblas_bfloat16S2_S1_EEvlllT_PT11_llS5_llS3_PT12_llPT13_lli
	.p2align	8
	.type	_ZN12_GLOBAL__N_127rocblas_gemm_batched_kernelIfLi16ELi16ELi32ELi32ELi8ELi32ELi8ELi8ELi32ELc78ELc78EK16rocblas_bfloat16S2_S1_EEvlllT_PT11_llS5_llS3_PT12_llPT13_lli,@function
_ZN12_GLOBAL__N_127rocblas_gemm_batched_kernelIfLi16ELi16ELi32ELi32ELi8ELi32ELi8ELi8ELi32ELc78ELc78EK16rocblas_bfloat16S2_S1_EEvlllT_PT11_llS5_llS3_PT12_llPT13_lli: ; @_ZN12_GLOBAL__N_127rocblas_gemm_batched_kernelIfLi16ELi16ELi32ELi32ELi8ELi32ELi8ELi8ELi32ELc78ELc78EK16rocblas_bfloat16S2_S1_EEvlllT_PT11_llS5_llS3_PT12_llPT13_lli
; %bb.0:
	s_load_b32 s3, s[0:1], 0x88
	s_bfe_u32 s2, ttmp6, 0x40014
	s_lshr_b32 s4, ttmp7, 16
	s_add_co_i32 s2, s2, 1
	s_bfe_u32 s6, ttmp6, 0x40008
	s_mul_i32 s5, s4, s2
	s_getreg_b32 s2, hwreg(HW_REG_IB_STS2, 6, 4)
	s_add_co_i32 s6, s6, s5
	s_cmp_eq_u32 s2, 0
	s_mov_b32 s29, 0
	s_cselect_b32 s28, s4, s6
	s_wait_kmcnt 0x0
	s_cmp_ge_i32 s28, s3
	s_cbranch_scc1 .LBB427_58
; %bb.1:
	v_bfe_u32 v4, v0, 10, 10
	v_and_b32_e32 v6, 0x3ff, v0
	s_bfe_u32 s20, ttmp6, 0x4000c
	s_bfe_u32 s22, ttmp6, 0x40010
	s_clause 0x2
	s_load_b256 s[12:19], s[0:1], 0x20
	s_load_b128 s[24:27], s[0:1], 0x40
	s_load_b256 s[4:11], s[0:1], 0x58
	s_add_co_i32 s20, s20, 1
	s_and_b32 s23, ttmp7, 0xffff
	s_add_co_i32 s22, s22, 1
	v_lshl_add_u32 v1, v4, 4, v6
	v_mov_b32_e32 v5, 0
	s_and_b32 s21, ttmp6, 15
	s_mul_i32 s20, ttmp9, s20
	s_mul_i32 s22, s23, s22
	s_bfe_u32 s30, ttmp6, 0x40004
	s_add_co_i32 s21, s21, s20
	s_add_co_i32 s30, s30, s22
	s_cmp_eq_u32 s2, 0
	v_dual_mov_b32 v9, v5 :: v_dual_lshrrev_b32 v8, 3, v1
	v_and_b32_e32 v0, 7, v0
	s_cselect_b32 s2, s23, s30
	s_cselect_b32 s34, ttmp9, s21
	s_lshl_b32 s30, s2, 5
	s_mov_b32 s31, s29
	s_load_b128 s[20:23], s[0:1], 0x78
	v_add_nc_u64_e32 v[2:3], s[30:31], v[8:9]
	v_add_nc_u64_e32 v[10:11], s[30:31], v[4:5]
	v_dual_lshrrev_b32 v9, 5, v1 :: v_dual_mov_b32 v7, v5
	s_ashr_i32 s35, s34, 31
	s_load_b32 s30, s[0:1], 0x50
	v_lshl_add_u32 v23, v4, 5, 0x400
	s_wait_kmcnt 0x0
	v_mul_u64_e32 v[12:13], s[24:25], v[2:3]
	v_mul_u64_e32 v[14:15], s[6:7], v[10:11]
	s_lshl_b64 s[24:25], s[34:35], 5
	s_load_b96 s[0:2], s[0:1], 0x10
	v_mad_nc_u64_u32 v[16:17], s14, v9, s[24:25]
	v_dual_lshlrev_b32 v4, 1, v0 :: v_dual_lshlrev_b32 v22, 2, v6
	v_mul_u64_e32 v[2:3], s[20:21], v[10:11]
	v_dual_lshlrev_b32 v1, 2, v0 :: v_dual_bitop2_b32 v10, 31, v1 bitop3:0x40
	s_delay_alu instid0(VALU_DEP_4) | instskip(NEXT) | instid1(VALU_DEP_2)
	v_mad_u32 v17, s15, v9, v17
	v_dual_mov_b32 v11, v5 :: v_dual_lshlrev_b32 v18, 2, v10
	s_delay_alu instid0(VALU_DEP_3) | instskip(SKIP_2) | instid1(VALU_DEP_3)
	v_lshl_or_b32 v8, v8, 5, v1
	v_add_nc_u64_e32 v[0:1], s[24:25], v[6:7]
	s_cmp_eq_f32 s30, 0
	v_lshl_or_b32 v24, v9, 7, v18
	s_delay_alu instid0(VALU_DEP_3)
	v_add_nc_u32_e32 v25, 0x400, v8
	s_cselect_b32 s24, -1, 0
	v_add_nc_u64_e32 v[8:9], v[16:17], v[10:11]
	s_lshl_b64 s[20:21], s[20:21], 4
	s_lshl_b64 s[6:7], s[6:7], 4
	;; [unrolled: 1-line block ×3, first 2 shown]
	v_lshl_add_u64 v[6:7], v[12:13], 1, v[4:5]
	v_lshl_add_u64 v[4:5], v[14:15], 1, s[4:5]
	s_delay_alu instid0(VALU_DEP_3)
	v_lshl_add_u64 v[8:9], v[8:9], 1, s[12:13]
	s_lshl_b64 s[4:5], s[26:27], 1
	s_lshl_b64 s[12:13], s[16:17], 1
	v_add_nc_u64_e32 v[6:7], s[18:19], v[6:7]
	s_wait_kmcnt 0x0
	v_cmp_gt_i64_e64 s18, s[0:1], 0
	s_branch .LBB427_4
.LBB427_2:                              ;   in Loop: Header=BB427_4 Depth=1
	s_or_b32 exec_lo, exec_lo, s16
	global_store_d16_hi_b16 v[14:15], v11, off offset:32
.LBB427_3:                              ;   in Loop: Header=BB427_4 Depth=1
	s_add_co_i32 s28, s28, 0x10000
	s_delay_alu instid0(SALU_CYCLE_1)
	s_cmp_lt_i32 s28, s3
	s_cbranch_scc0 .LBB427_58
.LBB427_4:                              ; =>This Loop Header: Depth=1
                                        ;     Child Loop BB427_6 Depth 2
	v_dual_mov_b32 v13, 0 :: v_dual_mov_b32 v12, 0
	s_wait_xcnt 0x0
	v_dual_mov_b32 v11, 0 :: v_dual_mov_b32 v10, 0
	s_delay_alu instid0(VALU_DEP_3)
	s_and_not1_b32 vcc_lo, exec_lo, s18
	s_cbranch_vccnz .LBB427_7
; %bb.5:                                ;   in Loop: Header=BB427_4 Depth=1
	v_mad_nc_u64_u32 v[14:15], s4, s28, v[6:7]
	v_mad_nc_u64_u32 v[16:17], s12, s28, v[8:9]
	v_mov_b32_e32 v10, 0
	s_mov_b64 s[16:17], 0
	s_delay_alu instid0(VALU_DEP_1)
	v_dual_mov_b32 v11, v10 :: v_dual_mov_b32 v12, v10
	v_mov_b32_e32 v13, v10
	v_mad_u32 v15, s5, s28, v15
	v_mad_u32 v17, s13, s28, v17
.LBB427_6:                              ;   Parent Loop BB427_4 Depth=1
                                        ; =>  This Inner Loop Header: Depth=2
	global_load_u16 v18, v[16:17], off
	global_load_u16 v19, v[14:15], off
	s_add_nc_u64 s[16:17], s[16:17], 8
	s_wait_xcnt 0x0
	v_add_nc_u64_e32 v[14:15], 16, v[14:15]
	v_cmp_lt_i64_e64 s19, s[16:17], s[0:1]
	v_add_nc_u64_e32 v[16:17], s[14:15], v[16:17]
	s_and_b32 vcc_lo, exec_lo, s19
	s_wait_loadcnt 0x0
	v_dual_lshlrev_b32 v18, 16, v18 :: v_dual_lshlrev_b32 v19, 16, v19
	ds_store_b32 v24, v18
	ds_store_b32 v25, v19
	s_wait_dscnt 0x0
	s_barrier_signal -1
	s_barrier_wait -1
	ds_load_b128 v[18:21], v23
	ds_load_2addr_b32 v[38:39], v22 offset1:16
	ds_load_b128 v[26:29], v23 offset:512
	ds_load_2addr_b32 v[40:41], v22 offset0:32 offset1:48
	ds_load_2addr_b32 v[42:43], v22 offset0:64 offset1:80
	ds_load_b128 v[30:33], v23 offset:16
	ds_load_2addr_b32 v[44:45], v22 offset0:96 offset1:112
	ds_load_2addr_b32 v[46:47], v22 offset0:128 offset1:144
	;; [unrolled: 3-line block ×3, first 2 shown]
	s_wait_dscnt 0x9
	v_pk_fma_f32 v[12:13], v[38:39], v[18:19], v[12:13] op_sel_hi:[1,0,1]
	s_wait_dscnt 0x8
	v_pk_fma_f32 v[10:11], v[38:39], v[26:27], v[10:11] op_sel_hi:[1,0,1]
	v_mov_b32_e32 v38, v21
	s_wait_dscnt 0x7
	v_pk_fma_f32 v[12:13], v[40:41], v[18:19], v[12:13] op_sel:[0,1,0]
	s_delay_alu instid0(VALU_DEP_3) | instskip(SKIP_2) | instid1(VALU_DEP_3)
	v_pk_fma_f32 v[10:11], v[40:41], v[26:27], v[10:11] op_sel:[0,1,0]
	s_wait_dscnt 0x2
	v_dual_mov_b32 v18, v29 :: v_dual_mov_b32 v26, v37
	v_pk_fma_f32 v[12:13], v[42:43], v[20:21], v[12:13] op_sel_hi:[1,0,1]
	s_delay_alu instid0(VALU_DEP_3)
	v_pk_fma_f32 v[10:11], v[42:43], v[28:29], v[10:11] op_sel_hi:[1,0,1]
	ds_load_2addr_b32 v[20:21], v22 offset0:224 offset1:240
	s_wait_dscnt 0x0
	s_barrier_signal -1
	v_pk_fma_f32 v[12:13], v[44:45], v[38:39], v[12:13] op_sel_hi:[1,0,1]
	v_pk_fma_f32 v[10:11], v[44:45], v[18:19], v[10:11] op_sel_hi:[1,0,1]
	v_mov_b32_e32 v18, v33
	s_barrier_wait -1
	s_delay_alu instid0(VALU_DEP_3) | instskip(NEXT) | instid1(VALU_DEP_3)
	v_pk_fma_f32 v[12:13], v[46:47], v[30:31], v[12:13] op_sel_hi:[1,0,1]
	v_pk_fma_f32 v[10:11], v[46:47], v[34:35], v[10:11] op_sel_hi:[1,0,1]
	s_delay_alu instid0(VALU_DEP_2) | instskip(NEXT) | instid1(VALU_DEP_2)
	v_pk_fma_f32 v[12:13], v[48:49], v[30:31], v[12:13] op_sel:[0,1,0]
	v_pk_fma_f32 v[10:11], v[48:49], v[34:35], v[10:11] op_sel:[0,1,0]
	s_delay_alu instid0(VALU_DEP_2) | instskip(NEXT) | instid1(VALU_DEP_2)
	v_pk_fma_f32 v[12:13], v[50:51], v[32:33], v[12:13] op_sel_hi:[1,0,1]
	v_pk_fma_f32 v[10:11], v[50:51], v[36:37], v[10:11] op_sel_hi:[1,0,1]
	s_delay_alu instid0(VALU_DEP_2) | instskip(NEXT) | instid1(VALU_DEP_2)
	v_pk_fma_f32 v[12:13], v[20:21], v[18:19], v[12:13] op_sel_hi:[1,0,1]
	v_pk_fma_f32 v[10:11], v[20:21], v[26:27], v[10:11] op_sel_hi:[1,0,1]
	s_cbranch_vccnz .LBB427_6
.LBB427_7:                              ;   in Loop: Header=BB427_4 Depth=1
	s_mul_u64 s[16:17], s[22:23], s[28:29]
	s_and_not1_b32 vcc_lo, exec_lo, s24
	s_lshl_b64 s[16:17], s[16:17], 1
	s_delay_alu instid0(SALU_CYCLE_1)
	s_add_nc_u64 s[16:17], s[10:11], s[16:17]
	s_cbranch_vccnz .LBB427_25
; %bb.8:                                ;   in Loop: Header=BB427_4 Depth=1
	v_mul_f32_e32 v14, s2, v12
	s_mov_b32 s19, exec_lo
                                        ; implicit-def: $vgpr18
	s_delay_alu instid0(VALU_DEP_1) | instskip(NEXT) | instid1(VALU_DEP_1)
	v_and_b32_e32 v15, 0x7f800000, v14
	v_cmpx_ne_u32_e32 0x7f800000, v15
	s_xor_b32 s19, exec_lo, s19
; %bb.9:                                ;   in Loop: Header=BB427_4 Depth=1
	v_bfe_u32 v15, v14, 16, 1
	s_delay_alu instid0(VALU_DEP_1)
	v_add3_u32 v18, v14, v15, 0x7fff
                                        ; implicit-def: $vgpr14
; %bb.10:                               ;   in Loop: Header=BB427_4 Depth=1
	s_and_not1_saveexec_b32 s19, s19
; %bb.11:                               ;   in Loop: Header=BB427_4 Depth=1
	v_and_b32_e32 v15, 0xffff, v14
	v_or_b32_e32 v16, 0x10000, v14
	s_delay_alu instid0(VALU_DEP_2) | instskip(NEXT) | instid1(VALU_DEP_2)
	v_cmp_eq_u32_e32 vcc_lo, 0, v15
	v_cndmask_b32_e32 v18, v16, v14, vcc_lo
; %bb.12:                               ;   in Loop: Header=BB427_4 Depth=1
	s_or_b32 exec_lo, exec_lo, s19
	v_mul_f32_e32 v19, s2, v13
	v_lshl_add_u64 v[14:15], v[2:3], 1, s[16:17]
	s_delay_alu instid0(VALU_DEP_2) | instskip(NEXT) | instid1(VALU_DEP_2)
	v_and_b32_e32 v20, 0x7f800000, v19
	v_lshl_add_u64 v[16:17], v[0:1], 1, v[14:15]
	s_delay_alu instid0(VALU_DEP_2) | instskip(SKIP_3) | instid1(SALU_CYCLE_1)
	v_cmp_ne_u32_e32 vcc_lo, 0x7f800000, v20
	global_store_d16_hi_b16 v[16:17], v18, off
                                        ; implicit-def: $vgpr20
	s_wait_xcnt 0x0
	s_and_saveexec_b32 s19, vcc_lo
	s_xor_b32 s19, exec_lo, s19
; %bb.13:                               ;   in Loop: Header=BB427_4 Depth=1
	v_bfe_u32 v18, v19, 16, 1
	s_delay_alu instid0(VALU_DEP_1)
	v_add3_u32 v20, v19, v18, 0x7fff
                                        ; implicit-def: $vgpr19
; %bb.14:                               ;   in Loop: Header=BB427_4 Depth=1
	s_and_not1_saveexec_b32 s19, s19
; %bb.15:                               ;   in Loop: Header=BB427_4 Depth=1
	v_and_b32_e32 v18, 0xffff, v19
	v_or_b32_e32 v20, 0x10000, v19
	s_delay_alu instid0(VALU_DEP_2) | instskip(NEXT) | instid1(VALU_DEP_2)
	v_cmp_eq_u32_e32 vcc_lo, 0, v18
	v_cndmask_b32_e32 v20, v20, v19, vcc_lo
; %bb.16:                               ;   in Loop: Header=BB427_4 Depth=1
	s_or_b32 exec_lo, exec_lo, s19
	v_mul_f32_e32 v18, s2, v10
	s_mov_b32 s19, exec_lo
	global_store_d16_hi_b16 v[16:17], v20, off offset:32
                                        ; implicit-def: $vgpr16
	v_and_b32_e32 v19, 0x7f800000, v18
	s_wait_xcnt 0x0
	s_delay_alu instid0(VALU_DEP_1)
	v_cmpx_ne_u32_e32 0x7f800000, v19
	s_xor_b32 s19, exec_lo, s19
; %bb.17:                               ;   in Loop: Header=BB427_4 Depth=1
	v_bfe_u32 v16, v18, 16, 1
	s_delay_alu instid0(VALU_DEP_1)
	v_add3_u32 v16, v18, v16, 0x7fff
                                        ; implicit-def: $vgpr18
; %bb.18:                               ;   in Loop: Header=BB427_4 Depth=1
	s_and_not1_saveexec_b32 s19, s19
; %bb.19:                               ;   in Loop: Header=BB427_4 Depth=1
	v_and_b32_e32 v16, 0xffff, v18
	v_or_b32_e32 v17, 0x10000, v18
	s_delay_alu instid0(VALU_DEP_2) | instskip(NEXT) | instid1(VALU_DEP_2)
	v_cmp_eq_u32_e32 vcc_lo, 0, v16
	v_cndmask_b32_e32 v16, v17, v18, vcc_lo
; %bb.20:                               ;   in Loop: Header=BB427_4 Depth=1
	s_or_b32 exec_lo, exec_lo, s19
	v_mul_f32_e32 v17, s2, v11
	v_lshl_add_u64 v[14:15], s[20:21], 1, v[14:15]
	s_mov_b32 s19, exec_lo
	s_delay_alu instid0(VALU_DEP_2) | instskip(NEXT) | instid1(VALU_DEP_2)
	v_and_b32_e32 v18, 0x7f800000, v17
	v_lshl_add_u64 v[14:15], v[0:1], 1, v[14:15]
	global_store_d16_hi_b16 v[14:15], v16, off
                                        ; implicit-def: $vgpr16
	s_wait_xcnt 0x0
	v_cmpx_ne_u32_e32 0x7f800000, v18
	s_xor_b32 s19, exec_lo, s19
; %bb.21:                               ;   in Loop: Header=BB427_4 Depth=1
	v_bfe_u32 v16, v17, 16, 1
	s_delay_alu instid0(VALU_DEP_1)
	v_add3_u32 v16, v17, v16, 0x7fff
                                        ; implicit-def: $vgpr17
; %bb.22:                               ;   in Loop: Header=BB427_4 Depth=1
	s_and_not1_saveexec_b32 s19, s19
; %bb.23:                               ;   in Loop: Header=BB427_4 Depth=1
	v_and_b32_e32 v16, 0xffff, v17
	v_or_b32_e32 v18, 0x10000, v17
	s_delay_alu instid0(VALU_DEP_2) | instskip(NEXT) | instid1(VALU_DEP_2)
	v_cmp_eq_u32_e32 vcc_lo, 0, v16
	v_cndmask_b32_e32 v16, v18, v17, vcc_lo
; %bb.24:                               ;   in Loop: Header=BB427_4 Depth=1
	s_or_b32 exec_lo, exec_lo, s19
	global_store_d16_hi_b16 v[14:15], v16, off offset:32
	s_branch .LBB427_3
.LBB427_25:                             ;   in Loop: Header=BB427_4 Depth=1
	s_cbranch_execz .LBB427_3
; %bb.26:                               ;   in Loop: Header=BB427_4 Depth=1
	s_mul_u64 s[26:27], s[8:9], s[28:29]
	s_wait_xcnt 0x0
	v_lshl_add_u64 v[14:15], s[26:27], 1, v[4:5]
	s_delay_alu instid0(VALU_DEP_1) | instskip(SKIP_3) | instid1(VALU_DEP_1)
	v_lshl_add_u64 v[18:19], v[0:1], 1, v[14:15]
	global_load_u16 v16, v[18:19], off
	s_wait_loadcnt 0x0
	v_lshlrev_b32_e32 v16, 16, v16
	v_mul_f32_e32 v16, s30, v16
	s_delay_alu instid0(VALU_DEP_1) | instskip(NEXT) | instid1(VALU_DEP_1)
	v_and_b32_e32 v17, 0x7f800000, v16
	v_cmp_ne_u32_e32 vcc_lo, 0x7f800000, v17
                                        ; implicit-def: $vgpr17
	s_wait_xcnt 0x0
	s_and_saveexec_b32 s19, vcc_lo
	s_delay_alu instid0(SALU_CYCLE_1)
	s_xor_b32 s19, exec_lo, s19
; %bb.27:                               ;   in Loop: Header=BB427_4 Depth=1
	v_bfe_u32 v17, v16, 16, 1
	s_delay_alu instid0(VALU_DEP_1)
	v_add3_u32 v17, v16, v17, 0x7fff
                                        ; implicit-def: $vgpr16
; %bb.28:                               ;   in Loop: Header=BB427_4 Depth=1
	s_and_not1_saveexec_b32 s19, s19
; %bb.29:                               ;   in Loop: Header=BB427_4 Depth=1
	v_and_b32_e32 v17, 0xffff, v16
	v_or_b32_e32 v20, 0x10000, v16
	s_delay_alu instid0(VALU_DEP_2) | instskip(NEXT) | instid1(VALU_DEP_2)
	v_cmp_eq_u32_e32 vcc_lo, 0, v17
	v_cndmask_b32_e32 v17, v20, v16, vcc_lo
; %bb.30:                               ;   in Loop: Header=BB427_4 Depth=1
	s_or_b32 exec_lo, exec_lo, s19
	s_delay_alu instid0(VALU_DEP_1) | instskip(SKIP_1) | instid1(VALU_DEP_1)
	v_fma_mix_f32_bf16 v12, s2, v12, v17 op_sel:[0,0,1] op_sel_hi:[0,0,1]
	s_mov_b32 s19, exec_lo
                                        ; implicit-def: $vgpr26
	v_and_b32_e32 v16, 0x7f800000, v12
	s_delay_alu instid0(VALU_DEP_1)
	v_cmpx_ne_u32_e32 0x7f800000, v16
	s_xor_b32 s19, exec_lo, s19
; %bb.31:                               ;   in Loop: Header=BB427_4 Depth=1
	v_bfe_u32 v16, v12, 16, 1
	s_delay_alu instid0(VALU_DEP_1)
	v_add3_u32 v26, v12, v16, 0x7fff
                                        ; implicit-def: $vgpr12
; %bb.32:                               ;   in Loop: Header=BB427_4 Depth=1
	s_and_not1_saveexec_b32 s19, s19
; %bb.33:                               ;   in Loop: Header=BB427_4 Depth=1
	v_and_b32_e32 v16, 0xffff, v12
	v_or_b32_e32 v17, 0x10000, v12
	s_delay_alu instid0(VALU_DEP_2) | instskip(NEXT) | instid1(VALU_DEP_2)
	v_cmp_eq_u32_e32 vcc_lo, 0, v16
	v_cndmask_b32_e32 v26, v17, v12, vcc_lo
; %bb.34:                               ;   in Loop: Header=BB427_4 Depth=1
	s_or_b32 exec_lo, exec_lo, s19
	v_lshl_add_u64 v[16:17], v[2:3], 1, s[16:17]
	s_delay_alu instid0(VALU_DEP_1) | instskip(SKIP_4) | instid1(VALU_DEP_1)
	v_lshl_add_u64 v[20:21], v[0:1], 1, v[16:17]
	global_store_d16_hi_b16 v[20:21], v26, off
	global_load_u16 v12, v[18:19], off offset:32
	s_wait_loadcnt 0x0
	v_lshlrev_b32_e32 v12, 16, v12
	v_mul_f32_e32 v12, s30, v12
	s_wait_xcnt 0x0
	s_delay_alu instid0(VALU_DEP_1) | instskip(NEXT) | instid1(VALU_DEP_1)
	v_and_b32_e32 v18, 0x7f800000, v12
	v_cmp_ne_u32_e32 vcc_lo, 0x7f800000, v18
                                        ; implicit-def: $vgpr18
	s_and_saveexec_b32 s16, vcc_lo
	s_delay_alu instid0(SALU_CYCLE_1)
	s_xor_b32 s16, exec_lo, s16
; %bb.35:                               ;   in Loop: Header=BB427_4 Depth=1
	v_bfe_u32 v18, v12, 16, 1
	s_delay_alu instid0(VALU_DEP_1)
	v_add3_u32 v18, v12, v18, 0x7fff
                                        ; implicit-def: $vgpr12
; %bb.36:                               ;   in Loop: Header=BB427_4 Depth=1
	s_and_not1_saveexec_b32 s16, s16
; %bb.37:                               ;   in Loop: Header=BB427_4 Depth=1
	v_and_b32_e32 v18, 0xffff, v12
	v_or_b32_e32 v19, 0x10000, v12
	s_delay_alu instid0(VALU_DEP_2) | instskip(NEXT) | instid1(VALU_DEP_2)
	v_cmp_eq_u32_e32 vcc_lo, 0, v18
	v_cndmask_b32_e32 v18, v19, v12, vcc_lo
; %bb.38:                               ;   in Loop: Header=BB427_4 Depth=1
	s_or_b32 exec_lo, exec_lo, s16
	s_delay_alu instid0(VALU_DEP_1) | instskip(SKIP_1) | instid1(VALU_DEP_1)
	v_fma_mix_f32_bf16 v12, s2, v13, v18 op_sel:[0,0,1] op_sel_hi:[0,0,1]
	s_mov_b32 s16, exec_lo
                                        ; implicit-def: $vgpr18
	v_and_b32_e32 v13, 0x7f800000, v12
	s_delay_alu instid0(VALU_DEP_1)
	v_cmpx_ne_u32_e32 0x7f800000, v13
	s_xor_b32 s16, exec_lo, s16
; %bb.39:                               ;   in Loop: Header=BB427_4 Depth=1
	v_bfe_u32 v13, v12, 16, 1
	s_delay_alu instid0(VALU_DEP_1)
	v_add3_u32 v18, v12, v13, 0x7fff
                                        ; implicit-def: $vgpr12
; %bb.40:                               ;   in Loop: Header=BB427_4 Depth=1
	s_and_not1_saveexec_b32 s16, s16
; %bb.41:                               ;   in Loop: Header=BB427_4 Depth=1
	v_and_b32_e32 v13, 0xffff, v12
	v_or_b32_e32 v18, 0x10000, v12
	s_delay_alu instid0(VALU_DEP_2) | instskip(NEXT) | instid1(VALU_DEP_2)
	v_cmp_eq_u32_e32 vcc_lo, 0, v13
	v_cndmask_b32_e32 v18, v18, v12, vcc_lo
; %bb.42:                               ;   in Loop: Header=BB427_4 Depth=1
	s_or_b32 exec_lo, exec_lo, s16
	v_lshl_add_u64 v[12:13], s[6:7], 1, v[14:15]
	global_store_d16_hi_b16 v[20:21], v18, off offset:32
	v_lshl_add_u64 v[12:13], v[0:1], 1, v[12:13]
	global_load_u16 v14, v[12:13], off
	s_wait_loadcnt 0x0
	v_lshlrev_b32_e32 v14, 16, v14
	s_delay_alu instid0(VALU_DEP_1) | instskip(NEXT) | instid1(VALU_DEP_1)
	v_mul_f32_e32 v14, s30, v14
	v_and_b32_e32 v15, 0x7f800000, v14
	s_delay_alu instid0(VALU_DEP_1) | instskip(SKIP_2) | instid1(SALU_CYCLE_1)
	v_cmp_ne_u32_e32 vcc_lo, 0x7f800000, v15
                                        ; implicit-def: $vgpr15
	s_wait_xcnt 0x0
	s_and_saveexec_b32 s16, vcc_lo
	s_xor_b32 s16, exec_lo, s16
; %bb.43:                               ;   in Loop: Header=BB427_4 Depth=1
	v_bfe_u32 v15, v14, 16, 1
	s_delay_alu instid0(VALU_DEP_1)
	v_add3_u32 v15, v14, v15, 0x7fff
                                        ; implicit-def: $vgpr14
; %bb.44:                               ;   in Loop: Header=BB427_4 Depth=1
	s_and_not1_saveexec_b32 s16, s16
; %bb.45:                               ;   in Loop: Header=BB427_4 Depth=1
	v_and_b32_e32 v15, 0xffff, v14
	v_or_b32_e32 v18, 0x10000, v14
	s_delay_alu instid0(VALU_DEP_2) | instskip(NEXT) | instid1(VALU_DEP_2)
	v_cmp_eq_u32_e32 vcc_lo, 0, v15
	v_cndmask_b32_e32 v15, v18, v14, vcc_lo
; %bb.46:                               ;   in Loop: Header=BB427_4 Depth=1
	s_or_b32 exec_lo, exec_lo, s16
	s_delay_alu instid0(VALU_DEP_1) | instskip(SKIP_1) | instid1(VALU_DEP_1)
	v_fma_mix_f32_bf16 v10, s2, v10, v15 op_sel:[0,0,1] op_sel_hi:[0,0,1]
	s_mov_b32 s16, exec_lo
                                        ; implicit-def: $vgpr18
	v_and_b32_e32 v14, 0x7f800000, v10
	s_delay_alu instid0(VALU_DEP_1)
	v_cmpx_ne_u32_e32 0x7f800000, v14
	s_xor_b32 s16, exec_lo, s16
; %bb.47:                               ;   in Loop: Header=BB427_4 Depth=1
	v_bfe_u32 v14, v10, 16, 1
	s_delay_alu instid0(VALU_DEP_1)
	v_add3_u32 v18, v10, v14, 0x7fff
                                        ; implicit-def: $vgpr10
; %bb.48:                               ;   in Loop: Header=BB427_4 Depth=1
	s_and_not1_saveexec_b32 s16, s16
; %bb.49:                               ;   in Loop: Header=BB427_4 Depth=1
	v_and_b32_e32 v14, 0xffff, v10
	v_or_b32_e32 v15, 0x10000, v10
	s_delay_alu instid0(VALU_DEP_2) | instskip(NEXT) | instid1(VALU_DEP_2)
	v_cmp_eq_u32_e32 vcc_lo, 0, v14
	v_cndmask_b32_e32 v18, v15, v10, vcc_lo
; %bb.50:                               ;   in Loop: Header=BB427_4 Depth=1
	s_or_b32 exec_lo, exec_lo, s16
	v_lshl_add_u64 v[14:15], s[20:21], 1, v[16:17]
	s_delay_alu instid0(VALU_DEP_1) | instskip(SKIP_4) | instid1(VALU_DEP_1)
	v_lshl_add_u64 v[14:15], v[0:1], 1, v[14:15]
	global_store_d16_hi_b16 v[14:15], v18, off
	global_load_u16 v10, v[12:13], off offset:32
	s_wait_loadcnt 0x0
	v_lshlrev_b32_e32 v10, 16, v10
	v_mul_f32_e32 v10, s30, v10
	s_wait_xcnt 0x0
	s_delay_alu instid0(VALU_DEP_1) | instskip(NEXT) | instid1(VALU_DEP_1)
	v_and_b32_e32 v12, 0x7f800000, v10
	v_cmp_ne_u32_e32 vcc_lo, 0x7f800000, v12
                                        ; implicit-def: $vgpr12
	s_and_saveexec_b32 s16, vcc_lo
	s_delay_alu instid0(SALU_CYCLE_1)
	s_xor_b32 s16, exec_lo, s16
; %bb.51:                               ;   in Loop: Header=BB427_4 Depth=1
	v_bfe_u32 v12, v10, 16, 1
	s_delay_alu instid0(VALU_DEP_1)
	v_add3_u32 v12, v10, v12, 0x7fff
                                        ; implicit-def: $vgpr10
; %bb.52:                               ;   in Loop: Header=BB427_4 Depth=1
	s_and_not1_saveexec_b32 s16, s16
; %bb.53:                               ;   in Loop: Header=BB427_4 Depth=1
	v_and_b32_e32 v12, 0xffff, v10
	v_or_b32_e32 v13, 0x10000, v10
	s_delay_alu instid0(VALU_DEP_2) | instskip(NEXT) | instid1(VALU_DEP_2)
	v_cmp_eq_u32_e32 vcc_lo, 0, v12
	v_cndmask_b32_e32 v12, v13, v10, vcc_lo
; %bb.54:                               ;   in Loop: Header=BB427_4 Depth=1
	s_or_b32 exec_lo, exec_lo, s16
	s_delay_alu instid0(VALU_DEP_1) | instskip(NEXT) | instid1(VALU_DEP_1)
	v_fma_mix_f32_bf16 v10, s2, v11, v12 op_sel:[0,0,1] op_sel_hi:[0,0,1]
	v_and_b32_e32 v11, 0x7f800000, v10
	s_delay_alu instid0(VALU_DEP_1) | instskip(SKIP_1) | instid1(SALU_CYCLE_1)
	v_cmp_ne_u32_e32 vcc_lo, 0x7f800000, v11
                                        ; implicit-def: $vgpr11
	s_and_saveexec_b32 s16, vcc_lo
	s_xor_b32 s16, exec_lo, s16
; %bb.55:                               ;   in Loop: Header=BB427_4 Depth=1
	v_bfe_u32 v11, v10, 16, 1
	s_delay_alu instid0(VALU_DEP_1)
	v_add3_u32 v11, v10, v11, 0x7fff
                                        ; implicit-def: $vgpr10
; %bb.56:                               ;   in Loop: Header=BB427_4 Depth=1
	s_and_not1_saveexec_b32 s16, s16
	s_cbranch_execz .LBB427_2
; %bb.57:                               ;   in Loop: Header=BB427_4 Depth=1
	v_and_b32_e32 v11, 0xffff, v10
	v_or_b32_e32 v12, 0x10000, v10
	s_delay_alu instid0(VALU_DEP_2) | instskip(NEXT) | instid1(VALU_DEP_2)
	v_cmp_eq_u32_e32 vcc_lo, 0, v11
	v_cndmask_b32_e32 v11, v12, v10, vcc_lo
	s_branch .LBB427_2
.LBB427_58:
	s_endpgm
	.section	.rodata,"a",@progbits
	.p2align	6, 0x0
	.amdhsa_kernel _ZN12_GLOBAL__N_127rocblas_gemm_batched_kernelIfLi16ELi16ELi32ELi32ELi8ELi32ELi8ELi8ELi32ELc78ELc78EK16rocblas_bfloat16S2_S1_EEvlllT_PT11_llS5_llS3_PT12_llPT13_lli
		.amdhsa_group_segment_fixed_size 2048
		.amdhsa_private_segment_fixed_size 0
		.amdhsa_kernarg_size 140
		.amdhsa_user_sgpr_count 2
		.amdhsa_user_sgpr_dispatch_ptr 0
		.amdhsa_user_sgpr_queue_ptr 0
		.amdhsa_user_sgpr_kernarg_segment_ptr 1
		.amdhsa_user_sgpr_dispatch_id 0
		.amdhsa_user_sgpr_kernarg_preload_length 0
		.amdhsa_user_sgpr_kernarg_preload_offset 0
		.amdhsa_user_sgpr_private_segment_size 0
		.amdhsa_wavefront_size32 1
		.amdhsa_uses_dynamic_stack 0
		.amdhsa_enable_private_segment 0
		.amdhsa_system_sgpr_workgroup_id_x 1
		.amdhsa_system_sgpr_workgroup_id_y 1
		.amdhsa_system_sgpr_workgroup_id_z 1
		.amdhsa_system_sgpr_workgroup_info 0
		.amdhsa_system_vgpr_workitem_id 1
		.amdhsa_next_free_vgpr 52
		.amdhsa_next_free_sgpr 36
		.amdhsa_named_barrier_count 0
		.amdhsa_reserve_vcc 1
		.amdhsa_float_round_mode_32 0
		.amdhsa_float_round_mode_16_64 0
		.amdhsa_float_denorm_mode_32 3
		.amdhsa_float_denorm_mode_16_64 3
		.amdhsa_fp16_overflow 0
		.amdhsa_memory_ordered 1
		.amdhsa_forward_progress 1
		.amdhsa_inst_pref_size 20
		.amdhsa_round_robin_scheduling 0
		.amdhsa_exception_fp_ieee_invalid_op 0
		.amdhsa_exception_fp_denorm_src 0
		.amdhsa_exception_fp_ieee_div_zero 0
		.amdhsa_exception_fp_ieee_overflow 0
		.amdhsa_exception_fp_ieee_underflow 0
		.amdhsa_exception_fp_ieee_inexact 0
		.amdhsa_exception_int_div_zero 0
	.end_amdhsa_kernel
	.section	.text._ZN12_GLOBAL__N_127rocblas_gemm_batched_kernelIfLi16ELi16ELi32ELi32ELi8ELi32ELi8ELi8ELi32ELc78ELc78EK16rocblas_bfloat16S2_S1_EEvlllT_PT11_llS5_llS3_PT12_llPT13_lli,"axG",@progbits,_ZN12_GLOBAL__N_127rocblas_gemm_batched_kernelIfLi16ELi16ELi32ELi32ELi8ELi32ELi8ELi8ELi32ELc78ELc78EK16rocblas_bfloat16S2_S1_EEvlllT_PT11_llS5_llS3_PT12_llPT13_lli,comdat
.Lfunc_end427:
	.size	_ZN12_GLOBAL__N_127rocblas_gemm_batched_kernelIfLi16ELi16ELi32ELi32ELi8ELi32ELi8ELi8ELi32ELc78ELc78EK16rocblas_bfloat16S2_S1_EEvlllT_PT11_llS5_llS3_PT12_llPT13_lli, .Lfunc_end427-_ZN12_GLOBAL__N_127rocblas_gemm_batched_kernelIfLi16ELi16ELi32ELi32ELi8ELi32ELi8ELi8ELi32ELc78ELc78EK16rocblas_bfloat16S2_S1_EEvlllT_PT11_llS5_llS3_PT12_llPT13_lli
                                        ; -- End function
	.set _ZN12_GLOBAL__N_127rocblas_gemm_batched_kernelIfLi16ELi16ELi32ELi32ELi8ELi32ELi8ELi8ELi32ELc78ELc78EK16rocblas_bfloat16S2_S1_EEvlllT_PT11_llS5_llS3_PT12_llPT13_lli.num_vgpr, 52
	.set _ZN12_GLOBAL__N_127rocblas_gemm_batched_kernelIfLi16ELi16ELi32ELi32ELi8ELi32ELi8ELi8ELi32ELc78ELc78EK16rocblas_bfloat16S2_S1_EEvlllT_PT11_llS5_llS3_PT12_llPT13_lli.num_agpr, 0
	.set _ZN12_GLOBAL__N_127rocblas_gemm_batched_kernelIfLi16ELi16ELi32ELi32ELi8ELi32ELi8ELi8ELi32ELc78ELc78EK16rocblas_bfloat16S2_S1_EEvlllT_PT11_llS5_llS3_PT12_llPT13_lli.numbered_sgpr, 36
	.set _ZN12_GLOBAL__N_127rocblas_gemm_batched_kernelIfLi16ELi16ELi32ELi32ELi8ELi32ELi8ELi8ELi32ELc78ELc78EK16rocblas_bfloat16S2_S1_EEvlllT_PT11_llS5_llS3_PT12_llPT13_lli.num_named_barrier, 0
	.set _ZN12_GLOBAL__N_127rocblas_gemm_batched_kernelIfLi16ELi16ELi32ELi32ELi8ELi32ELi8ELi8ELi32ELc78ELc78EK16rocblas_bfloat16S2_S1_EEvlllT_PT11_llS5_llS3_PT12_llPT13_lli.private_seg_size, 0
	.set _ZN12_GLOBAL__N_127rocblas_gemm_batched_kernelIfLi16ELi16ELi32ELi32ELi8ELi32ELi8ELi8ELi32ELc78ELc78EK16rocblas_bfloat16S2_S1_EEvlllT_PT11_llS5_llS3_PT12_llPT13_lli.uses_vcc, 1
	.set _ZN12_GLOBAL__N_127rocblas_gemm_batched_kernelIfLi16ELi16ELi32ELi32ELi8ELi32ELi8ELi8ELi32ELc78ELc78EK16rocblas_bfloat16S2_S1_EEvlllT_PT11_llS5_llS3_PT12_llPT13_lli.uses_flat_scratch, 0
	.set _ZN12_GLOBAL__N_127rocblas_gemm_batched_kernelIfLi16ELi16ELi32ELi32ELi8ELi32ELi8ELi8ELi32ELc78ELc78EK16rocblas_bfloat16S2_S1_EEvlllT_PT11_llS5_llS3_PT12_llPT13_lli.has_dyn_sized_stack, 0
	.set _ZN12_GLOBAL__N_127rocblas_gemm_batched_kernelIfLi16ELi16ELi32ELi32ELi8ELi32ELi8ELi8ELi32ELc78ELc78EK16rocblas_bfloat16S2_S1_EEvlllT_PT11_llS5_llS3_PT12_llPT13_lli.has_recursion, 0
	.set _ZN12_GLOBAL__N_127rocblas_gemm_batched_kernelIfLi16ELi16ELi32ELi32ELi8ELi32ELi8ELi8ELi32ELc78ELc78EK16rocblas_bfloat16S2_S1_EEvlllT_PT11_llS5_llS3_PT12_llPT13_lli.has_indirect_call, 0
	.section	.AMDGPU.csdata,"",@progbits
; Kernel info:
; codeLenInByte = 2488
; TotalNumSgprs: 38
; NumVgprs: 52
; ScratchSize: 0
; MemoryBound: 0
; FloatMode: 240
; IeeeMode: 1
; LDSByteSize: 2048 bytes/workgroup (compile time only)
; SGPRBlocks: 0
; VGPRBlocks: 3
; NumSGPRsForWavesPerEU: 38
; NumVGPRsForWavesPerEU: 52
; NamedBarCnt: 0
; Occupancy: 16
; WaveLimiterHint : 0
; COMPUTE_PGM_RSRC2:SCRATCH_EN: 0
; COMPUTE_PGM_RSRC2:USER_SGPR: 2
; COMPUTE_PGM_RSRC2:TRAP_HANDLER: 0
; COMPUTE_PGM_RSRC2:TGID_X_EN: 1
; COMPUTE_PGM_RSRC2:TGID_Y_EN: 1
; COMPUTE_PGM_RSRC2:TGID_Z_EN: 1
; COMPUTE_PGM_RSRC2:TIDIG_COMP_CNT: 1
	.section	.text._ZN12_GLOBAL__N_127rocblas_gemm_batched_kernelIfLi16ELi16ELi32ELi32ELi8ELi32ELi8ELi8ELi32ELc84ELc78EK16rocblas_bfloat16S2_S1_EEvlllT_PT11_llS5_llS3_PT12_llPT13_lli,"axG",@progbits,_ZN12_GLOBAL__N_127rocblas_gemm_batched_kernelIfLi16ELi16ELi32ELi32ELi8ELi32ELi8ELi8ELi32ELc84ELc78EK16rocblas_bfloat16S2_S1_EEvlllT_PT11_llS5_llS3_PT12_llPT13_lli,comdat
	.globl	_ZN12_GLOBAL__N_127rocblas_gemm_batched_kernelIfLi16ELi16ELi32ELi32ELi8ELi32ELi8ELi8ELi32ELc84ELc78EK16rocblas_bfloat16S2_S1_EEvlllT_PT11_llS5_llS3_PT12_llPT13_lli ; -- Begin function _ZN12_GLOBAL__N_127rocblas_gemm_batched_kernelIfLi16ELi16ELi32ELi32ELi8ELi32ELi8ELi8ELi32ELc84ELc78EK16rocblas_bfloat16S2_S1_EEvlllT_PT11_llS5_llS3_PT12_llPT13_lli
	.p2align	8
	.type	_ZN12_GLOBAL__N_127rocblas_gemm_batched_kernelIfLi16ELi16ELi32ELi32ELi8ELi32ELi8ELi8ELi32ELc84ELc78EK16rocblas_bfloat16S2_S1_EEvlllT_PT11_llS5_llS3_PT12_llPT13_lli,@function
_ZN12_GLOBAL__N_127rocblas_gemm_batched_kernelIfLi16ELi16ELi32ELi32ELi8ELi32ELi8ELi8ELi32ELc84ELc78EK16rocblas_bfloat16S2_S1_EEvlllT_PT11_llS5_llS3_PT12_llPT13_lli: ; @_ZN12_GLOBAL__N_127rocblas_gemm_batched_kernelIfLi16ELi16ELi32ELi32ELi8ELi32ELi8ELi8ELi32ELc84ELc78EK16rocblas_bfloat16S2_S1_EEvlllT_PT11_llS5_llS3_PT12_llPT13_lli
; %bb.0:
	s_load_b32 s3, s[0:1], 0x88
	s_bfe_u32 s2, ttmp6, 0x40014
	s_lshr_b32 s4, ttmp7, 16
	s_add_co_i32 s2, s2, 1
	s_bfe_u32 s6, ttmp6, 0x40008
	s_mul_i32 s5, s4, s2
	s_getreg_b32 s2, hwreg(HW_REG_IB_STS2, 6, 4)
	s_add_co_i32 s6, s6, s5
	s_cmp_eq_u32 s2, 0
	s_mov_b32 s29, 0
	s_cselect_b32 s28, s4, s6
	s_wait_kmcnt 0x0
	s_cmp_ge_i32 s28, s3
	s_cbranch_scc1 .LBB428_58
; %bb.1:
	s_bfe_u32 s20, ttmp6, 0x4000c
	s_bfe_u32 s22, ttmp6, 0x40010
	s_add_co_i32 s20, s20, 1
	s_and_b32 s23, ttmp7, 0xffff
	s_add_co_i32 s22, s22, 1
	v_bfe_u32 v4, v0, 10, 10
	v_and_b32_e32 v6, 0x3ff, v0
	s_and_b32 s21, ttmp6, 15
	s_mul_i32 s20, ttmp9, s20
	s_mul_i32 s22, s23, s22
	s_bfe_u32 s30, ttmp6, 0x40004
	s_clause 0x2
	s_load_b256 s[12:19], s[0:1], 0x20
	s_load_b128 s[24:27], s[0:1], 0x40
	s_load_b256 s[4:11], s[0:1], 0x58
	s_add_co_i32 s21, s21, s20
	s_add_co_i32 s30, s30, s22
	s_cmp_eq_u32 s2, 0
	v_lshl_add_u32 v1, v4, 4, v6
	v_mov_b32_e32 v5, 0
	s_cselect_b32 s34, ttmp9, s21
	s_cselect_b32 s2, s23, s30
	s_ashr_i32 s35, s34, 31
	v_lshrrev_b32_e32 v8, 3, v1
	s_lshl_b64 s[34:35], s[34:35], 5
	v_mov_b32_e32 v9, v5
	s_lshl_b32 s36, s2, 5
	s_mov_b32 s37, s29
	s_clause 0x1
	s_load_b32 s30, s[0:1], 0x50
	s_load_b128 s[20:23], s[0:1], 0x78
	v_add_nc_u64_e32 v[2:3], s[36:37], v[8:9]
	v_dual_mov_b32 v7, v5 :: v_dual_bitop2_b32 v9, 31, v1 bitop3:0x40
	v_and_b32_e32 v0, 7, v0
	v_add_nc_u64_e32 v[12:13], s[36:37], v[4:5]
	s_wait_xcnt 0x0
	s_load_b96 s[0:2], s[0:1], 0x10
	v_lshl_add_u32 v22, v4, 5, 0x400
	s_wait_kmcnt 0x0
	v_mul_u64_e32 v[10:11], s[24:25], v[2:3]
	v_dual_mov_b32 v3, s35 :: v_dual_bitop2_b32 v2, s34, v9 bitop3:0x54
	v_lshlrev_b32_e32 v4, 1, v0
	v_mul_u64_e32 v[16:17], s[6:7], v[12:13]
	v_lshlrev_b32_e32 v25, 2, v6
	s_delay_alu instid0(VALU_DEP_4)
	v_mul_u64_e32 v[14:15], s[14:15], v[2:3]
	s_cmp_eq_f32 s30, 0
	v_mul_u64_e32 v[2:3], s[20:21], v[12:13]
	v_dual_lshlrev_b32 v12, 2, v0 :: v_dual_lshrrev_b32 v0, 5, v1
	v_lshlrev_b32_e32 v1, 2, v9
	s_cselect_b32 s24, -1, 0
	s_lshl_b64 s[14:15], s[20:21], 4
	s_delay_alu instid0(VALU_DEP_2) | instskip(NEXT) | instid1(VALU_DEP_2)
	v_lshl_or_b32 v12, v8, 5, v12
	v_lshl_or_b32 v23, v0, 7, v1
	s_delay_alu instid0(VALU_DEP_2) | instskip(SKIP_3) | instid1(VALU_DEP_3)
	v_add_nc_u32_e32 v24, 0x400, v12
	v_lshl_add_u64 v[8:9], v[10:11], 1, v[4:5]
	v_lshlrev_b32_e32 v4, 1, v0
	v_add_nc_u64_e32 v[0:1], s[34:35], v[6:7]
	v_add_nc_u64_e32 v[6:7], s[18:19], v[8:9]
	v_cmp_gt_i64_e64 s18, s[0:1], 0
	s_delay_alu instid0(VALU_DEP_4) | instskip(SKIP_3) | instid1(VALU_DEP_2)
	v_lshl_add_u64 v[10:11], v[14:15], 1, v[4:5]
	v_lshl_add_u64 v[4:5], v[16:17], 1, s[4:5]
	s_lshl_b64 s[4:5], s[6:7], 4
	s_lshl_b64 s[6:7], s[26:27], 1
	v_add_nc_u64_e32 v[8:9], s[12:13], v[10:11]
	s_lshl_b64 s[12:13], s[16:17], 1
	s_branch .LBB428_4
.LBB428_2:                              ;   in Loop: Header=BB428_4 Depth=1
	s_or_b32 exec_lo, exec_lo, s16
	global_store_d16_hi_b16 v[14:15], v11, off offset:32
.LBB428_3:                              ;   in Loop: Header=BB428_4 Depth=1
	s_add_co_i32 s28, s28, 0x10000
	s_delay_alu instid0(SALU_CYCLE_1)
	s_cmp_lt_i32 s28, s3
	s_cbranch_scc0 .LBB428_58
.LBB428_4:                              ; =>This Loop Header: Depth=1
                                        ;     Child Loop BB428_6 Depth 2
	v_dual_mov_b32 v13, 0 :: v_dual_mov_b32 v12, 0
	s_wait_xcnt 0x0
	v_dual_mov_b32 v11, 0 :: v_dual_mov_b32 v10, 0
	s_and_not1_b32 vcc_lo, exec_lo, s18
	s_cbranch_vccnz .LBB428_7
; %bb.5:                                ;   in Loop: Header=BB428_4 Depth=1
	v_mad_nc_u64_u32 v[14:15], s6, s28, v[6:7]
	v_mad_nc_u64_u32 v[16:17], s12, s28, v[8:9]
	v_mov_b32_e32 v10, 0
	s_mov_b64 s[16:17], 0
	s_delay_alu instid0(VALU_DEP_1)
	v_dual_mov_b32 v11, v10 :: v_dual_mov_b32 v12, v10
	v_mov_b32_e32 v13, v10
	v_mad_u32 v15, s7, s28, v15
	v_mad_u32 v17, s13, s28, v17
.LBB428_6:                              ;   Parent Loop BB428_4 Depth=1
                                        ; =>  This Inner Loop Header: Depth=2
	global_load_u16 v18, v[16:17], off
	global_load_u16 v19, v[14:15], off
	s_add_nc_u64 s[16:17], s[16:17], 8
	s_wait_xcnt 0x0
	v_add_nc_u64_e32 v[14:15], 16, v[14:15]
	v_cmp_lt_i64_e64 s19, s[16:17], s[0:1]
	v_add_nc_u64_e32 v[16:17], 16, v[16:17]
	s_and_b32 vcc_lo, exec_lo, s19
	s_wait_loadcnt 0x0
	v_dual_lshlrev_b32 v18, 16, v18 :: v_dual_lshlrev_b32 v19, 16, v19
	ds_store_b32 v23, v18
	ds_store_b32 v24, v19
	s_wait_dscnt 0x0
	s_barrier_signal -1
	s_barrier_wait -1
	ds_load_b128 v[18:21], v22
	ds_load_2addr_b32 v[38:39], v25 offset1:16
	ds_load_b128 v[26:29], v22 offset:512
	ds_load_2addr_b32 v[40:41], v25 offset0:32 offset1:48
	ds_load_2addr_b32 v[42:43], v25 offset0:64 offset1:80
	ds_load_b128 v[30:33], v22 offset:16
	ds_load_2addr_b32 v[44:45], v25 offset0:96 offset1:112
	ds_load_2addr_b32 v[46:47], v25 offset0:128 offset1:144
	;; [unrolled: 3-line block ×3, first 2 shown]
	s_wait_dscnt 0x9
	v_pk_fma_f32 v[12:13], v[38:39], v[18:19], v[12:13] op_sel_hi:[1,0,1]
	s_wait_dscnt 0x8
	v_pk_fma_f32 v[10:11], v[38:39], v[26:27], v[10:11] op_sel_hi:[1,0,1]
	v_mov_b32_e32 v38, v21
	s_wait_dscnt 0x7
	v_pk_fma_f32 v[12:13], v[40:41], v[18:19], v[12:13] op_sel:[0,1,0]
	s_delay_alu instid0(VALU_DEP_3) | instskip(SKIP_2) | instid1(VALU_DEP_3)
	v_pk_fma_f32 v[10:11], v[40:41], v[26:27], v[10:11] op_sel:[0,1,0]
	s_wait_dscnt 0x2
	v_dual_mov_b32 v18, v29 :: v_dual_mov_b32 v26, v37
	v_pk_fma_f32 v[12:13], v[42:43], v[20:21], v[12:13] op_sel_hi:[1,0,1]
	s_delay_alu instid0(VALU_DEP_3)
	v_pk_fma_f32 v[10:11], v[42:43], v[28:29], v[10:11] op_sel_hi:[1,0,1]
	ds_load_2addr_b32 v[20:21], v25 offset0:224 offset1:240
	s_wait_dscnt 0x0
	s_barrier_signal -1
	v_pk_fma_f32 v[12:13], v[44:45], v[38:39], v[12:13] op_sel_hi:[1,0,1]
	v_pk_fma_f32 v[10:11], v[44:45], v[18:19], v[10:11] op_sel_hi:[1,0,1]
	v_mov_b32_e32 v18, v33
	s_barrier_wait -1
	s_delay_alu instid0(VALU_DEP_3) | instskip(NEXT) | instid1(VALU_DEP_3)
	v_pk_fma_f32 v[12:13], v[46:47], v[30:31], v[12:13] op_sel_hi:[1,0,1]
	v_pk_fma_f32 v[10:11], v[46:47], v[34:35], v[10:11] op_sel_hi:[1,0,1]
	s_delay_alu instid0(VALU_DEP_2) | instskip(NEXT) | instid1(VALU_DEP_2)
	v_pk_fma_f32 v[12:13], v[48:49], v[30:31], v[12:13] op_sel:[0,1,0]
	v_pk_fma_f32 v[10:11], v[48:49], v[34:35], v[10:11] op_sel:[0,1,0]
	s_delay_alu instid0(VALU_DEP_2) | instskip(NEXT) | instid1(VALU_DEP_2)
	v_pk_fma_f32 v[12:13], v[50:51], v[32:33], v[12:13] op_sel_hi:[1,0,1]
	v_pk_fma_f32 v[10:11], v[50:51], v[36:37], v[10:11] op_sel_hi:[1,0,1]
	s_delay_alu instid0(VALU_DEP_2) | instskip(NEXT) | instid1(VALU_DEP_2)
	v_pk_fma_f32 v[12:13], v[20:21], v[18:19], v[12:13] op_sel_hi:[1,0,1]
	v_pk_fma_f32 v[10:11], v[20:21], v[26:27], v[10:11] op_sel_hi:[1,0,1]
	s_cbranch_vccnz .LBB428_6
.LBB428_7:                              ;   in Loop: Header=BB428_4 Depth=1
	s_mul_u64 s[16:17], s[22:23], s[28:29]
	s_and_not1_b32 vcc_lo, exec_lo, s24
	s_lshl_b64 s[16:17], s[16:17], 1
	s_delay_alu instid0(SALU_CYCLE_1)
	s_add_nc_u64 s[16:17], s[10:11], s[16:17]
	s_cbranch_vccnz .LBB428_25
; %bb.8:                                ;   in Loop: Header=BB428_4 Depth=1
	v_mul_f32_e32 v14, s2, v12
	s_mov_b32 s19, exec_lo
                                        ; implicit-def: $vgpr18
	s_delay_alu instid0(VALU_DEP_1) | instskip(NEXT) | instid1(VALU_DEP_1)
	v_and_b32_e32 v15, 0x7f800000, v14
	v_cmpx_ne_u32_e32 0x7f800000, v15
	s_xor_b32 s19, exec_lo, s19
; %bb.9:                                ;   in Loop: Header=BB428_4 Depth=1
	v_bfe_u32 v15, v14, 16, 1
	s_delay_alu instid0(VALU_DEP_1)
	v_add3_u32 v18, v14, v15, 0x7fff
                                        ; implicit-def: $vgpr14
; %bb.10:                               ;   in Loop: Header=BB428_4 Depth=1
	s_and_not1_saveexec_b32 s19, s19
; %bb.11:                               ;   in Loop: Header=BB428_4 Depth=1
	v_and_b32_e32 v15, 0xffff, v14
	v_or_b32_e32 v16, 0x10000, v14
	s_delay_alu instid0(VALU_DEP_2) | instskip(NEXT) | instid1(VALU_DEP_2)
	v_cmp_eq_u32_e32 vcc_lo, 0, v15
	v_cndmask_b32_e32 v18, v16, v14, vcc_lo
; %bb.12:                               ;   in Loop: Header=BB428_4 Depth=1
	s_or_b32 exec_lo, exec_lo, s19
	v_mul_f32_e32 v19, s2, v13
	v_lshl_add_u64 v[14:15], v[2:3], 1, s[16:17]
	s_delay_alu instid0(VALU_DEP_2) | instskip(NEXT) | instid1(VALU_DEP_2)
	v_and_b32_e32 v20, 0x7f800000, v19
	v_lshl_add_u64 v[16:17], v[0:1], 1, v[14:15]
	s_delay_alu instid0(VALU_DEP_2) | instskip(SKIP_3) | instid1(SALU_CYCLE_1)
	v_cmp_ne_u32_e32 vcc_lo, 0x7f800000, v20
	global_store_d16_hi_b16 v[16:17], v18, off
                                        ; implicit-def: $vgpr20
	s_wait_xcnt 0x0
	s_and_saveexec_b32 s19, vcc_lo
	s_xor_b32 s19, exec_lo, s19
; %bb.13:                               ;   in Loop: Header=BB428_4 Depth=1
	v_bfe_u32 v18, v19, 16, 1
	s_delay_alu instid0(VALU_DEP_1)
	v_add3_u32 v20, v19, v18, 0x7fff
                                        ; implicit-def: $vgpr19
; %bb.14:                               ;   in Loop: Header=BB428_4 Depth=1
	s_and_not1_saveexec_b32 s19, s19
; %bb.15:                               ;   in Loop: Header=BB428_4 Depth=1
	v_and_b32_e32 v18, 0xffff, v19
	v_or_b32_e32 v20, 0x10000, v19
	s_delay_alu instid0(VALU_DEP_2) | instskip(NEXT) | instid1(VALU_DEP_2)
	v_cmp_eq_u32_e32 vcc_lo, 0, v18
	v_cndmask_b32_e32 v20, v20, v19, vcc_lo
; %bb.16:                               ;   in Loop: Header=BB428_4 Depth=1
	s_or_b32 exec_lo, exec_lo, s19
	v_mul_f32_e32 v18, s2, v10
	s_mov_b32 s19, exec_lo
	global_store_d16_hi_b16 v[16:17], v20, off offset:32
                                        ; implicit-def: $vgpr16
	v_and_b32_e32 v19, 0x7f800000, v18
	s_wait_xcnt 0x0
	s_delay_alu instid0(VALU_DEP_1)
	v_cmpx_ne_u32_e32 0x7f800000, v19
	s_xor_b32 s19, exec_lo, s19
; %bb.17:                               ;   in Loop: Header=BB428_4 Depth=1
	v_bfe_u32 v16, v18, 16, 1
	s_delay_alu instid0(VALU_DEP_1)
	v_add3_u32 v16, v18, v16, 0x7fff
                                        ; implicit-def: $vgpr18
; %bb.18:                               ;   in Loop: Header=BB428_4 Depth=1
	s_and_not1_saveexec_b32 s19, s19
; %bb.19:                               ;   in Loop: Header=BB428_4 Depth=1
	v_and_b32_e32 v16, 0xffff, v18
	v_or_b32_e32 v17, 0x10000, v18
	s_delay_alu instid0(VALU_DEP_2) | instskip(NEXT) | instid1(VALU_DEP_2)
	v_cmp_eq_u32_e32 vcc_lo, 0, v16
	v_cndmask_b32_e32 v16, v17, v18, vcc_lo
; %bb.20:                               ;   in Loop: Header=BB428_4 Depth=1
	s_or_b32 exec_lo, exec_lo, s19
	v_mul_f32_e32 v17, s2, v11
	v_lshl_add_u64 v[14:15], s[14:15], 1, v[14:15]
	s_mov_b32 s19, exec_lo
	s_delay_alu instid0(VALU_DEP_2) | instskip(NEXT) | instid1(VALU_DEP_2)
	v_and_b32_e32 v18, 0x7f800000, v17
	v_lshl_add_u64 v[14:15], v[0:1], 1, v[14:15]
	global_store_d16_hi_b16 v[14:15], v16, off
                                        ; implicit-def: $vgpr16
	s_wait_xcnt 0x0
	v_cmpx_ne_u32_e32 0x7f800000, v18
	s_xor_b32 s19, exec_lo, s19
; %bb.21:                               ;   in Loop: Header=BB428_4 Depth=1
	v_bfe_u32 v16, v17, 16, 1
	s_delay_alu instid0(VALU_DEP_1)
	v_add3_u32 v16, v17, v16, 0x7fff
                                        ; implicit-def: $vgpr17
; %bb.22:                               ;   in Loop: Header=BB428_4 Depth=1
	s_and_not1_saveexec_b32 s19, s19
; %bb.23:                               ;   in Loop: Header=BB428_4 Depth=1
	v_and_b32_e32 v16, 0xffff, v17
	v_or_b32_e32 v18, 0x10000, v17
	s_delay_alu instid0(VALU_DEP_2) | instskip(NEXT) | instid1(VALU_DEP_2)
	v_cmp_eq_u32_e32 vcc_lo, 0, v16
	v_cndmask_b32_e32 v16, v18, v17, vcc_lo
; %bb.24:                               ;   in Loop: Header=BB428_4 Depth=1
	s_or_b32 exec_lo, exec_lo, s19
	global_store_d16_hi_b16 v[14:15], v16, off offset:32
	s_branch .LBB428_3
.LBB428_25:                             ;   in Loop: Header=BB428_4 Depth=1
	s_cbranch_execz .LBB428_3
; %bb.26:                               ;   in Loop: Header=BB428_4 Depth=1
	s_mul_u64 s[20:21], s[8:9], s[28:29]
	s_wait_xcnt 0x0
	v_lshl_add_u64 v[14:15], s[20:21], 1, v[4:5]
	s_delay_alu instid0(VALU_DEP_1) | instskip(SKIP_3) | instid1(VALU_DEP_1)
	v_lshl_add_u64 v[18:19], v[0:1], 1, v[14:15]
	global_load_u16 v16, v[18:19], off
	s_wait_loadcnt 0x0
	v_lshlrev_b32_e32 v16, 16, v16
	v_mul_f32_e32 v16, s30, v16
	s_delay_alu instid0(VALU_DEP_1) | instskip(NEXT) | instid1(VALU_DEP_1)
	v_and_b32_e32 v17, 0x7f800000, v16
	v_cmp_ne_u32_e32 vcc_lo, 0x7f800000, v17
                                        ; implicit-def: $vgpr17
	s_wait_xcnt 0x0
	s_and_saveexec_b32 s19, vcc_lo
	s_delay_alu instid0(SALU_CYCLE_1)
	s_xor_b32 s19, exec_lo, s19
; %bb.27:                               ;   in Loop: Header=BB428_4 Depth=1
	v_bfe_u32 v17, v16, 16, 1
	s_delay_alu instid0(VALU_DEP_1)
	v_add3_u32 v17, v16, v17, 0x7fff
                                        ; implicit-def: $vgpr16
; %bb.28:                               ;   in Loop: Header=BB428_4 Depth=1
	s_and_not1_saveexec_b32 s19, s19
; %bb.29:                               ;   in Loop: Header=BB428_4 Depth=1
	v_and_b32_e32 v17, 0xffff, v16
	v_or_b32_e32 v20, 0x10000, v16
	s_delay_alu instid0(VALU_DEP_2) | instskip(NEXT) | instid1(VALU_DEP_2)
	v_cmp_eq_u32_e32 vcc_lo, 0, v17
	v_cndmask_b32_e32 v17, v20, v16, vcc_lo
; %bb.30:                               ;   in Loop: Header=BB428_4 Depth=1
	s_or_b32 exec_lo, exec_lo, s19
	s_delay_alu instid0(VALU_DEP_1) | instskip(SKIP_1) | instid1(VALU_DEP_1)
	v_fma_mix_f32_bf16 v12, s2, v12, v17 op_sel:[0,0,1] op_sel_hi:[0,0,1]
	s_mov_b32 s19, exec_lo
                                        ; implicit-def: $vgpr26
	v_and_b32_e32 v16, 0x7f800000, v12
	s_delay_alu instid0(VALU_DEP_1)
	v_cmpx_ne_u32_e32 0x7f800000, v16
	s_xor_b32 s19, exec_lo, s19
; %bb.31:                               ;   in Loop: Header=BB428_4 Depth=1
	v_bfe_u32 v16, v12, 16, 1
	s_delay_alu instid0(VALU_DEP_1)
	v_add3_u32 v26, v12, v16, 0x7fff
                                        ; implicit-def: $vgpr12
; %bb.32:                               ;   in Loop: Header=BB428_4 Depth=1
	s_and_not1_saveexec_b32 s19, s19
; %bb.33:                               ;   in Loop: Header=BB428_4 Depth=1
	v_and_b32_e32 v16, 0xffff, v12
	v_or_b32_e32 v17, 0x10000, v12
	s_delay_alu instid0(VALU_DEP_2) | instskip(NEXT) | instid1(VALU_DEP_2)
	v_cmp_eq_u32_e32 vcc_lo, 0, v16
	v_cndmask_b32_e32 v26, v17, v12, vcc_lo
; %bb.34:                               ;   in Loop: Header=BB428_4 Depth=1
	s_or_b32 exec_lo, exec_lo, s19
	v_lshl_add_u64 v[16:17], v[2:3], 1, s[16:17]
	s_delay_alu instid0(VALU_DEP_1) | instskip(SKIP_4) | instid1(VALU_DEP_1)
	v_lshl_add_u64 v[20:21], v[0:1], 1, v[16:17]
	global_store_d16_hi_b16 v[20:21], v26, off
	global_load_u16 v12, v[18:19], off offset:32
	s_wait_loadcnt 0x0
	v_lshlrev_b32_e32 v12, 16, v12
	v_mul_f32_e32 v12, s30, v12
	s_wait_xcnt 0x0
	s_delay_alu instid0(VALU_DEP_1) | instskip(NEXT) | instid1(VALU_DEP_1)
	v_and_b32_e32 v18, 0x7f800000, v12
	v_cmp_ne_u32_e32 vcc_lo, 0x7f800000, v18
                                        ; implicit-def: $vgpr18
	s_and_saveexec_b32 s16, vcc_lo
	s_delay_alu instid0(SALU_CYCLE_1)
	s_xor_b32 s16, exec_lo, s16
; %bb.35:                               ;   in Loop: Header=BB428_4 Depth=1
	v_bfe_u32 v18, v12, 16, 1
	s_delay_alu instid0(VALU_DEP_1)
	v_add3_u32 v18, v12, v18, 0x7fff
                                        ; implicit-def: $vgpr12
; %bb.36:                               ;   in Loop: Header=BB428_4 Depth=1
	s_and_not1_saveexec_b32 s16, s16
; %bb.37:                               ;   in Loop: Header=BB428_4 Depth=1
	v_and_b32_e32 v18, 0xffff, v12
	v_or_b32_e32 v19, 0x10000, v12
	s_delay_alu instid0(VALU_DEP_2) | instskip(NEXT) | instid1(VALU_DEP_2)
	v_cmp_eq_u32_e32 vcc_lo, 0, v18
	v_cndmask_b32_e32 v18, v19, v12, vcc_lo
; %bb.38:                               ;   in Loop: Header=BB428_4 Depth=1
	s_or_b32 exec_lo, exec_lo, s16
	s_delay_alu instid0(VALU_DEP_1) | instskip(SKIP_1) | instid1(VALU_DEP_1)
	v_fma_mix_f32_bf16 v12, s2, v13, v18 op_sel:[0,0,1] op_sel_hi:[0,0,1]
	s_mov_b32 s16, exec_lo
                                        ; implicit-def: $vgpr18
	v_and_b32_e32 v13, 0x7f800000, v12
	s_delay_alu instid0(VALU_DEP_1)
	v_cmpx_ne_u32_e32 0x7f800000, v13
	s_xor_b32 s16, exec_lo, s16
; %bb.39:                               ;   in Loop: Header=BB428_4 Depth=1
	v_bfe_u32 v13, v12, 16, 1
	s_delay_alu instid0(VALU_DEP_1)
	v_add3_u32 v18, v12, v13, 0x7fff
                                        ; implicit-def: $vgpr12
; %bb.40:                               ;   in Loop: Header=BB428_4 Depth=1
	s_and_not1_saveexec_b32 s16, s16
; %bb.41:                               ;   in Loop: Header=BB428_4 Depth=1
	v_and_b32_e32 v13, 0xffff, v12
	v_or_b32_e32 v18, 0x10000, v12
	s_delay_alu instid0(VALU_DEP_2) | instskip(NEXT) | instid1(VALU_DEP_2)
	v_cmp_eq_u32_e32 vcc_lo, 0, v13
	v_cndmask_b32_e32 v18, v18, v12, vcc_lo
; %bb.42:                               ;   in Loop: Header=BB428_4 Depth=1
	s_or_b32 exec_lo, exec_lo, s16
	v_lshl_add_u64 v[12:13], s[4:5], 1, v[14:15]
	global_store_d16_hi_b16 v[20:21], v18, off offset:32
	v_lshl_add_u64 v[12:13], v[0:1], 1, v[12:13]
	global_load_u16 v14, v[12:13], off
	s_wait_loadcnt 0x0
	v_lshlrev_b32_e32 v14, 16, v14
	s_delay_alu instid0(VALU_DEP_1) | instskip(NEXT) | instid1(VALU_DEP_1)
	v_mul_f32_e32 v14, s30, v14
	v_and_b32_e32 v15, 0x7f800000, v14
	s_delay_alu instid0(VALU_DEP_1) | instskip(SKIP_2) | instid1(SALU_CYCLE_1)
	v_cmp_ne_u32_e32 vcc_lo, 0x7f800000, v15
                                        ; implicit-def: $vgpr15
	s_wait_xcnt 0x0
	s_and_saveexec_b32 s16, vcc_lo
	s_xor_b32 s16, exec_lo, s16
; %bb.43:                               ;   in Loop: Header=BB428_4 Depth=1
	v_bfe_u32 v15, v14, 16, 1
	s_delay_alu instid0(VALU_DEP_1)
	v_add3_u32 v15, v14, v15, 0x7fff
                                        ; implicit-def: $vgpr14
; %bb.44:                               ;   in Loop: Header=BB428_4 Depth=1
	s_and_not1_saveexec_b32 s16, s16
; %bb.45:                               ;   in Loop: Header=BB428_4 Depth=1
	v_and_b32_e32 v15, 0xffff, v14
	v_or_b32_e32 v18, 0x10000, v14
	s_delay_alu instid0(VALU_DEP_2) | instskip(NEXT) | instid1(VALU_DEP_2)
	v_cmp_eq_u32_e32 vcc_lo, 0, v15
	v_cndmask_b32_e32 v15, v18, v14, vcc_lo
; %bb.46:                               ;   in Loop: Header=BB428_4 Depth=1
	s_or_b32 exec_lo, exec_lo, s16
	s_delay_alu instid0(VALU_DEP_1) | instskip(SKIP_1) | instid1(VALU_DEP_1)
	v_fma_mix_f32_bf16 v10, s2, v10, v15 op_sel:[0,0,1] op_sel_hi:[0,0,1]
	s_mov_b32 s16, exec_lo
                                        ; implicit-def: $vgpr18
	v_and_b32_e32 v14, 0x7f800000, v10
	s_delay_alu instid0(VALU_DEP_1)
	v_cmpx_ne_u32_e32 0x7f800000, v14
	s_xor_b32 s16, exec_lo, s16
; %bb.47:                               ;   in Loop: Header=BB428_4 Depth=1
	v_bfe_u32 v14, v10, 16, 1
	s_delay_alu instid0(VALU_DEP_1)
	v_add3_u32 v18, v10, v14, 0x7fff
                                        ; implicit-def: $vgpr10
; %bb.48:                               ;   in Loop: Header=BB428_4 Depth=1
	s_and_not1_saveexec_b32 s16, s16
; %bb.49:                               ;   in Loop: Header=BB428_4 Depth=1
	v_and_b32_e32 v14, 0xffff, v10
	v_or_b32_e32 v15, 0x10000, v10
	s_delay_alu instid0(VALU_DEP_2) | instskip(NEXT) | instid1(VALU_DEP_2)
	v_cmp_eq_u32_e32 vcc_lo, 0, v14
	v_cndmask_b32_e32 v18, v15, v10, vcc_lo
; %bb.50:                               ;   in Loop: Header=BB428_4 Depth=1
	s_or_b32 exec_lo, exec_lo, s16
	v_lshl_add_u64 v[14:15], s[14:15], 1, v[16:17]
	s_delay_alu instid0(VALU_DEP_1) | instskip(SKIP_4) | instid1(VALU_DEP_1)
	v_lshl_add_u64 v[14:15], v[0:1], 1, v[14:15]
	global_store_d16_hi_b16 v[14:15], v18, off
	global_load_u16 v10, v[12:13], off offset:32
	s_wait_loadcnt 0x0
	v_lshlrev_b32_e32 v10, 16, v10
	v_mul_f32_e32 v10, s30, v10
	s_wait_xcnt 0x0
	s_delay_alu instid0(VALU_DEP_1) | instskip(NEXT) | instid1(VALU_DEP_1)
	v_and_b32_e32 v12, 0x7f800000, v10
	v_cmp_ne_u32_e32 vcc_lo, 0x7f800000, v12
                                        ; implicit-def: $vgpr12
	s_and_saveexec_b32 s16, vcc_lo
	s_delay_alu instid0(SALU_CYCLE_1)
	s_xor_b32 s16, exec_lo, s16
; %bb.51:                               ;   in Loop: Header=BB428_4 Depth=1
	v_bfe_u32 v12, v10, 16, 1
	s_delay_alu instid0(VALU_DEP_1)
	v_add3_u32 v12, v10, v12, 0x7fff
                                        ; implicit-def: $vgpr10
; %bb.52:                               ;   in Loop: Header=BB428_4 Depth=1
	s_and_not1_saveexec_b32 s16, s16
; %bb.53:                               ;   in Loop: Header=BB428_4 Depth=1
	v_and_b32_e32 v12, 0xffff, v10
	v_or_b32_e32 v13, 0x10000, v10
	s_delay_alu instid0(VALU_DEP_2) | instskip(NEXT) | instid1(VALU_DEP_2)
	v_cmp_eq_u32_e32 vcc_lo, 0, v12
	v_cndmask_b32_e32 v12, v13, v10, vcc_lo
; %bb.54:                               ;   in Loop: Header=BB428_4 Depth=1
	s_or_b32 exec_lo, exec_lo, s16
	s_delay_alu instid0(VALU_DEP_1) | instskip(NEXT) | instid1(VALU_DEP_1)
	v_fma_mix_f32_bf16 v10, s2, v11, v12 op_sel:[0,0,1] op_sel_hi:[0,0,1]
	v_and_b32_e32 v11, 0x7f800000, v10
	s_delay_alu instid0(VALU_DEP_1) | instskip(SKIP_1) | instid1(SALU_CYCLE_1)
	v_cmp_ne_u32_e32 vcc_lo, 0x7f800000, v11
                                        ; implicit-def: $vgpr11
	s_and_saveexec_b32 s16, vcc_lo
	s_xor_b32 s16, exec_lo, s16
; %bb.55:                               ;   in Loop: Header=BB428_4 Depth=1
	v_bfe_u32 v11, v10, 16, 1
	s_delay_alu instid0(VALU_DEP_1)
	v_add3_u32 v11, v10, v11, 0x7fff
                                        ; implicit-def: $vgpr10
; %bb.56:                               ;   in Loop: Header=BB428_4 Depth=1
	s_and_not1_saveexec_b32 s16, s16
	s_cbranch_execz .LBB428_2
; %bb.57:                               ;   in Loop: Header=BB428_4 Depth=1
	v_and_b32_e32 v11, 0xffff, v10
	v_or_b32_e32 v12, 0x10000, v10
	s_delay_alu instid0(VALU_DEP_2) | instskip(NEXT) | instid1(VALU_DEP_2)
	v_cmp_eq_u32_e32 vcc_lo, 0, v11
	v_cndmask_b32_e32 v11, v12, v10, vcc_lo
	s_branch .LBB428_2
.LBB428_58:
	s_endpgm
	.section	.rodata,"a",@progbits
	.p2align	6, 0x0
	.amdhsa_kernel _ZN12_GLOBAL__N_127rocblas_gemm_batched_kernelIfLi16ELi16ELi32ELi32ELi8ELi32ELi8ELi8ELi32ELc84ELc78EK16rocblas_bfloat16S2_S1_EEvlllT_PT11_llS5_llS3_PT12_llPT13_lli
		.amdhsa_group_segment_fixed_size 2048
		.amdhsa_private_segment_fixed_size 0
		.amdhsa_kernarg_size 140
		.amdhsa_user_sgpr_count 2
		.amdhsa_user_sgpr_dispatch_ptr 0
		.amdhsa_user_sgpr_queue_ptr 0
		.amdhsa_user_sgpr_kernarg_segment_ptr 1
		.amdhsa_user_sgpr_dispatch_id 0
		.amdhsa_user_sgpr_kernarg_preload_length 0
		.amdhsa_user_sgpr_kernarg_preload_offset 0
		.amdhsa_user_sgpr_private_segment_size 0
		.amdhsa_wavefront_size32 1
		.amdhsa_uses_dynamic_stack 0
		.amdhsa_enable_private_segment 0
		.amdhsa_system_sgpr_workgroup_id_x 1
		.amdhsa_system_sgpr_workgroup_id_y 1
		.amdhsa_system_sgpr_workgroup_id_z 1
		.amdhsa_system_sgpr_workgroup_info 0
		.amdhsa_system_vgpr_workitem_id 1
		.amdhsa_next_free_vgpr 52
		.amdhsa_next_free_sgpr 38
		.amdhsa_named_barrier_count 0
		.amdhsa_reserve_vcc 1
		.amdhsa_float_round_mode_32 0
		.amdhsa_float_round_mode_16_64 0
		.amdhsa_float_denorm_mode_32 3
		.amdhsa_float_denorm_mode_16_64 3
		.amdhsa_fp16_overflow 0
		.amdhsa_memory_ordered 1
		.amdhsa_forward_progress 1
		.amdhsa_inst_pref_size 20
		.amdhsa_round_robin_scheduling 0
		.amdhsa_exception_fp_ieee_invalid_op 0
		.amdhsa_exception_fp_denorm_src 0
		.amdhsa_exception_fp_ieee_div_zero 0
		.amdhsa_exception_fp_ieee_overflow 0
		.amdhsa_exception_fp_ieee_underflow 0
		.amdhsa_exception_fp_ieee_inexact 0
		.amdhsa_exception_int_div_zero 0
	.end_amdhsa_kernel
	.section	.text._ZN12_GLOBAL__N_127rocblas_gemm_batched_kernelIfLi16ELi16ELi32ELi32ELi8ELi32ELi8ELi8ELi32ELc84ELc78EK16rocblas_bfloat16S2_S1_EEvlllT_PT11_llS5_llS3_PT12_llPT13_lli,"axG",@progbits,_ZN12_GLOBAL__N_127rocblas_gemm_batched_kernelIfLi16ELi16ELi32ELi32ELi8ELi32ELi8ELi8ELi32ELc84ELc78EK16rocblas_bfloat16S2_S1_EEvlllT_PT11_llS5_llS3_PT12_llPT13_lli,comdat
.Lfunc_end428:
	.size	_ZN12_GLOBAL__N_127rocblas_gemm_batched_kernelIfLi16ELi16ELi32ELi32ELi8ELi32ELi8ELi8ELi32ELc84ELc78EK16rocblas_bfloat16S2_S1_EEvlllT_PT11_llS5_llS3_PT12_llPT13_lli, .Lfunc_end428-_ZN12_GLOBAL__N_127rocblas_gemm_batched_kernelIfLi16ELi16ELi32ELi32ELi8ELi32ELi8ELi8ELi32ELc84ELc78EK16rocblas_bfloat16S2_S1_EEvlllT_PT11_llS5_llS3_PT12_llPT13_lli
                                        ; -- End function
	.set _ZN12_GLOBAL__N_127rocblas_gemm_batched_kernelIfLi16ELi16ELi32ELi32ELi8ELi32ELi8ELi8ELi32ELc84ELc78EK16rocblas_bfloat16S2_S1_EEvlllT_PT11_llS5_llS3_PT12_llPT13_lli.num_vgpr, 52
	.set _ZN12_GLOBAL__N_127rocblas_gemm_batched_kernelIfLi16ELi16ELi32ELi32ELi8ELi32ELi8ELi8ELi32ELc84ELc78EK16rocblas_bfloat16S2_S1_EEvlllT_PT11_llS5_llS3_PT12_llPT13_lli.num_agpr, 0
	.set _ZN12_GLOBAL__N_127rocblas_gemm_batched_kernelIfLi16ELi16ELi32ELi32ELi8ELi32ELi8ELi8ELi32ELc84ELc78EK16rocblas_bfloat16S2_S1_EEvlllT_PT11_llS5_llS3_PT12_llPT13_lli.numbered_sgpr, 38
	.set _ZN12_GLOBAL__N_127rocblas_gemm_batched_kernelIfLi16ELi16ELi32ELi32ELi8ELi32ELi8ELi8ELi32ELc84ELc78EK16rocblas_bfloat16S2_S1_EEvlllT_PT11_llS5_llS3_PT12_llPT13_lli.num_named_barrier, 0
	.set _ZN12_GLOBAL__N_127rocblas_gemm_batched_kernelIfLi16ELi16ELi32ELi32ELi8ELi32ELi8ELi8ELi32ELc84ELc78EK16rocblas_bfloat16S2_S1_EEvlllT_PT11_llS5_llS3_PT12_llPT13_lli.private_seg_size, 0
	.set _ZN12_GLOBAL__N_127rocblas_gemm_batched_kernelIfLi16ELi16ELi32ELi32ELi8ELi32ELi8ELi8ELi32ELc84ELc78EK16rocblas_bfloat16S2_S1_EEvlllT_PT11_llS5_llS3_PT12_llPT13_lli.uses_vcc, 1
	.set _ZN12_GLOBAL__N_127rocblas_gemm_batched_kernelIfLi16ELi16ELi32ELi32ELi8ELi32ELi8ELi8ELi32ELc84ELc78EK16rocblas_bfloat16S2_S1_EEvlllT_PT11_llS5_llS3_PT12_llPT13_lli.uses_flat_scratch, 0
	.set _ZN12_GLOBAL__N_127rocblas_gemm_batched_kernelIfLi16ELi16ELi32ELi32ELi8ELi32ELi8ELi8ELi32ELc84ELc78EK16rocblas_bfloat16S2_S1_EEvlllT_PT11_llS5_llS3_PT12_llPT13_lli.has_dyn_sized_stack, 0
	.set _ZN12_GLOBAL__N_127rocblas_gemm_batched_kernelIfLi16ELi16ELi32ELi32ELi8ELi32ELi8ELi8ELi32ELc84ELc78EK16rocblas_bfloat16S2_S1_EEvlllT_PT11_llS5_llS3_PT12_llPT13_lli.has_recursion, 0
	.set _ZN12_GLOBAL__N_127rocblas_gemm_batched_kernelIfLi16ELi16ELi32ELi32ELi8ELi32ELi8ELi8ELi32ELc84ELc78EK16rocblas_bfloat16S2_S1_EEvlllT_PT11_llS5_llS3_PT12_llPT13_lli.has_indirect_call, 0
	.section	.AMDGPU.csdata,"",@progbits
; Kernel info:
; codeLenInByte = 2480
; TotalNumSgprs: 40
; NumVgprs: 52
; ScratchSize: 0
; MemoryBound: 0
; FloatMode: 240
; IeeeMode: 1
; LDSByteSize: 2048 bytes/workgroup (compile time only)
; SGPRBlocks: 0
; VGPRBlocks: 3
; NumSGPRsForWavesPerEU: 40
; NumVGPRsForWavesPerEU: 52
; NamedBarCnt: 0
; Occupancy: 16
; WaveLimiterHint : 0
; COMPUTE_PGM_RSRC2:SCRATCH_EN: 0
; COMPUTE_PGM_RSRC2:USER_SGPR: 2
; COMPUTE_PGM_RSRC2:TRAP_HANDLER: 0
; COMPUTE_PGM_RSRC2:TGID_X_EN: 1
; COMPUTE_PGM_RSRC2:TGID_Y_EN: 1
; COMPUTE_PGM_RSRC2:TGID_Z_EN: 1
; COMPUTE_PGM_RSRC2:TIDIG_COMP_CNT: 1
	.section	.text._ZN12_GLOBAL__N_127rocblas_gemm_batched_kernelIfLi16ELi16ELi32ELi32ELi8ELi32ELi8ELi8ELi32ELc78ELc84EK16rocblas_bfloat16S2_S1_EEvlllT_PT11_llS5_llS3_PT12_llPT13_lli,"axG",@progbits,_ZN12_GLOBAL__N_127rocblas_gemm_batched_kernelIfLi16ELi16ELi32ELi32ELi8ELi32ELi8ELi8ELi32ELc78ELc84EK16rocblas_bfloat16S2_S1_EEvlllT_PT11_llS5_llS3_PT12_llPT13_lli,comdat
	.globl	_ZN12_GLOBAL__N_127rocblas_gemm_batched_kernelIfLi16ELi16ELi32ELi32ELi8ELi32ELi8ELi8ELi32ELc78ELc84EK16rocblas_bfloat16S2_S1_EEvlllT_PT11_llS5_llS3_PT12_llPT13_lli ; -- Begin function _ZN12_GLOBAL__N_127rocblas_gemm_batched_kernelIfLi16ELi16ELi32ELi32ELi8ELi32ELi8ELi8ELi32ELc78ELc84EK16rocblas_bfloat16S2_S1_EEvlllT_PT11_llS5_llS3_PT12_llPT13_lli
	.p2align	8
	.type	_ZN12_GLOBAL__N_127rocblas_gemm_batched_kernelIfLi16ELi16ELi32ELi32ELi8ELi32ELi8ELi8ELi32ELc78ELc84EK16rocblas_bfloat16S2_S1_EEvlllT_PT11_llS5_llS3_PT12_llPT13_lli,@function
_ZN12_GLOBAL__N_127rocblas_gemm_batched_kernelIfLi16ELi16ELi32ELi32ELi8ELi32ELi8ELi8ELi32ELc78ELc84EK16rocblas_bfloat16S2_S1_EEvlllT_PT11_llS5_llS3_PT12_llPT13_lli: ; @_ZN12_GLOBAL__N_127rocblas_gemm_batched_kernelIfLi16ELi16ELi32ELi32ELi8ELi32ELi8ELi8ELi32ELc78ELc84EK16rocblas_bfloat16S2_S1_EEvlllT_PT11_llS5_llS3_PT12_llPT13_lli
; %bb.0:
	s_load_b32 s3, s[0:1], 0x88
	s_bfe_u32 s2, ttmp6, 0x40014
	s_lshr_b32 s4, ttmp7, 16
	s_add_co_i32 s2, s2, 1
	s_bfe_u32 s6, ttmp6, 0x40008
	s_mul_i32 s5, s4, s2
	s_getreg_b32 s2, hwreg(HW_REG_IB_STS2, 6, 4)
	s_add_co_i32 s6, s6, s5
	s_cmp_eq_u32 s2, 0
	s_mov_b32 s29, 0
	s_cselect_b32 s28, s4, s6
	s_wait_kmcnt 0x0
	s_cmp_ge_i32 s28, s3
	s_cbranch_scc1 .LBB429_58
; %bb.1:
	s_clause 0x3
	s_load_b256 s[12:19], s[0:1], 0x20
	s_load_b128 s[24:27], s[0:1], 0x40
	s_load_b128 s[20:23], s[0:1], 0x78
	s_load_b256 s[4:11], s[0:1], 0x58
	s_bfe_u32 s30, ttmp6, 0x4000c
	s_bfe_u32 s33, ttmp6, 0x40010
	s_add_co_i32 s30, s30, 1
	s_and_b32 s34, ttmp7, 0xffff
	s_add_co_i32 s33, s33, 1
	v_bfe_u32 v2, v0, 10, 10
	v_and_b32_e32 v4, 0x3ff, v0
	s_and_b32 s31, ttmp6, 15
	s_mul_i32 s30, ttmp9, s30
	s_mul_i32 s33, s34, s33
	s_bfe_u32 s35, ttmp6, 0x40004
	s_add_co_i32 s31, s31, s30
	s_add_co_i32 s35, s35, s33
	s_cmp_eq_u32 s2, 0
	v_lshl_add_u32 v1, v2, 4, v4
	v_mov_b32_e32 v3, 0
	s_cselect_b32 s2, s34, s35
	s_cselect_b32 s34, ttmp9, s31
	s_lshl_b32 s36, s2, 5
	s_mov_b32 s37, s29
	v_lshrrev_b32_e32 v18, 5, v1
	v_add_nc_u64_e32 v[6:7], s[36:37], v[2:3]
	v_dual_lshrrev_b32 v8, 3, v1 :: v_dual_bitop2_b32 v5, 7, v0 bitop3:0x40
	v_dual_mov_b32 v9, v3 :: v_dual_bitop2_b32 v16, 31, v1 bitop3:0x40
	s_ashr_i32 s35, s34, 31
	s_load_b32 s30, s[0:1], 0x50
	s_wait_kmcnt 0x0
	s_delay_alu instid0(VALU_DEP_3)
	v_mul_u64_e32 v[10:11], s[6:7], v[6:7]
	s_lshl_b64 s[34:35], s[34:35], 5
	v_mad_nc_u64_u32 v[12:13], s24, v5, v[8:9]
	v_mad_nc_u64_u32 v[14:15], s14, v18, s[34:35]
	v_mul_u64_e32 v[0:1], s[20:21], v[6:7]
	s_load_b96 s[0:2], s[0:1], 0x10
	v_dual_lshlrev_b32 v6, 2, v5 :: v_dual_lshlrev_b32 v7, 2, v16
	v_dual_mov_b32 v17, v3 :: v_dual_lshlrev_b32 v24, 2, v4
	v_lshl_add_u32 v25, v2, 5, 0x400
	s_delay_alu instid0(VALU_DEP_3) | instskip(NEXT) | instid1(VALU_DEP_4)
	v_lshl_or_b32 v6, v8, 5, v6
	v_lshl_or_b32 v22, v18, 7, v7
	v_mad_u32 v13, s25, v5, v13
	v_mad_u32 v15, s15, v18, v15
	v_mov_b32_e32 v5, v3
	v_add_nc_u32_e32 v23, 0x400, v6
	s_cmp_eq_f32 s30, 0
	s_delay_alu instid0(VALU_DEP_2)
	v_add_nc_u64_e32 v[2:3], s[34:35], v[4:5]
	s_cselect_b32 s31, -1, 0
	v_add_nc_u64_e32 v[6:7], s[36:37], v[12:13]
	v_add_nc_u64_e32 v[8:9], v[14:15], v[16:17]
	s_lshl_b64 s[20:21], s[20:21], 4
	s_lshl_b64 s[6:7], s[6:7], 4
	;; [unrolled: 1-line block ×4, first 2 shown]
	s_delay_alu instid0(VALU_DEP_2)
	v_lshl_add_u64 v[6:7], v[6:7], 1, s[18:19]
	v_lshl_add_u64 v[4:5], v[10:11], 1, s[4:5]
	s_lshl_b64 s[4:5], s[26:27], 1
	s_wait_kmcnt 0x0
	v_cmp_gt_i64_e64 s26, s[0:1], 0
	v_lshl_add_u64 v[8:9], v[8:9], 1, s[12:13]
	s_lshl_b64 s[12:13], s[24:25], 4
	s_branch .LBB429_4
.LBB429_2:                              ;   in Loop: Header=BB429_4 Depth=1
	s_or_b32 exec_lo, exec_lo, s18
	global_store_d16_hi_b16 v[14:15], v11, off offset:32
.LBB429_3:                              ;   in Loop: Header=BB429_4 Depth=1
	s_add_co_i32 s28, s28, 0x10000
	s_delay_alu instid0(SALU_CYCLE_1)
	s_cmp_lt_i32 s28, s3
	s_cbranch_scc0 .LBB429_58
.LBB429_4:                              ; =>This Loop Header: Depth=1
                                        ;     Child Loop BB429_6 Depth 2
	v_dual_mov_b32 v13, 0 :: v_dual_mov_b32 v12, 0
	s_wait_xcnt 0x0
	v_dual_mov_b32 v11, 0 :: v_dual_mov_b32 v10, 0
	s_and_not1_b32 vcc_lo, exec_lo, s26
	s_cbranch_vccnz .LBB429_7
; %bb.5:                                ;   in Loop: Header=BB429_4 Depth=1
	v_mad_nc_u64_u32 v[14:15], s4, s28, v[6:7]
	v_mad_nc_u64_u32 v[16:17], s16, s28, v[8:9]
	v_mov_b32_e32 v10, 0
	s_mov_b64 s[18:19], 0
	s_delay_alu instid0(VALU_DEP_1)
	v_dual_mov_b32 v11, v10 :: v_dual_mov_b32 v12, v10
	v_mov_b32_e32 v13, v10
	v_mad_u32 v15, s5, s28, v15
	v_mad_u32 v17, s17, s28, v17
.LBB429_6:                              ;   Parent Loop BB429_4 Depth=1
                                        ; =>  This Inner Loop Header: Depth=2
	global_load_u16 v18, v[16:17], off
	global_load_u16 v19, v[14:15], off
	s_add_nc_u64 s[18:19], s[18:19], 8
	s_wait_xcnt 0x0
	v_add_nc_u64_e32 v[14:15], s[12:13], v[14:15]
	v_cmp_lt_i64_e64 s24, s[18:19], s[0:1]
	v_add_nc_u64_e32 v[16:17], s[14:15], v[16:17]
	s_and_b32 vcc_lo, exec_lo, s24
	s_wait_loadcnt 0x0
	v_dual_lshlrev_b32 v18, 16, v18 :: v_dual_lshlrev_b32 v19, 16, v19
	ds_store_b32 v22, v18
	ds_store_b32 v23, v19
	s_wait_dscnt 0x0
	s_barrier_signal -1
	s_barrier_wait -1
	ds_load_b128 v[18:21], v25
	ds_load_2addr_b32 v[38:39], v24 offset1:16
	ds_load_b128 v[26:29], v25 offset:512
	ds_load_2addr_b32 v[40:41], v24 offset0:32 offset1:48
	ds_load_2addr_b32 v[42:43], v24 offset0:64 offset1:80
	ds_load_b128 v[30:33], v25 offset:16
	ds_load_2addr_b32 v[44:45], v24 offset0:96 offset1:112
	ds_load_2addr_b32 v[46:47], v24 offset0:128 offset1:144
	;; [unrolled: 3-line block ×3, first 2 shown]
	s_wait_dscnt 0x9
	v_pk_fma_f32 v[12:13], v[38:39], v[18:19], v[12:13] op_sel_hi:[1,0,1]
	s_wait_dscnt 0x8
	v_pk_fma_f32 v[10:11], v[38:39], v[26:27], v[10:11] op_sel_hi:[1,0,1]
	v_mov_b32_e32 v38, v21
	s_wait_dscnt 0x7
	v_pk_fma_f32 v[12:13], v[40:41], v[18:19], v[12:13] op_sel:[0,1,0]
	s_delay_alu instid0(VALU_DEP_3) | instskip(SKIP_2) | instid1(VALU_DEP_3)
	v_pk_fma_f32 v[10:11], v[40:41], v[26:27], v[10:11] op_sel:[0,1,0]
	s_wait_dscnt 0x2
	v_dual_mov_b32 v18, v29 :: v_dual_mov_b32 v26, v37
	v_pk_fma_f32 v[12:13], v[42:43], v[20:21], v[12:13] op_sel_hi:[1,0,1]
	s_delay_alu instid0(VALU_DEP_3)
	v_pk_fma_f32 v[10:11], v[42:43], v[28:29], v[10:11] op_sel_hi:[1,0,1]
	ds_load_2addr_b32 v[20:21], v24 offset0:224 offset1:240
	s_wait_dscnt 0x0
	s_barrier_signal -1
	v_pk_fma_f32 v[12:13], v[44:45], v[38:39], v[12:13] op_sel_hi:[1,0,1]
	v_pk_fma_f32 v[10:11], v[44:45], v[18:19], v[10:11] op_sel_hi:[1,0,1]
	v_mov_b32_e32 v18, v33
	s_barrier_wait -1
	s_delay_alu instid0(VALU_DEP_3) | instskip(NEXT) | instid1(VALU_DEP_3)
	v_pk_fma_f32 v[12:13], v[46:47], v[30:31], v[12:13] op_sel_hi:[1,0,1]
	v_pk_fma_f32 v[10:11], v[46:47], v[34:35], v[10:11] op_sel_hi:[1,0,1]
	s_delay_alu instid0(VALU_DEP_2) | instskip(NEXT) | instid1(VALU_DEP_2)
	v_pk_fma_f32 v[12:13], v[48:49], v[30:31], v[12:13] op_sel:[0,1,0]
	v_pk_fma_f32 v[10:11], v[48:49], v[34:35], v[10:11] op_sel:[0,1,0]
	s_delay_alu instid0(VALU_DEP_2) | instskip(NEXT) | instid1(VALU_DEP_2)
	v_pk_fma_f32 v[12:13], v[50:51], v[32:33], v[12:13] op_sel_hi:[1,0,1]
	v_pk_fma_f32 v[10:11], v[50:51], v[36:37], v[10:11] op_sel_hi:[1,0,1]
	s_delay_alu instid0(VALU_DEP_2) | instskip(NEXT) | instid1(VALU_DEP_2)
	v_pk_fma_f32 v[12:13], v[20:21], v[18:19], v[12:13] op_sel_hi:[1,0,1]
	v_pk_fma_f32 v[10:11], v[20:21], v[26:27], v[10:11] op_sel_hi:[1,0,1]
	s_cbranch_vccnz .LBB429_6
.LBB429_7:                              ;   in Loop: Header=BB429_4 Depth=1
	s_mul_u64 s[18:19], s[22:23], s[28:29]
	s_and_not1_b32 vcc_lo, exec_lo, s31
	s_lshl_b64 s[18:19], s[18:19], 1
	s_delay_alu instid0(SALU_CYCLE_1)
	s_add_nc_u64 s[18:19], s[10:11], s[18:19]
	s_cbranch_vccnz .LBB429_25
; %bb.8:                                ;   in Loop: Header=BB429_4 Depth=1
	v_mul_f32_e32 v14, s2, v12
	s_mov_b32 s24, exec_lo
                                        ; implicit-def: $vgpr18
	s_delay_alu instid0(VALU_DEP_1) | instskip(NEXT) | instid1(VALU_DEP_1)
	v_and_b32_e32 v15, 0x7f800000, v14
	v_cmpx_ne_u32_e32 0x7f800000, v15
	s_xor_b32 s24, exec_lo, s24
; %bb.9:                                ;   in Loop: Header=BB429_4 Depth=1
	v_bfe_u32 v15, v14, 16, 1
	s_delay_alu instid0(VALU_DEP_1)
	v_add3_u32 v18, v14, v15, 0x7fff
                                        ; implicit-def: $vgpr14
; %bb.10:                               ;   in Loop: Header=BB429_4 Depth=1
	s_and_not1_saveexec_b32 s24, s24
; %bb.11:                               ;   in Loop: Header=BB429_4 Depth=1
	v_and_b32_e32 v15, 0xffff, v14
	v_or_b32_e32 v16, 0x10000, v14
	s_delay_alu instid0(VALU_DEP_2) | instskip(NEXT) | instid1(VALU_DEP_2)
	v_cmp_eq_u32_e32 vcc_lo, 0, v15
	v_cndmask_b32_e32 v18, v16, v14, vcc_lo
; %bb.12:                               ;   in Loop: Header=BB429_4 Depth=1
	s_or_b32 exec_lo, exec_lo, s24
	v_mul_f32_e32 v19, s2, v13
	v_lshl_add_u64 v[14:15], v[0:1], 1, s[18:19]
	s_delay_alu instid0(VALU_DEP_2) | instskip(NEXT) | instid1(VALU_DEP_2)
	v_and_b32_e32 v20, 0x7f800000, v19
	v_lshl_add_u64 v[16:17], v[2:3], 1, v[14:15]
	s_delay_alu instid0(VALU_DEP_2) | instskip(SKIP_3) | instid1(SALU_CYCLE_1)
	v_cmp_ne_u32_e32 vcc_lo, 0x7f800000, v20
	global_store_d16_hi_b16 v[16:17], v18, off
                                        ; implicit-def: $vgpr20
	s_wait_xcnt 0x0
	s_and_saveexec_b32 s24, vcc_lo
	s_xor_b32 s24, exec_lo, s24
; %bb.13:                               ;   in Loop: Header=BB429_4 Depth=1
	v_bfe_u32 v18, v19, 16, 1
	s_delay_alu instid0(VALU_DEP_1)
	v_add3_u32 v20, v19, v18, 0x7fff
                                        ; implicit-def: $vgpr19
; %bb.14:                               ;   in Loop: Header=BB429_4 Depth=1
	s_and_not1_saveexec_b32 s24, s24
; %bb.15:                               ;   in Loop: Header=BB429_4 Depth=1
	v_and_b32_e32 v18, 0xffff, v19
	v_or_b32_e32 v20, 0x10000, v19
	s_delay_alu instid0(VALU_DEP_2) | instskip(NEXT) | instid1(VALU_DEP_2)
	v_cmp_eq_u32_e32 vcc_lo, 0, v18
	v_cndmask_b32_e32 v20, v20, v19, vcc_lo
; %bb.16:                               ;   in Loop: Header=BB429_4 Depth=1
	s_or_b32 exec_lo, exec_lo, s24
	v_mul_f32_e32 v18, s2, v10
	s_mov_b32 s24, exec_lo
	global_store_d16_hi_b16 v[16:17], v20, off offset:32
                                        ; implicit-def: $vgpr16
	v_and_b32_e32 v19, 0x7f800000, v18
	s_wait_xcnt 0x0
	s_delay_alu instid0(VALU_DEP_1)
	v_cmpx_ne_u32_e32 0x7f800000, v19
	s_xor_b32 s24, exec_lo, s24
; %bb.17:                               ;   in Loop: Header=BB429_4 Depth=1
	v_bfe_u32 v16, v18, 16, 1
	s_delay_alu instid0(VALU_DEP_1)
	v_add3_u32 v16, v18, v16, 0x7fff
                                        ; implicit-def: $vgpr18
; %bb.18:                               ;   in Loop: Header=BB429_4 Depth=1
	s_and_not1_saveexec_b32 s24, s24
; %bb.19:                               ;   in Loop: Header=BB429_4 Depth=1
	v_and_b32_e32 v16, 0xffff, v18
	v_or_b32_e32 v17, 0x10000, v18
	s_delay_alu instid0(VALU_DEP_2) | instskip(NEXT) | instid1(VALU_DEP_2)
	v_cmp_eq_u32_e32 vcc_lo, 0, v16
	v_cndmask_b32_e32 v16, v17, v18, vcc_lo
; %bb.20:                               ;   in Loop: Header=BB429_4 Depth=1
	s_or_b32 exec_lo, exec_lo, s24
	v_mul_f32_e32 v17, s2, v11
	v_lshl_add_u64 v[14:15], s[20:21], 1, v[14:15]
	s_mov_b32 s24, exec_lo
	s_delay_alu instid0(VALU_DEP_2) | instskip(NEXT) | instid1(VALU_DEP_2)
	v_and_b32_e32 v18, 0x7f800000, v17
	v_lshl_add_u64 v[14:15], v[2:3], 1, v[14:15]
	global_store_d16_hi_b16 v[14:15], v16, off
                                        ; implicit-def: $vgpr16
	s_wait_xcnt 0x0
	v_cmpx_ne_u32_e32 0x7f800000, v18
	s_xor_b32 s24, exec_lo, s24
; %bb.21:                               ;   in Loop: Header=BB429_4 Depth=1
	v_bfe_u32 v16, v17, 16, 1
	s_delay_alu instid0(VALU_DEP_1)
	v_add3_u32 v16, v17, v16, 0x7fff
                                        ; implicit-def: $vgpr17
; %bb.22:                               ;   in Loop: Header=BB429_4 Depth=1
	s_and_not1_saveexec_b32 s24, s24
; %bb.23:                               ;   in Loop: Header=BB429_4 Depth=1
	v_and_b32_e32 v16, 0xffff, v17
	v_or_b32_e32 v18, 0x10000, v17
	s_delay_alu instid0(VALU_DEP_2) | instskip(NEXT) | instid1(VALU_DEP_2)
	v_cmp_eq_u32_e32 vcc_lo, 0, v16
	v_cndmask_b32_e32 v16, v18, v17, vcc_lo
; %bb.24:                               ;   in Loop: Header=BB429_4 Depth=1
	s_or_b32 exec_lo, exec_lo, s24
	global_store_d16_hi_b16 v[14:15], v16, off offset:32
	s_branch .LBB429_3
.LBB429_25:                             ;   in Loop: Header=BB429_4 Depth=1
	s_cbranch_execz .LBB429_3
; %bb.26:                               ;   in Loop: Header=BB429_4 Depth=1
	s_mul_u64 s[24:25], s[8:9], s[28:29]
	s_wait_xcnt 0x0
	v_lshl_add_u64 v[14:15], s[24:25], 1, v[4:5]
	s_delay_alu instid0(VALU_DEP_1) | instskip(SKIP_3) | instid1(VALU_DEP_1)
	v_lshl_add_u64 v[18:19], v[2:3], 1, v[14:15]
	global_load_u16 v16, v[18:19], off
	s_wait_loadcnt 0x0
	v_lshlrev_b32_e32 v16, 16, v16
	v_mul_f32_e32 v16, s30, v16
	s_delay_alu instid0(VALU_DEP_1) | instskip(NEXT) | instid1(VALU_DEP_1)
	v_and_b32_e32 v17, 0x7f800000, v16
	v_cmp_ne_u32_e32 vcc_lo, 0x7f800000, v17
                                        ; implicit-def: $vgpr17
	s_wait_xcnt 0x0
	s_and_saveexec_b32 s24, vcc_lo
	s_delay_alu instid0(SALU_CYCLE_1)
	s_xor_b32 s24, exec_lo, s24
; %bb.27:                               ;   in Loop: Header=BB429_4 Depth=1
	v_bfe_u32 v17, v16, 16, 1
	s_delay_alu instid0(VALU_DEP_1)
	v_add3_u32 v17, v16, v17, 0x7fff
                                        ; implicit-def: $vgpr16
; %bb.28:                               ;   in Loop: Header=BB429_4 Depth=1
	s_and_not1_saveexec_b32 s24, s24
; %bb.29:                               ;   in Loop: Header=BB429_4 Depth=1
	v_and_b32_e32 v17, 0xffff, v16
	v_or_b32_e32 v20, 0x10000, v16
	s_delay_alu instid0(VALU_DEP_2) | instskip(NEXT) | instid1(VALU_DEP_2)
	v_cmp_eq_u32_e32 vcc_lo, 0, v17
	v_cndmask_b32_e32 v17, v20, v16, vcc_lo
; %bb.30:                               ;   in Loop: Header=BB429_4 Depth=1
	s_or_b32 exec_lo, exec_lo, s24
	s_delay_alu instid0(VALU_DEP_1) | instskip(SKIP_1) | instid1(VALU_DEP_1)
	v_fma_mix_f32_bf16 v12, s2, v12, v17 op_sel:[0,0,1] op_sel_hi:[0,0,1]
	s_mov_b32 s24, exec_lo
                                        ; implicit-def: $vgpr26
	v_and_b32_e32 v16, 0x7f800000, v12
	s_delay_alu instid0(VALU_DEP_1)
	v_cmpx_ne_u32_e32 0x7f800000, v16
	s_xor_b32 s24, exec_lo, s24
; %bb.31:                               ;   in Loop: Header=BB429_4 Depth=1
	v_bfe_u32 v16, v12, 16, 1
	s_delay_alu instid0(VALU_DEP_1)
	v_add3_u32 v26, v12, v16, 0x7fff
                                        ; implicit-def: $vgpr12
; %bb.32:                               ;   in Loop: Header=BB429_4 Depth=1
	s_and_not1_saveexec_b32 s24, s24
; %bb.33:                               ;   in Loop: Header=BB429_4 Depth=1
	v_and_b32_e32 v16, 0xffff, v12
	v_or_b32_e32 v17, 0x10000, v12
	s_delay_alu instid0(VALU_DEP_2) | instskip(NEXT) | instid1(VALU_DEP_2)
	v_cmp_eq_u32_e32 vcc_lo, 0, v16
	v_cndmask_b32_e32 v26, v17, v12, vcc_lo
; %bb.34:                               ;   in Loop: Header=BB429_4 Depth=1
	s_or_b32 exec_lo, exec_lo, s24
	v_lshl_add_u64 v[16:17], v[0:1], 1, s[18:19]
	s_delay_alu instid0(VALU_DEP_1) | instskip(SKIP_4) | instid1(VALU_DEP_1)
	v_lshl_add_u64 v[20:21], v[2:3], 1, v[16:17]
	global_store_d16_hi_b16 v[20:21], v26, off
	global_load_u16 v12, v[18:19], off offset:32
	s_wait_loadcnt 0x0
	v_lshlrev_b32_e32 v12, 16, v12
	v_mul_f32_e32 v12, s30, v12
	s_wait_xcnt 0x0
	s_delay_alu instid0(VALU_DEP_1) | instskip(NEXT) | instid1(VALU_DEP_1)
	v_and_b32_e32 v18, 0x7f800000, v12
	v_cmp_ne_u32_e32 vcc_lo, 0x7f800000, v18
                                        ; implicit-def: $vgpr18
	s_and_saveexec_b32 s18, vcc_lo
	s_delay_alu instid0(SALU_CYCLE_1)
	s_xor_b32 s18, exec_lo, s18
; %bb.35:                               ;   in Loop: Header=BB429_4 Depth=1
	v_bfe_u32 v18, v12, 16, 1
	s_delay_alu instid0(VALU_DEP_1)
	v_add3_u32 v18, v12, v18, 0x7fff
                                        ; implicit-def: $vgpr12
; %bb.36:                               ;   in Loop: Header=BB429_4 Depth=1
	s_and_not1_saveexec_b32 s18, s18
; %bb.37:                               ;   in Loop: Header=BB429_4 Depth=1
	v_and_b32_e32 v18, 0xffff, v12
	v_or_b32_e32 v19, 0x10000, v12
	s_delay_alu instid0(VALU_DEP_2) | instskip(NEXT) | instid1(VALU_DEP_2)
	v_cmp_eq_u32_e32 vcc_lo, 0, v18
	v_cndmask_b32_e32 v18, v19, v12, vcc_lo
; %bb.38:                               ;   in Loop: Header=BB429_4 Depth=1
	s_or_b32 exec_lo, exec_lo, s18
	s_delay_alu instid0(VALU_DEP_1) | instskip(SKIP_1) | instid1(VALU_DEP_1)
	v_fma_mix_f32_bf16 v12, s2, v13, v18 op_sel:[0,0,1] op_sel_hi:[0,0,1]
	s_mov_b32 s18, exec_lo
                                        ; implicit-def: $vgpr18
	v_and_b32_e32 v13, 0x7f800000, v12
	s_delay_alu instid0(VALU_DEP_1)
	v_cmpx_ne_u32_e32 0x7f800000, v13
	s_xor_b32 s18, exec_lo, s18
; %bb.39:                               ;   in Loop: Header=BB429_4 Depth=1
	v_bfe_u32 v13, v12, 16, 1
	s_delay_alu instid0(VALU_DEP_1)
	v_add3_u32 v18, v12, v13, 0x7fff
                                        ; implicit-def: $vgpr12
; %bb.40:                               ;   in Loop: Header=BB429_4 Depth=1
	s_and_not1_saveexec_b32 s18, s18
; %bb.41:                               ;   in Loop: Header=BB429_4 Depth=1
	v_and_b32_e32 v13, 0xffff, v12
	v_or_b32_e32 v18, 0x10000, v12
	s_delay_alu instid0(VALU_DEP_2) | instskip(NEXT) | instid1(VALU_DEP_2)
	v_cmp_eq_u32_e32 vcc_lo, 0, v13
	v_cndmask_b32_e32 v18, v18, v12, vcc_lo
; %bb.42:                               ;   in Loop: Header=BB429_4 Depth=1
	s_or_b32 exec_lo, exec_lo, s18
	v_lshl_add_u64 v[12:13], s[6:7], 1, v[14:15]
	global_store_d16_hi_b16 v[20:21], v18, off offset:32
	v_lshl_add_u64 v[12:13], v[2:3], 1, v[12:13]
	global_load_u16 v14, v[12:13], off
	s_wait_loadcnt 0x0
	v_lshlrev_b32_e32 v14, 16, v14
	s_delay_alu instid0(VALU_DEP_1) | instskip(NEXT) | instid1(VALU_DEP_1)
	v_mul_f32_e32 v14, s30, v14
	v_and_b32_e32 v15, 0x7f800000, v14
	s_delay_alu instid0(VALU_DEP_1) | instskip(SKIP_2) | instid1(SALU_CYCLE_1)
	v_cmp_ne_u32_e32 vcc_lo, 0x7f800000, v15
                                        ; implicit-def: $vgpr15
	s_wait_xcnt 0x0
	s_and_saveexec_b32 s18, vcc_lo
	s_xor_b32 s18, exec_lo, s18
; %bb.43:                               ;   in Loop: Header=BB429_4 Depth=1
	v_bfe_u32 v15, v14, 16, 1
	s_delay_alu instid0(VALU_DEP_1)
	v_add3_u32 v15, v14, v15, 0x7fff
                                        ; implicit-def: $vgpr14
; %bb.44:                               ;   in Loop: Header=BB429_4 Depth=1
	s_and_not1_saveexec_b32 s18, s18
; %bb.45:                               ;   in Loop: Header=BB429_4 Depth=1
	v_and_b32_e32 v15, 0xffff, v14
	v_or_b32_e32 v18, 0x10000, v14
	s_delay_alu instid0(VALU_DEP_2) | instskip(NEXT) | instid1(VALU_DEP_2)
	v_cmp_eq_u32_e32 vcc_lo, 0, v15
	v_cndmask_b32_e32 v15, v18, v14, vcc_lo
; %bb.46:                               ;   in Loop: Header=BB429_4 Depth=1
	s_or_b32 exec_lo, exec_lo, s18
	s_delay_alu instid0(VALU_DEP_1) | instskip(SKIP_1) | instid1(VALU_DEP_1)
	v_fma_mix_f32_bf16 v10, s2, v10, v15 op_sel:[0,0,1] op_sel_hi:[0,0,1]
	s_mov_b32 s18, exec_lo
                                        ; implicit-def: $vgpr18
	v_and_b32_e32 v14, 0x7f800000, v10
	s_delay_alu instid0(VALU_DEP_1)
	v_cmpx_ne_u32_e32 0x7f800000, v14
	s_xor_b32 s18, exec_lo, s18
; %bb.47:                               ;   in Loop: Header=BB429_4 Depth=1
	v_bfe_u32 v14, v10, 16, 1
	s_delay_alu instid0(VALU_DEP_1)
	v_add3_u32 v18, v10, v14, 0x7fff
                                        ; implicit-def: $vgpr10
; %bb.48:                               ;   in Loop: Header=BB429_4 Depth=1
	s_and_not1_saveexec_b32 s18, s18
; %bb.49:                               ;   in Loop: Header=BB429_4 Depth=1
	v_and_b32_e32 v14, 0xffff, v10
	v_or_b32_e32 v15, 0x10000, v10
	s_delay_alu instid0(VALU_DEP_2) | instskip(NEXT) | instid1(VALU_DEP_2)
	v_cmp_eq_u32_e32 vcc_lo, 0, v14
	v_cndmask_b32_e32 v18, v15, v10, vcc_lo
; %bb.50:                               ;   in Loop: Header=BB429_4 Depth=1
	s_or_b32 exec_lo, exec_lo, s18
	v_lshl_add_u64 v[14:15], s[20:21], 1, v[16:17]
	s_delay_alu instid0(VALU_DEP_1) | instskip(SKIP_4) | instid1(VALU_DEP_1)
	v_lshl_add_u64 v[14:15], v[2:3], 1, v[14:15]
	global_store_d16_hi_b16 v[14:15], v18, off
	global_load_u16 v10, v[12:13], off offset:32
	s_wait_loadcnt 0x0
	v_lshlrev_b32_e32 v10, 16, v10
	v_mul_f32_e32 v10, s30, v10
	s_wait_xcnt 0x0
	s_delay_alu instid0(VALU_DEP_1) | instskip(NEXT) | instid1(VALU_DEP_1)
	v_and_b32_e32 v12, 0x7f800000, v10
	v_cmp_ne_u32_e32 vcc_lo, 0x7f800000, v12
                                        ; implicit-def: $vgpr12
	s_and_saveexec_b32 s18, vcc_lo
	s_delay_alu instid0(SALU_CYCLE_1)
	s_xor_b32 s18, exec_lo, s18
; %bb.51:                               ;   in Loop: Header=BB429_4 Depth=1
	v_bfe_u32 v12, v10, 16, 1
	s_delay_alu instid0(VALU_DEP_1)
	v_add3_u32 v12, v10, v12, 0x7fff
                                        ; implicit-def: $vgpr10
; %bb.52:                               ;   in Loop: Header=BB429_4 Depth=1
	s_and_not1_saveexec_b32 s18, s18
; %bb.53:                               ;   in Loop: Header=BB429_4 Depth=1
	v_and_b32_e32 v12, 0xffff, v10
	v_or_b32_e32 v13, 0x10000, v10
	s_delay_alu instid0(VALU_DEP_2) | instskip(NEXT) | instid1(VALU_DEP_2)
	v_cmp_eq_u32_e32 vcc_lo, 0, v12
	v_cndmask_b32_e32 v12, v13, v10, vcc_lo
; %bb.54:                               ;   in Loop: Header=BB429_4 Depth=1
	s_or_b32 exec_lo, exec_lo, s18
	s_delay_alu instid0(VALU_DEP_1) | instskip(NEXT) | instid1(VALU_DEP_1)
	v_fma_mix_f32_bf16 v10, s2, v11, v12 op_sel:[0,0,1] op_sel_hi:[0,0,1]
	v_and_b32_e32 v11, 0x7f800000, v10
	s_delay_alu instid0(VALU_DEP_1) | instskip(SKIP_1) | instid1(SALU_CYCLE_1)
	v_cmp_ne_u32_e32 vcc_lo, 0x7f800000, v11
                                        ; implicit-def: $vgpr11
	s_and_saveexec_b32 s18, vcc_lo
	s_xor_b32 s18, exec_lo, s18
; %bb.55:                               ;   in Loop: Header=BB429_4 Depth=1
	v_bfe_u32 v11, v10, 16, 1
	s_delay_alu instid0(VALU_DEP_1)
	v_add3_u32 v11, v10, v11, 0x7fff
                                        ; implicit-def: $vgpr10
; %bb.56:                               ;   in Loop: Header=BB429_4 Depth=1
	s_and_not1_saveexec_b32 s18, s18
	s_cbranch_execz .LBB429_2
; %bb.57:                               ;   in Loop: Header=BB429_4 Depth=1
	v_and_b32_e32 v11, 0xffff, v10
	v_or_b32_e32 v12, 0x10000, v10
	s_delay_alu instid0(VALU_DEP_2) | instskip(NEXT) | instid1(VALU_DEP_2)
	v_cmp_eq_u32_e32 vcc_lo, 0, v11
	v_cndmask_b32_e32 v11, v12, v10, vcc_lo
	s_branch .LBB429_2
.LBB429_58:
	s_endpgm
	.section	.rodata,"a",@progbits
	.p2align	6, 0x0
	.amdhsa_kernel _ZN12_GLOBAL__N_127rocblas_gemm_batched_kernelIfLi16ELi16ELi32ELi32ELi8ELi32ELi8ELi8ELi32ELc78ELc84EK16rocblas_bfloat16S2_S1_EEvlllT_PT11_llS5_llS3_PT12_llPT13_lli
		.amdhsa_group_segment_fixed_size 2048
		.amdhsa_private_segment_fixed_size 0
		.amdhsa_kernarg_size 140
		.amdhsa_user_sgpr_count 2
		.amdhsa_user_sgpr_dispatch_ptr 0
		.amdhsa_user_sgpr_queue_ptr 0
		.amdhsa_user_sgpr_kernarg_segment_ptr 1
		.amdhsa_user_sgpr_dispatch_id 0
		.amdhsa_user_sgpr_kernarg_preload_length 0
		.amdhsa_user_sgpr_kernarg_preload_offset 0
		.amdhsa_user_sgpr_private_segment_size 0
		.amdhsa_wavefront_size32 1
		.amdhsa_uses_dynamic_stack 0
		.amdhsa_enable_private_segment 0
		.amdhsa_system_sgpr_workgroup_id_x 1
		.amdhsa_system_sgpr_workgroup_id_y 1
		.amdhsa_system_sgpr_workgroup_id_z 1
		.amdhsa_system_sgpr_workgroup_info 0
		.amdhsa_system_vgpr_workitem_id 1
		.amdhsa_next_free_vgpr 52
		.amdhsa_next_free_sgpr 38
		.amdhsa_named_barrier_count 0
		.amdhsa_reserve_vcc 1
		.amdhsa_float_round_mode_32 0
		.amdhsa_float_round_mode_16_64 0
		.amdhsa_float_denorm_mode_32 3
		.amdhsa_float_denorm_mode_16_64 3
		.amdhsa_fp16_overflow 0
		.amdhsa_memory_ordered 1
		.amdhsa_forward_progress 1
		.amdhsa_inst_pref_size 20
		.amdhsa_round_robin_scheduling 0
		.amdhsa_exception_fp_ieee_invalid_op 0
		.amdhsa_exception_fp_denorm_src 0
		.amdhsa_exception_fp_ieee_div_zero 0
		.amdhsa_exception_fp_ieee_overflow 0
		.amdhsa_exception_fp_ieee_underflow 0
		.amdhsa_exception_fp_ieee_inexact 0
		.amdhsa_exception_int_div_zero 0
	.end_amdhsa_kernel
	.section	.text._ZN12_GLOBAL__N_127rocblas_gemm_batched_kernelIfLi16ELi16ELi32ELi32ELi8ELi32ELi8ELi8ELi32ELc78ELc84EK16rocblas_bfloat16S2_S1_EEvlllT_PT11_llS5_llS3_PT12_llPT13_lli,"axG",@progbits,_ZN12_GLOBAL__N_127rocblas_gemm_batched_kernelIfLi16ELi16ELi32ELi32ELi8ELi32ELi8ELi8ELi32ELc78ELc84EK16rocblas_bfloat16S2_S1_EEvlllT_PT11_llS5_llS3_PT12_llPT13_lli,comdat
.Lfunc_end429:
	.size	_ZN12_GLOBAL__N_127rocblas_gemm_batched_kernelIfLi16ELi16ELi32ELi32ELi8ELi32ELi8ELi8ELi32ELc78ELc84EK16rocblas_bfloat16S2_S1_EEvlllT_PT11_llS5_llS3_PT12_llPT13_lli, .Lfunc_end429-_ZN12_GLOBAL__N_127rocblas_gemm_batched_kernelIfLi16ELi16ELi32ELi32ELi8ELi32ELi8ELi8ELi32ELc78ELc84EK16rocblas_bfloat16S2_S1_EEvlllT_PT11_llS5_llS3_PT12_llPT13_lli
                                        ; -- End function
	.set _ZN12_GLOBAL__N_127rocblas_gemm_batched_kernelIfLi16ELi16ELi32ELi32ELi8ELi32ELi8ELi8ELi32ELc78ELc84EK16rocblas_bfloat16S2_S1_EEvlllT_PT11_llS5_llS3_PT12_llPT13_lli.num_vgpr, 52
	.set _ZN12_GLOBAL__N_127rocblas_gemm_batched_kernelIfLi16ELi16ELi32ELi32ELi8ELi32ELi8ELi8ELi32ELc78ELc84EK16rocblas_bfloat16S2_S1_EEvlllT_PT11_llS5_llS3_PT12_llPT13_lli.num_agpr, 0
	.set _ZN12_GLOBAL__N_127rocblas_gemm_batched_kernelIfLi16ELi16ELi32ELi32ELi8ELi32ELi8ELi8ELi32ELc78ELc84EK16rocblas_bfloat16S2_S1_EEvlllT_PT11_llS5_llS3_PT12_llPT13_lli.numbered_sgpr, 38
	.set _ZN12_GLOBAL__N_127rocblas_gemm_batched_kernelIfLi16ELi16ELi32ELi32ELi8ELi32ELi8ELi8ELi32ELc78ELc84EK16rocblas_bfloat16S2_S1_EEvlllT_PT11_llS5_llS3_PT12_llPT13_lli.num_named_barrier, 0
	.set _ZN12_GLOBAL__N_127rocblas_gemm_batched_kernelIfLi16ELi16ELi32ELi32ELi8ELi32ELi8ELi8ELi32ELc78ELc84EK16rocblas_bfloat16S2_S1_EEvlllT_PT11_llS5_llS3_PT12_llPT13_lli.private_seg_size, 0
	.set _ZN12_GLOBAL__N_127rocblas_gemm_batched_kernelIfLi16ELi16ELi32ELi32ELi8ELi32ELi8ELi8ELi32ELc78ELc84EK16rocblas_bfloat16S2_S1_EEvlllT_PT11_llS5_llS3_PT12_llPT13_lli.uses_vcc, 1
	.set _ZN12_GLOBAL__N_127rocblas_gemm_batched_kernelIfLi16ELi16ELi32ELi32ELi8ELi32ELi8ELi8ELi32ELc78ELc84EK16rocblas_bfloat16S2_S1_EEvlllT_PT11_llS5_llS3_PT12_llPT13_lli.uses_flat_scratch, 0
	.set _ZN12_GLOBAL__N_127rocblas_gemm_batched_kernelIfLi16ELi16ELi32ELi32ELi8ELi32ELi8ELi8ELi32ELc78ELc84EK16rocblas_bfloat16S2_S1_EEvlllT_PT11_llS5_llS3_PT12_llPT13_lli.has_dyn_sized_stack, 0
	.set _ZN12_GLOBAL__N_127rocblas_gemm_batched_kernelIfLi16ELi16ELi32ELi32ELi8ELi32ELi8ELi8ELi32ELc78ELc84EK16rocblas_bfloat16S2_S1_EEvlllT_PT11_llS5_llS3_PT12_llPT13_lli.has_recursion, 0
	.set _ZN12_GLOBAL__N_127rocblas_gemm_batched_kernelIfLi16ELi16ELi32ELi32ELi8ELi32ELi8ELi8ELi32ELc78ELc84EK16rocblas_bfloat16S2_S1_EEvlllT_PT11_llS5_llS3_PT12_llPT13_lli.has_indirect_call, 0
	.section	.AMDGPU.csdata,"",@progbits
; Kernel info:
; codeLenInByte = 2492
; TotalNumSgprs: 40
; NumVgprs: 52
; ScratchSize: 0
; MemoryBound: 0
; FloatMode: 240
; IeeeMode: 1
; LDSByteSize: 2048 bytes/workgroup (compile time only)
; SGPRBlocks: 0
; VGPRBlocks: 3
; NumSGPRsForWavesPerEU: 40
; NumVGPRsForWavesPerEU: 52
; NamedBarCnt: 0
; Occupancy: 16
; WaveLimiterHint : 0
; COMPUTE_PGM_RSRC2:SCRATCH_EN: 0
; COMPUTE_PGM_RSRC2:USER_SGPR: 2
; COMPUTE_PGM_RSRC2:TRAP_HANDLER: 0
; COMPUTE_PGM_RSRC2:TGID_X_EN: 1
; COMPUTE_PGM_RSRC2:TGID_Y_EN: 1
; COMPUTE_PGM_RSRC2:TGID_Z_EN: 1
; COMPUTE_PGM_RSRC2:TIDIG_COMP_CNT: 1
	.section	.text._ZN12_GLOBAL__N_127rocblas_gemm_batched_kernelIfLi16ELi16ELi32ELi32ELi8ELi32ELi8ELi8ELi32ELc84ELc84EK16rocblas_bfloat16S2_S1_EEvlllT_PT11_llS5_llS3_PT12_llPT13_lli,"axG",@progbits,_ZN12_GLOBAL__N_127rocblas_gemm_batched_kernelIfLi16ELi16ELi32ELi32ELi8ELi32ELi8ELi8ELi32ELc84ELc84EK16rocblas_bfloat16S2_S1_EEvlllT_PT11_llS5_llS3_PT12_llPT13_lli,comdat
	.globl	_ZN12_GLOBAL__N_127rocblas_gemm_batched_kernelIfLi16ELi16ELi32ELi32ELi8ELi32ELi8ELi8ELi32ELc84ELc84EK16rocblas_bfloat16S2_S1_EEvlllT_PT11_llS5_llS3_PT12_llPT13_lli ; -- Begin function _ZN12_GLOBAL__N_127rocblas_gemm_batched_kernelIfLi16ELi16ELi32ELi32ELi8ELi32ELi8ELi8ELi32ELc84ELc84EK16rocblas_bfloat16S2_S1_EEvlllT_PT11_llS5_llS3_PT12_llPT13_lli
	.p2align	8
	.type	_ZN12_GLOBAL__N_127rocblas_gemm_batched_kernelIfLi16ELi16ELi32ELi32ELi8ELi32ELi8ELi8ELi32ELc84ELc84EK16rocblas_bfloat16S2_S1_EEvlllT_PT11_llS5_llS3_PT12_llPT13_lli,@function
_ZN12_GLOBAL__N_127rocblas_gemm_batched_kernelIfLi16ELi16ELi32ELi32ELi8ELi32ELi8ELi8ELi32ELc84ELc84EK16rocblas_bfloat16S2_S1_EEvlllT_PT11_llS5_llS3_PT12_llPT13_lli: ; @_ZN12_GLOBAL__N_127rocblas_gemm_batched_kernelIfLi16ELi16ELi32ELi32ELi8ELi32ELi8ELi8ELi32ELc84ELc84EK16rocblas_bfloat16S2_S1_EEvlllT_PT11_llS5_llS3_PT12_llPT13_lli
; %bb.0:
	s_load_b32 s3, s[0:1], 0x88
	s_bfe_u32 s2, ttmp6, 0x40014
	s_lshr_b32 s4, ttmp7, 16
	s_add_co_i32 s2, s2, 1
	s_bfe_u32 s6, ttmp6, 0x40008
	s_mul_i32 s5, s4, s2
	s_getreg_b32 s2, hwreg(HW_REG_IB_STS2, 6, 4)
	s_add_co_i32 s6, s6, s5
	s_cmp_eq_u32 s2, 0
	s_mov_b32 s29, 0
	s_cselect_b32 s28, s4, s6
	s_wait_kmcnt 0x0
	s_cmp_ge_i32 s28, s3
	s_cbranch_scc1 .LBB430_58
; %bb.1:
	v_bfe_u32 v4, v0, 10, 10
	v_and_b32_e32 v2, 0x3ff, v0
	s_bfe_u32 s30, ttmp6, 0x4000c
	s_bfe_u32 s33, ttmp6, 0x40010
	s_add_co_i32 s30, s30, 1
	s_and_b32 s34, ttmp7, 0xffff
	s_add_co_i32 s33, s33, 1
	s_clause 0x3
	s_load_b256 s[12:19], s[0:1], 0x20
	s_load_b128 s[24:27], s[0:1], 0x40
	s_load_b128 s[20:23], s[0:1], 0x78
	s_load_b256 s[4:11], s[0:1], 0x58
	s_and_b32 s31, ttmp6, 15
	s_mul_i32 s30, ttmp9, s30
	s_mul_i32 s33, s34, s33
	s_bfe_u32 s35, ttmp6, 0x40004
	v_lshl_add_u32 v3, v4, 4, v2
	s_add_co_i32 s31, s31, s30
	s_add_co_i32 s35, s35, s33
	s_cmp_eq_u32 s2, 0
	s_delay_alu instid0(VALU_DEP_1)
	v_dual_mov_b32 v5, 0 :: v_dual_bitop2_b32 v16, 31, v3 bitop3:0x40
	s_cselect_b32 s30, ttmp9, s31
	s_cselect_b32 s2, s34, s35
	s_ashr_i32 s31, s30, 31
	s_lshl_b32 s36, s2, 5
	s_lshl_b64 s[34:35], s[30:31], 5
	s_mov_b32 s37, s29
	v_dual_mov_b32 v7, s35 :: v_dual_bitop2_b32 v6, s34, v16 bitop3:0x54
	v_add_nc_u64_e32 v[8:9], s[36:37], v[4:5]
	v_dual_lshrrev_b32 v10, 3, v3 :: v_dual_bitop2_b32 v17, 7, v0 bitop3:0x40
	v_mov_b32_e32 v11, v5
	s_wait_kmcnt 0x0
	v_mul_u64_e32 v[6:7], s[14:15], v[6:7]
	s_load_b32 s30, s[0:1], 0x50
	v_lshl_add_u32 v24, v4, 5, 0x400
	v_mul_u64_e32 v[12:13], s[6:7], v[8:9]
	v_mul_u64_e32 v[0:1], s[20:21], v[8:9]
	v_lshlrev_b32_e32 v8, 2, v17
	v_mad_nc_u64_u32 v[14:15], s24, v17, v[10:11]
	s_wait_xcnt 0x0
	s_load_b96 s[0:2], s[0:1], 0x10
	v_dual_lshrrev_b32 v9, 5, v3 :: v_dual_lshlrev_b32 v11, 2, v16
	v_lshl_or_b32 v8, v10, 5, v8
	v_dual_mov_b32 v3, v5 :: v_dual_lshlrev_b32 v25, 2, v2
	s_delay_alu instid0(VALU_DEP_3) | instskip(NEXT) | instid1(VALU_DEP_4)
	v_lshlrev_b32_e32 v4, 1, v9
	v_lshl_or_b32 v22, v9, 7, v11
	s_delay_alu instid0(VALU_DEP_4) | instskip(NEXT) | instid1(VALU_DEP_4)
	v_add_nc_u32_e32 v23, 0x400, v8
	v_add_nc_u64_e32 v[2:3], s[34:35], v[2:3]
	v_mad_u32 v15, s25, v17, v15
	s_wait_kmcnt 0x0
	s_cmp_eq_f32 s30, 0
	s_cselect_b32 s31, -1, 0
	s_lshl_b64 s[14:15], s[20:21], 4
	v_cmp_gt_i64_e64 s20, s[0:1], 0
	s_delay_alu instid0(VALU_DEP_2) | instskip(SKIP_3) | instid1(VALU_DEP_2)
	v_add_nc_u64_e32 v[8:9], s[36:37], v[14:15]
	s_lshl_b64 s[6:7], s[6:7], 4
	s_lshl_b64 s[16:17], s[16:17], 1
	v_lshl_add_u64 v[10:11], v[6:7], 1, v[4:5]
	v_lshl_add_u64 v[6:7], v[8:9], 1, s[18:19]
	;; [unrolled: 1-line block ×3, first 2 shown]
	s_delay_alu instid0(VALU_DEP_3)
	v_add_nc_u64_e32 v[8:9], s[12:13], v[10:11]
	s_lshl_b64 s[4:5], s[26:27], 1
	s_lshl_b64 s[12:13], s[24:25], 4
	s_branch .LBB430_4
.LBB430_2:                              ;   in Loop: Header=BB430_4 Depth=1
	s_or_b32 exec_lo, exec_lo, s18
	global_store_d16_hi_b16 v[14:15], v11, off offset:32
.LBB430_3:                              ;   in Loop: Header=BB430_4 Depth=1
	s_add_co_i32 s28, s28, 0x10000
	s_delay_alu instid0(SALU_CYCLE_1)
	s_cmp_lt_i32 s28, s3
	s_cbranch_scc0 .LBB430_58
.LBB430_4:                              ; =>This Loop Header: Depth=1
                                        ;     Child Loop BB430_6 Depth 2
	v_dual_mov_b32 v13, 0 :: v_dual_mov_b32 v12, 0
	s_wait_xcnt 0x0
	v_dual_mov_b32 v11, 0 :: v_dual_mov_b32 v10, 0
	s_and_not1_b32 vcc_lo, exec_lo, s20
	s_cbranch_vccnz .LBB430_7
; %bb.5:                                ;   in Loop: Header=BB430_4 Depth=1
	v_mad_nc_u64_u32 v[14:15], s4, s28, v[6:7]
	v_mad_nc_u64_u32 v[16:17], s16, s28, v[8:9]
	v_mov_b32_e32 v10, 0
	s_mov_b64 s[18:19], 0
	s_delay_alu instid0(VALU_DEP_1)
	v_dual_mov_b32 v11, v10 :: v_dual_mov_b32 v12, v10
	v_mov_b32_e32 v13, v10
	v_mad_u32 v15, s5, s28, v15
	v_mad_u32 v17, s17, s28, v17
.LBB430_6:                              ;   Parent Loop BB430_4 Depth=1
                                        ; =>  This Inner Loop Header: Depth=2
	global_load_u16 v18, v[16:17], off
	global_load_u16 v19, v[14:15], off
	s_add_nc_u64 s[18:19], s[18:19], 8
	s_wait_xcnt 0x0
	v_add_nc_u64_e32 v[14:15], s[12:13], v[14:15]
	v_cmp_lt_i64_e64 s21, s[18:19], s[0:1]
	v_add_nc_u64_e32 v[16:17], 16, v[16:17]
	s_and_b32 vcc_lo, exec_lo, s21
	s_wait_loadcnt 0x0
	v_dual_lshlrev_b32 v18, 16, v18 :: v_dual_lshlrev_b32 v19, 16, v19
	ds_store_b32 v22, v18
	ds_store_b32 v23, v19
	s_wait_dscnt 0x0
	s_barrier_signal -1
	s_barrier_wait -1
	ds_load_b128 v[18:21], v24
	ds_load_2addr_b32 v[38:39], v25 offset1:16
	ds_load_b128 v[26:29], v24 offset:512
	ds_load_2addr_b32 v[40:41], v25 offset0:32 offset1:48
	ds_load_2addr_b32 v[42:43], v25 offset0:64 offset1:80
	ds_load_b128 v[30:33], v24 offset:16
	ds_load_2addr_b32 v[44:45], v25 offset0:96 offset1:112
	ds_load_2addr_b32 v[46:47], v25 offset0:128 offset1:144
	;; [unrolled: 3-line block ×3, first 2 shown]
	s_wait_dscnt 0x9
	v_pk_fma_f32 v[12:13], v[38:39], v[18:19], v[12:13] op_sel_hi:[1,0,1]
	s_wait_dscnt 0x8
	v_pk_fma_f32 v[10:11], v[38:39], v[26:27], v[10:11] op_sel_hi:[1,0,1]
	v_mov_b32_e32 v38, v21
	s_wait_dscnt 0x7
	v_pk_fma_f32 v[12:13], v[40:41], v[18:19], v[12:13] op_sel:[0,1,0]
	s_delay_alu instid0(VALU_DEP_3) | instskip(SKIP_2) | instid1(VALU_DEP_3)
	v_pk_fma_f32 v[10:11], v[40:41], v[26:27], v[10:11] op_sel:[0,1,0]
	s_wait_dscnt 0x2
	v_dual_mov_b32 v18, v29 :: v_dual_mov_b32 v26, v37
	v_pk_fma_f32 v[12:13], v[42:43], v[20:21], v[12:13] op_sel_hi:[1,0,1]
	s_delay_alu instid0(VALU_DEP_3)
	v_pk_fma_f32 v[10:11], v[42:43], v[28:29], v[10:11] op_sel_hi:[1,0,1]
	ds_load_2addr_b32 v[20:21], v25 offset0:224 offset1:240
	s_wait_dscnt 0x0
	s_barrier_signal -1
	v_pk_fma_f32 v[12:13], v[44:45], v[38:39], v[12:13] op_sel_hi:[1,0,1]
	v_pk_fma_f32 v[10:11], v[44:45], v[18:19], v[10:11] op_sel_hi:[1,0,1]
	v_mov_b32_e32 v18, v33
	s_barrier_wait -1
	s_delay_alu instid0(VALU_DEP_3) | instskip(NEXT) | instid1(VALU_DEP_3)
	v_pk_fma_f32 v[12:13], v[46:47], v[30:31], v[12:13] op_sel_hi:[1,0,1]
	v_pk_fma_f32 v[10:11], v[46:47], v[34:35], v[10:11] op_sel_hi:[1,0,1]
	s_delay_alu instid0(VALU_DEP_2) | instskip(NEXT) | instid1(VALU_DEP_2)
	v_pk_fma_f32 v[12:13], v[48:49], v[30:31], v[12:13] op_sel:[0,1,0]
	v_pk_fma_f32 v[10:11], v[48:49], v[34:35], v[10:11] op_sel:[0,1,0]
	s_delay_alu instid0(VALU_DEP_2) | instskip(NEXT) | instid1(VALU_DEP_2)
	v_pk_fma_f32 v[12:13], v[50:51], v[32:33], v[12:13] op_sel_hi:[1,0,1]
	v_pk_fma_f32 v[10:11], v[50:51], v[36:37], v[10:11] op_sel_hi:[1,0,1]
	s_delay_alu instid0(VALU_DEP_2) | instskip(NEXT) | instid1(VALU_DEP_2)
	v_pk_fma_f32 v[12:13], v[20:21], v[18:19], v[12:13] op_sel_hi:[1,0,1]
	v_pk_fma_f32 v[10:11], v[20:21], v[26:27], v[10:11] op_sel_hi:[1,0,1]
	s_cbranch_vccnz .LBB430_6
.LBB430_7:                              ;   in Loop: Header=BB430_4 Depth=1
	s_mul_u64 s[18:19], s[22:23], s[28:29]
	s_and_not1_b32 vcc_lo, exec_lo, s31
	s_lshl_b64 s[18:19], s[18:19], 1
	s_delay_alu instid0(SALU_CYCLE_1)
	s_add_nc_u64 s[18:19], s[10:11], s[18:19]
	s_cbranch_vccnz .LBB430_25
; %bb.8:                                ;   in Loop: Header=BB430_4 Depth=1
	v_mul_f32_e32 v14, s2, v12
	s_mov_b32 s21, exec_lo
                                        ; implicit-def: $vgpr18
	s_delay_alu instid0(VALU_DEP_1) | instskip(NEXT) | instid1(VALU_DEP_1)
	v_and_b32_e32 v15, 0x7f800000, v14
	v_cmpx_ne_u32_e32 0x7f800000, v15
	s_xor_b32 s21, exec_lo, s21
; %bb.9:                                ;   in Loop: Header=BB430_4 Depth=1
	v_bfe_u32 v15, v14, 16, 1
	s_delay_alu instid0(VALU_DEP_1)
	v_add3_u32 v18, v14, v15, 0x7fff
                                        ; implicit-def: $vgpr14
; %bb.10:                               ;   in Loop: Header=BB430_4 Depth=1
	s_and_not1_saveexec_b32 s21, s21
; %bb.11:                               ;   in Loop: Header=BB430_4 Depth=1
	v_and_b32_e32 v15, 0xffff, v14
	v_or_b32_e32 v16, 0x10000, v14
	s_delay_alu instid0(VALU_DEP_2) | instskip(NEXT) | instid1(VALU_DEP_2)
	v_cmp_eq_u32_e32 vcc_lo, 0, v15
	v_cndmask_b32_e32 v18, v16, v14, vcc_lo
; %bb.12:                               ;   in Loop: Header=BB430_4 Depth=1
	s_or_b32 exec_lo, exec_lo, s21
	v_mul_f32_e32 v19, s2, v13
	v_lshl_add_u64 v[14:15], v[0:1], 1, s[18:19]
	s_delay_alu instid0(VALU_DEP_2) | instskip(NEXT) | instid1(VALU_DEP_2)
	v_and_b32_e32 v20, 0x7f800000, v19
	v_lshl_add_u64 v[16:17], v[2:3], 1, v[14:15]
	s_delay_alu instid0(VALU_DEP_2) | instskip(SKIP_3) | instid1(SALU_CYCLE_1)
	v_cmp_ne_u32_e32 vcc_lo, 0x7f800000, v20
	global_store_d16_hi_b16 v[16:17], v18, off
                                        ; implicit-def: $vgpr20
	s_wait_xcnt 0x0
	s_and_saveexec_b32 s21, vcc_lo
	s_xor_b32 s21, exec_lo, s21
; %bb.13:                               ;   in Loop: Header=BB430_4 Depth=1
	v_bfe_u32 v18, v19, 16, 1
	s_delay_alu instid0(VALU_DEP_1)
	v_add3_u32 v20, v19, v18, 0x7fff
                                        ; implicit-def: $vgpr19
; %bb.14:                               ;   in Loop: Header=BB430_4 Depth=1
	s_and_not1_saveexec_b32 s21, s21
; %bb.15:                               ;   in Loop: Header=BB430_4 Depth=1
	v_and_b32_e32 v18, 0xffff, v19
	v_or_b32_e32 v20, 0x10000, v19
	s_delay_alu instid0(VALU_DEP_2) | instskip(NEXT) | instid1(VALU_DEP_2)
	v_cmp_eq_u32_e32 vcc_lo, 0, v18
	v_cndmask_b32_e32 v20, v20, v19, vcc_lo
; %bb.16:                               ;   in Loop: Header=BB430_4 Depth=1
	s_or_b32 exec_lo, exec_lo, s21
	v_mul_f32_e32 v18, s2, v10
	s_mov_b32 s21, exec_lo
	global_store_d16_hi_b16 v[16:17], v20, off offset:32
                                        ; implicit-def: $vgpr16
	v_and_b32_e32 v19, 0x7f800000, v18
	s_wait_xcnt 0x0
	s_delay_alu instid0(VALU_DEP_1)
	v_cmpx_ne_u32_e32 0x7f800000, v19
	s_xor_b32 s21, exec_lo, s21
; %bb.17:                               ;   in Loop: Header=BB430_4 Depth=1
	v_bfe_u32 v16, v18, 16, 1
	s_delay_alu instid0(VALU_DEP_1)
	v_add3_u32 v16, v18, v16, 0x7fff
                                        ; implicit-def: $vgpr18
; %bb.18:                               ;   in Loop: Header=BB430_4 Depth=1
	s_and_not1_saveexec_b32 s21, s21
; %bb.19:                               ;   in Loop: Header=BB430_4 Depth=1
	v_and_b32_e32 v16, 0xffff, v18
	v_or_b32_e32 v17, 0x10000, v18
	s_delay_alu instid0(VALU_DEP_2) | instskip(NEXT) | instid1(VALU_DEP_2)
	v_cmp_eq_u32_e32 vcc_lo, 0, v16
	v_cndmask_b32_e32 v16, v17, v18, vcc_lo
; %bb.20:                               ;   in Loop: Header=BB430_4 Depth=1
	s_or_b32 exec_lo, exec_lo, s21
	v_mul_f32_e32 v17, s2, v11
	v_lshl_add_u64 v[14:15], s[14:15], 1, v[14:15]
	s_mov_b32 s21, exec_lo
	s_delay_alu instid0(VALU_DEP_2) | instskip(NEXT) | instid1(VALU_DEP_2)
	v_and_b32_e32 v18, 0x7f800000, v17
	v_lshl_add_u64 v[14:15], v[2:3], 1, v[14:15]
	global_store_d16_hi_b16 v[14:15], v16, off
                                        ; implicit-def: $vgpr16
	s_wait_xcnt 0x0
	v_cmpx_ne_u32_e32 0x7f800000, v18
	s_xor_b32 s21, exec_lo, s21
; %bb.21:                               ;   in Loop: Header=BB430_4 Depth=1
	v_bfe_u32 v16, v17, 16, 1
	s_delay_alu instid0(VALU_DEP_1)
	v_add3_u32 v16, v17, v16, 0x7fff
                                        ; implicit-def: $vgpr17
; %bb.22:                               ;   in Loop: Header=BB430_4 Depth=1
	s_and_not1_saveexec_b32 s21, s21
; %bb.23:                               ;   in Loop: Header=BB430_4 Depth=1
	v_and_b32_e32 v16, 0xffff, v17
	v_or_b32_e32 v18, 0x10000, v17
	s_delay_alu instid0(VALU_DEP_2) | instskip(NEXT) | instid1(VALU_DEP_2)
	v_cmp_eq_u32_e32 vcc_lo, 0, v16
	v_cndmask_b32_e32 v16, v18, v17, vcc_lo
; %bb.24:                               ;   in Loop: Header=BB430_4 Depth=1
	s_or_b32 exec_lo, exec_lo, s21
	global_store_d16_hi_b16 v[14:15], v16, off offset:32
	s_branch .LBB430_3
.LBB430_25:                             ;   in Loop: Header=BB430_4 Depth=1
	s_cbranch_execz .LBB430_3
; %bb.26:                               ;   in Loop: Header=BB430_4 Depth=1
	s_mul_u64 s[24:25], s[8:9], s[28:29]
	s_wait_xcnt 0x0
	v_lshl_add_u64 v[14:15], s[24:25], 1, v[4:5]
	s_delay_alu instid0(VALU_DEP_1) | instskip(SKIP_3) | instid1(VALU_DEP_1)
	v_lshl_add_u64 v[18:19], v[2:3], 1, v[14:15]
	global_load_u16 v16, v[18:19], off
	s_wait_loadcnt 0x0
	v_lshlrev_b32_e32 v16, 16, v16
	v_mul_f32_e32 v16, s30, v16
	s_delay_alu instid0(VALU_DEP_1) | instskip(NEXT) | instid1(VALU_DEP_1)
	v_and_b32_e32 v17, 0x7f800000, v16
	v_cmp_ne_u32_e32 vcc_lo, 0x7f800000, v17
                                        ; implicit-def: $vgpr17
	s_wait_xcnt 0x0
	s_and_saveexec_b32 s21, vcc_lo
	s_delay_alu instid0(SALU_CYCLE_1)
	s_xor_b32 s21, exec_lo, s21
; %bb.27:                               ;   in Loop: Header=BB430_4 Depth=1
	v_bfe_u32 v17, v16, 16, 1
	s_delay_alu instid0(VALU_DEP_1)
	v_add3_u32 v17, v16, v17, 0x7fff
                                        ; implicit-def: $vgpr16
; %bb.28:                               ;   in Loop: Header=BB430_4 Depth=1
	s_and_not1_saveexec_b32 s21, s21
; %bb.29:                               ;   in Loop: Header=BB430_4 Depth=1
	v_and_b32_e32 v17, 0xffff, v16
	v_or_b32_e32 v20, 0x10000, v16
	s_delay_alu instid0(VALU_DEP_2) | instskip(NEXT) | instid1(VALU_DEP_2)
	v_cmp_eq_u32_e32 vcc_lo, 0, v17
	v_cndmask_b32_e32 v17, v20, v16, vcc_lo
; %bb.30:                               ;   in Loop: Header=BB430_4 Depth=1
	s_or_b32 exec_lo, exec_lo, s21
	s_delay_alu instid0(VALU_DEP_1) | instskip(SKIP_1) | instid1(VALU_DEP_1)
	v_fma_mix_f32_bf16 v12, s2, v12, v17 op_sel:[0,0,1] op_sel_hi:[0,0,1]
	s_mov_b32 s21, exec_lo
                                        ; implicit-def: $vgpr26
	v_and_b32_e32 v16, 0x7f800000, v12
	s_delay_alu instid0(VALU_DEP_1)
	v_cmpx_ne_u32_e32 0x7f800000, v16
	s_xor_b32 s21, exec_lo, s21
; %bb.31:                               ;   in Loop: Header=BB430_4 Depth=1
	v_bfe_u32 v16, v12, 16, 1
	s_delay_alu instid0(VALU_DEP_1)
	v_add3_u32 v26, v12, v16, 0x7fff
                                        ; implicit-def: $vgpr12
; %bb.32:                               ;   in Loop: Header=BB430_4 Depth=1
	s_and_not1_saveexec_b32 s21, s21
; %bb.33:                               ;   in Loop: Header=BB430_4 Depth=1
	v_and_b32_e32 v16, 0xffff, v12
	v_or_b32_e32 v17, 0x10000, v12
	s_delay_alu instid0(VALU_DEP_2) | instskip(NEXT) | instid1(VALU_DEP_2)
	v_cmp_eq_u32_e32 vcc_lo, 0, v16
	v_cndmask_b32_e32 v26, v17, v12, vcc_lo
; %bb.34:                               ;   in Loop: Header=BB430_4 Depth=1
	s_or_b32 exec_lo, exec_lo, s21
	v_lshl_add_u64 v[16:17], v[0:1], 1, s[18:19]
	s_delay_alu instid0(VALU_DEP_1) | instskip(SKIP_4) | instid1(VALU_DEP_1)
	v_lshl_add_u64 v[20:21], v[2:3], 1, v[16:17]
	global_store_d16_hi_b16 v[20:21], v26, off
	global_load_u16 v12, v[18:19], off offset:32
	s_wait_loadcnt 0x0
	v_lshlrev_b32_e32 v12, 16, v12
	v_mul_f32_e32 v12, s30, v12
	s_wait_xcnt 0x0
	s_delay_alu instid0(VALU_DEP_1) | instskip(NEXT) | instid1(VALU_DEP_1)
	v_and_b32_e32 v18, 0x7f800000, v12
	v_cmp_ne_u32_e32 vcc_lo, 0x7f800000, v18
                                        ; implicit-def: $vgpr18
	s_and_saveexec_b32 s18, vcc_lo
	s_delay_alu instid0(SALU_CYCLE_1)
	s_xor_b32 s18, exec_lo, s18
; %bb.35:                               ;   in Loop: Header=BB430_4 Depth=1
	v_bfe_u32 v18, v12, 16, 1
	s_delay_alu instid0(VALU_DEP_1)
	v_add3_u32 v18, v12, v18, 0x7fff
                                        ; implicit-def: $vgpr12
; %bb.36:                               ;   in Loop: Header=BB430_4 Depth=1
	s_and_not1_saveexec_b32 s18, s18
; %bb.37:                               ;   in Loop: Header=BB430_4 Depth=1
	v_and_b32_e32 v18, 0xffff, v12
	v_or_b32_e32 v19, 0x10000, v12
	s_delay_alu instid0(VALU_DEP_2) | instskip(NEXT) | instid1(VALU_DEP_2)
	v_cmp_eq_u32_e32 vcc_lo, 0, v18
	v_cndmask_b32_e32 v18, v19, v12, vcc_lo
; %bb.38:                               ;   in Loop: Header=BB430_4 Depth=1
	s_or_b32 exec_lo, exec_lo, s18
	s_delay_alu instid0(VALU_DEP_1) | instskip(SKIP_1) | instid1(VALU_DEP_1)
	v_fma_mix_f32_bf16 v12, s2, v13, v18 op_sel:[0,0,1] op_sel_hi:[0,0,1]
	s_mov_b32 s18, exec_lo
                                        ; implicit-def: $vgpr18
	v_and_b32_e32 v13, 0x7f800000, v12
	s_delay_alu instid0(VALU_DEP_1)
	v_cmpx_ne_u32_e32 0x7f800000, v13
	s_xor_b32 s18, exec_lo, s18
; %bb.39:                               ;   in Loop: Header=BB430_4 Depth=1
	v_bfe_u32 v13, v12, 16, 1
	s_delay_alu instid0(VALU_DEP_1)
	v_add3_u32 v18, v12, v13, 0x7fff
                                        ; implicit-def: $vgpr12
; %bb.40:                               ;   in Loop: Header=BB430_4 Depth=1
	s_and_not1_saveexec_b32 s18, s18
; %bb.41:                               ;   in Loop: Header=BB430_4 Depth=1
	v_and_b32_e32 v13, 0xffff, v12
	v_or_b32_e32 v18, 0x10000, v12
	s_delay_alu instid0(VALU_DEP_2) | instskip(NEXT) | instid1(VALU_DEP_2)
	v_cmp_eq_u32_e32 vcc_lo, 0, v13
	v_cndmask_b32_e32 v18, v18, v12, vcc_lo
; %bb.42:                               ;   in Loop: Header=BB430_4 Depth=1
	s_or_b32 exec_lo, exec_lo, s18
	v_lshl_add_u64 v[12:13], s[6:7], 1, v[14:15]
	global_store_d16_hi_b16 v[20:21], v18, off offset:32
	v_lshl_add_u64 v[12:13], v[2:3], 1, v[12:13]
	global_load_u16 v14, v[12:13], off
	s_wait_loadcnt 0x0
	v_lshlrev_b32_e32 v14, 16, v14
	s_delay_alu instid0(VALU_DEP_1) | instskip(NEXT) | instid1(VALU_DEP_1)
	v_mul_f32_e32 v14, s30, v14
	v_and_b32_e32 v15, 0x7f800000, v14
	s_delay_alu instid0(VALU_DEP_1) | instskip(SKIP_2) | instid1(SALU_CYCLE_1)
	v_cmp_ne_u32_e32 vcc_lo, 0x7f800000, v15
                                        ; implicit-def: $vgpr15
	s_wait_xcnt 0x0
	s_and_saveexec_b32 s18, vcc_lo
	s_xor_b32 s18, exec_lo, s18
; %bb.43:                               ;   in Loop: Header=BB430_4 Depth=1
	v_bfe_u32 v15, v14, 16, 1
	s_delay_alu instid0(VALU_DEP_1)
	v_add3_u32 v15, v14, v15, 0x7fff
                                        ; implicit-def: $vgpr14
; %bb.44:                               ;   in Loop: Header=BB430_4 Depth=1
	s_and_not1_saveexec_b32 s18, s18
; %bb.45:                               ;   in Loop: Header=BB430_4 Depth=1
	v_and_b32_e32 v15, 0xffff, v14
	v_or_b32_e32 v18, 0x10000, v14
	s_delay_alu instid0(VALU_DEP_2) | instskip(NEXT) | instid1(VALU_DEP_2)
	v_cmp_eq_u32_e32 vcc_lo, 0, v15
	v_cndmask_b32_e32 v15, v18, v14, vcc_lo
; %bb.46:                               ;   in Loop: Header=BB430_4 Depth=1
	s_or_b32 exec_lo, exec_lo, s18
	s_delay_alu instid0(VALU_DEP_1) | instskip(SKIP_1) | instid1(VALU_DEP_1)
	v_fma_mix_f32_bf16 v10, s2, v10, v15 op_sel:[0,0,1] op_sel_hi:[0,0,1]
	s_mov_b32 s18, exec_lo
                                        ; implicit-def: $vgpr18
	v_and_b32_e32 v14, 0x7f800000, v10
	s_delay_alu instid0(VALU_DEP_1)
	v_cmpx_ne_u32_e32 0x7f800000, v14
	s_xor_b32 s18, exec_lo, s18
; %bb.47:                               ;   in Loop: Header=BB430_4 Depth=1
	v_bfe_u32 v14, v10, 16, 1
	s_delay_alu instid0(VALU_DEP_1)
	v_add3_u32 v18, v10, v14, 0x7fff
                                        ; implicit-def: $vgpr10
; %bb.48:                               ;   in Loop: Header=BB430_4 Depth=1
	s_and_not1_saveexec_b32 s18, s18
; %bb.49:                               ;   in Loop: Header=BB430_4 Depth=1
	v_and_b32_e32 v14, 0xffff, v10
	v_or_b32_e32 v15, 0x10000, v10
	s_delay_alu instid0(VALU_DEP_2) | instskip(NEXT) | instid1(VALU_DEP_2)
	v_cmp_eq_u32_e32 vcc_lo, 0, v14
	v_cndmask_b32_e32 v18, v15, v10, vcc_lo
; %bb.50:                               ;   in Loop: Header=BB430_4 Depth=1
	s_or_b32 exec_lo, exec_lo, s18
	v_lshl_add_u64 v[14:15], s[14:15], 1, v[16:17]
	s_delay_alu instid0(VALU_DEP_1) | instskip(SKIP_4) | instid1(VALU_DEP_1)
	v_lshl_add_u64 v[14:15], v[2:3], 1, v[14:15]
	global_store_d16_hi_b16 v[14:15], v18, off
	global_load_u16 v10, v[12:13], off offset:32
	s_wait_loadcnt 0x0
	v_lshlrev_b32_e32 v10, 16, v10
	v_mul_f32_e32 v10, s30, v10
	s_wait_xcnt 0x0
	s_delay_alu instid0(VALU_DEP_1) | instskip(NEXT) | instid1(VALU_DEP_1)
	v_and_b32_e32 v12, 0x7f800000, v10
	v_cmp_ne_u32_e32 vcc_lo, 0x7f800000, v12
                                        ; implicit-def: $vgpr12
	s_and_saveexec_b32 s18, vcc_lo
	s_delay_alu instid0(SALU_CYCLE_1)
	s_xor_b32 s18, exec_lo, s18
; %bb.51:                               ;   in Loop: Header=BB430_4 Depth=1
	v_bfe_u32 v12, v10, 16, 1
	s_delay_alu instid0(VALU_DEP_1)
	v_add3_u32 v12, v10, v12, 0x7fff
                                        ; implicit-def: $vgpr10
; %bb.52:                               ;   in Loop: Header=BB430_4 Depth=1
	s_and_not1_saveexec_b32 s18, s18
; %bb.53:                               ;   in Loop: Header=BB430_4 Depth=1
	v_and_b32_e32 v12, 0xffff, v10
	v_or_b32_e32 v13, 0x10000, v10
	s_delay_alu instid0(VALU_DEP_2) | instskip(NEXT) | instid1(VALU_DEP_2)
	v_cmp_eq_u32_e32 vcc_lo, 0, v12
	v_cndmask_b32_e32 v12, v13, v10, vcc_lo
; %bb.54:                               ;   in Loop: Header=BB430_4 Depth=1
	s_or_b32 exec_lo, exec_lo, s18
	s_delay_alu instid0(VALU_DEP_1) | instskip(NEXT) | instid1(VALU_DEP_1)
	v_fma_mix_f32_bf16 v10, s2, v11, v12 op_sel:[0,0,1] op_sel_hi:[0,0,1]
	v_and_b32_e32 v11, 0x7f800000, v10
	s_delay_alu instid0(VALU_DEP_1) | instskip(SKIP_1) | instid1(SALU_CYCLE_1)
	v_cmp_ne_u32_e32 vcc_lo, 0x7f800000, v11
                                        ; implicit-def: $vgpr11
	s_and_saveexec_b32 s18, vcc_lo
	s_xor_b32 s18, exec_lo, s18
; %bb.55:                               ;   in Loop: Header=BB430_4 Depth=1
	v_bfe_u32 v11, v10, 16, 1
	s_delay_alu instid0(VALU_DEP_1)
	v_add3_u32 v11, v10, v11, 0x7fff
                                        ; implicit-def: $vgpr10
; %bb.56:                               ;   in Loop: Header=BB430_4 Depth=1
	s_and_not1_saveexec_b32 s18, s18
	s_cbranch_execz .LBB430_2
; %bb.57:                               ;   in Loop: Header=BB430_4 Depth=1
	v_and_b32_e32 v11, 0xffff, v10
	v_or_b32_e32 v12, 0x10000, v10
	s_delay_alu instid0(VALU_DEP_2) | instskip(NEXT) | instid1(VALU_DEP_2)
	v_cmp_eq_u32_e32 vcc_lo, 0, v11
	v_cndmask_b32_e32 v11, v12, v10, vcc_lo
	s_branch .LBB430_2
.LBB430_58:
	s_endpgm
	.section	.rodata,"a",@progbits
	.p2align	6, 0x0
	.amdhsa_kernel _ZN12_GLOBAL__N_127rocblas_gemm_batched_kernelIfLi16ELi16ELi32ELi32ELi8ELi32ELi8ELi8ELi32ELc84ELc84EK16rocblas_bfloat16S2_S1_EEvlllT_PT11_llS5_llS3_PT12_llPT13_lli
		.amdhsa_group_segment_fixed_size 2048
		.amdhsa_private_segment_fixed_size 0
		.amdhsa_kernarg_size 140
		.amdhsa_user_sgpr_count 2
		.amdhsa_user_sgpr_dispatch_ptr 0
		.amdhsa_user_sgpr_queue_ptr 0
		.amdhsa_user_sgpr_kernarg_segment_ptr 1
		.amdhsa_user_sgpr_dispatch_id 0
		.amdhsa_user_sgpr_kernarg_preload_length 0
		.amdhsa_user_sgpr_kernarg_preload_offset 0
		.amdhsa_user_sgpr_private_segment_size 0
		.amdhsa_wavefront_size32 1
		.amdhsa_uses_dynamic_stack 0
		.amdhsa_enable_private_segment 0
		.amdhsa_system_sgpr_workgroup_id_x 1
		.amdhsa_system_sgpr_workgroup_id_y 1
		.amdhsa_system_sgpr_workgroup_id_z 1
		.amdhsa_system_sgpr_workgroup_info 0
		.amdhsa_system_vgpr_workitem_id 1
		.amdhsa_next_free_vgpr 52
		.amdhsa_next_free_sgpr 38
		.amdhsa_named_barrier_count 0
		.amdhsa_reserve_vcc 1
		.amdhsa_float_round_mode_32 0
		.amdhsa_float_round_mode_16_64 0
		.amdhsa_float_denorm_mode_32 3
		.amdhsa_float_denorm_mode_16_64 3
		.amdhsa_fp16_overflow 0
		.amdhsa_memory_ordered 1
		.amdhsa_forward_progress 1
		.amdhsa_inst_pref_size 20
		.amdhsa_round_robin_scheduling 0
		.amdhsa_exception_fp_ieee_invalid_op 0
		.amdhsa_exception_fp_denorm_src 0
		.amdhsa_exception_fp_ieee_div_zero 0
		.amdhsa_exception_fp_ieee_overflow 0
		.amdhsa_exception_fp_ieee_underflow 0
		.amdhsa_exception_fp_ieee_inexact 0
		.amdhsa_exception_int_div_zero 0
	.end_amdhsa_kernel
	.section	.text._ZN12_GLOBAL__N_127rocblas_gemm_batched_kernelIfLi16ELi16ELi32ELi32ELi8ELi32ELi8ELi8ELi32ELc84ELc84EK16rocblas_bfloat16S2_S1_EEvlllT_PT11_llS5_llS3_PT12_llPT13_lli,"axG",@progbits,_ZN12_GLOBAL__N_127rocblas_gemm_batched_kernelIfLi16ELi16ELi32ELi32ELi8ELi32ELi8ELi8ELi32ELc84ELc84EK16rocblas_bfloat16S2_S1_EEvlllT_PT11_llS5_llS3_PT12_llPT13_lli,comdat
.Lfunc_end430:
	.size	_ZN12_GLOBAL__N_127rocblas_gemm_batched_kernelIfLi16ELi16ELi32ELi32ELi8ELi32ELi8ELi8ELi32ELc84ELc84EK16rocblas_bfloat16S2_S1_EEvlllT_PT11_llS5_llS3_PT12_llPT13_lli, .Lfunc_end430-_ZN12_GLOBAL__N_127rocblas_gemm_batched_kernelIfLi16ELi16ELi32ELi32ELi8ELi32ELi8ELi8ELi32ELc84ELc84EK16rocblas_bfloat16S2_S1_EEvlllT_PT11_llS5_llS3_PT12_llPT13_lli
                                        ; -- End function
	.set _ZN12_GLOBAL__N_127rocblas_gemm_batched_kernelIfLi16ELi16ELi32ELi32ELi8ELi32ELi8ELi8ELi32ELc84ELc84EK16rocblas_bfloat16S2_S1_EEvlllT_PT11_llS5_llS3_PT12_llPT13_lli.num_vgpr, 52
	.set _ZN12_GLOBAL__N_127rocblas_gemm_batched_kernelIfLi16ELi16ELi32ELi32ELi8ELi32ELi8ELi8ELi32ELc84ELc84EK16rocblas_bfloat16S2_S1_EEvlllT_PT11_llS5_llS3_PT12_llPT13_lli.num_agpr, 0
	.set _ZN12_GLOBAL__N_127rocblas_gemm_batched_kernelIfLi16ELi16ELi32ELi32ELi8ELi32ELi8ELi8ELi32ELc84ELc84EK16rocblas_bfloat16S2_S1_EEvlllT_PT11_llS5_llS3_PT12_llPT13_lli.numbered_sgpr, 38
	.set _ZN12_GLOBAL__N_127rocblas_gemm_batched_kernelIfLi16ELi16ELi32ELi32ELi8ELi32ELi8ELi8ELi32ELc84ELc84EK16rocblas_bfloat16S2_S1_EEvlllT_PT11_llS5_llS3_PT12_llPT13_lli.num_named_barrier, 0
	.set _ZN12_GLOBAL__N_127rocblas_gemm_batched_kernelIfLi16ELi16ELi32ELi32ELi8ELi32ELi8ELi8ELi32ELc84ELc84EK16rocblas_bfloat16S2_S1_EEvlllT_PT11_llS5_llS3_PT12_llPT13_lli.private_seg_size, 0
	.set _ZN12_GLOBAL__N_127rocblas_gemm_batched_kernelIfLi16ELi16ELi32ELi32ELi8ELi32ELi8ELi8ELi32ELc84ELc84EK16rocblas_bfloat16S2_S1_EEvlllT_PT11_llS5_llS3_PT12_llPT13_lli.uses_vcc, 1
	.set _ZN12_GLOBAL__N_127rocblas_gemm_batched_kernelIfLi16ELi16ELi32ELi32ELi8ELi32ELi8ELi8ELi32ELc84ELc84EK16rocblas_bfloat16S2_S1_EEvlllT_PT11_llS5_llS3_PT12_llPT13_lli.uses_flat_scratch, 0
	.set _ZN12_GLOBAL__N_127rocblas_gemm_batched_kernelIfLi16ELi16ELi32ELi32ELi8ELi32ELi8ELi8ELi32ELc84ELc84EK16rocblas_bfloat16S2_S1_EEvlllT_PT11_llS5_llS3_PT12_llPT13_lli.has_dyn_sized_stack, 0
	.set _ZN12_GLOBAL__N_127rocblas_gemm_batched_kernelIfLi16ELi16ELi32ELi32ELi8ELi32ELi8ELi8ELi32ELc84ELc84EK16rocblas_bfloat16S2_S1_EEvlllT_PT11_llS5_llS3_PT12_llPT13_lli.has_recursion, 0
	.set _ZN12_GLOBAL__N_127rocblas_gemm_batched_kernelIfLi16ELi16ELi32ELi32ELi8ELi32ELi8ELi8ELi32ELc84ELc84EK16rocblas_bfloat16S2_S1_EEvlllT_PT11_llS5_llS3_PT12_llPT13_lli.has_indirect_call, 0
	.section	.AMDGPU.csdata,"",@progbits
; Kernel info:
; codeLenInByte = 2500
; TotalNumSgprs: 40
; NumVgprs: 52
; ScratchSize: 0
; MemoryBound: 0
; FloatMode: 240
; IeeeMode: 1
; LDSByteSize: 2048 bytes/workgroup (compile time only)
; SGPRBlocks: 0
; VGPRBlocks: 3
; NumSGPRsForWavesPerEU: 40
; NumVGPRsForWavesPerEU: 52
; NamedBarCnt: 0
; Occupancy: 16
; WaveLimiterHint : 0
; COMPUTE_PGM_RSRC2:SCRATCH_EN: 0
; COMPUTE_PGM_RSRC2:USER_SGPR: 2
; COMPUTE_PGM_RSRC2:TRAP_HANDLER: 0
; COMPUTE_PGM_RSRC2:TGID_X_EN: 1
; COMPUTE_PGM_RSRC2:TGID_Y_EN: 1
; COMPUTE_PGM_RSRC2:TGID_Z_EN: 1
; COMPUTE_PGM_RSRC2:TIDIG_COMP_CNT: 1
	.section	.text._ZN12_GLOBAL__N_127rocblas_gemm_batched_kernelIfLi16ELi16ELi32ELi32ELi8ELi32ELi8ELi8ELi32ELc67ELc67EK16rocblas_bfloat16S2_S1_EEvlllT_PT11_llS5_llS3_PT12_llPT13_lli,"axG",@progbits,_ZN12_GLOBAL__N_127rocblas_gemm_batched_kernelIfLi16ELi16ELi32ELi32ELi8ELi32ELi8ELi8ELi32ELc67ELc67EK16rocblas_bfloat16S2_S1_EEvlllT_PT11_llS5_llS3_PT12_llPT13_lli,comdat
	.globl	_ZN12_GLOBAL__N_127rocblas_gemm_batched_kernelIfLi16ELi16ELi32ELi32ELi8ELi32ELi8ELi8ELi32ELc67ELc67EK16rocblas_bfloat16S2_S1_EEvlllT_PT11_llS5_llS3_PT12_llPT13_lli ; -- Begin function _ZN12_GLOBAL__N_127rocblas_gemm_batched_kernelIfLi16ELi16ELi32ELi32ELi8ELi32ELi8ELi8ELi32ELc67ELc67EK16rocblas_bfloat16S2_S1_EEvlllT_PT11_llS5_llS3_PT12_llPT13_lli
	.p2align	8
	.type	_ZN12_GLOBAL__N_127rocblas_gemm_batched_kernelIfLi16ELi16ELi32ELi32ELi8ELi32ELi8ELi8ELi32ELc67ELc67EK16rocblas_bfloat16S2_S1_EEvlllT_PT11_llS5_llS3_PT12_llPT13_lli,@function
_ZN12_GLOBAL__N_127rocblas_gemm_batched_kernelIfLi16ELi16ELi32ELi32ELi8ELi32ELi8ELi8ELi32ELc67ELc67EK16rocblas_bfloat16S2_S1_EEvlllT_PT11_llS5_llS3_PT12_llPT13_lli: ; @_ZN12_GLOBAL__N_127rocblas_gemm_batched_kernelIfLi16ELi16ELi32ELi32ELi8ELi32ELi8ELi8ELi32ELc67ELc67EK16rocblas_bfloat16S2_S1_EEvlllT_PT11_llS5_llS3_PT12_llPT13_lli
; %bb.0:
	s_load_b32 s3, s[0:1], 0x88
	s_bfe_u32 s2, ttmp6, 0x40014
	s_lshr_b32 s4, ttmp7, 16
	s_add_co_i32 s2, s2, 1
	s_bfe_u32 s6, ttmp6, 0x40008
	s_mul_i32 s5, s4, s2
	s_getreg_b32 s2, hwreg(HW_REG_IB_STS2, 6, 4)
	s_add_co_i32 s6, s6, s5
	s_cmp_eq_u32 s2, 0
	s_mov_b32 s29, 0
	s_cselect_b32 s28, s4, s6
	s_wait_kmcnt 0x0
	s_cmp_ge_i32 s28, s3
	s_cbranch_scc1 .LBB431_58
; %bb.1:
	v_bfe_u32 v4, v0, 10, 10
	v_and_b32_e32 v2, 0x3ff, v0
	s_bfe_u32 s30, ttmp6, 0x4000c
	s_bfe_u32 s33, ttmp6, 0x40010
	s_add_co_i32 s30, s30, 1
	s_and_b32 s34, ttmp7, 0xffff
	s_add_co_i32 s33, s33, 1
	s_clause 0x3
	s_load_b256 s[12:19], s[0:1], 0x20
	s_load_b128 s[24:27], s[0:1], 0x40
	s_load_b128 s[20:23], s[0:1], 0x78
	s_load_b256 s[4:11], s[0:1], 0x58
	s_and_b32 s31, ttmp6, 15
	s_mul_i32 s30, ttmp9, s30
	s_mul_i32 s33, s34, s33
	s_bfe_u32 s35, ttmp6, 0x40004
	v_lshl_add_u32 v3, v4, 4, v2
	s_add_co_i32 s31, s31, s30
	s_add_co_i32 s35, s35, s33
	s_cmp_eq_u32 s2, 0
	s_delay_alu instid0(VALU_DEP_1)
	v_dual_mov_b32 v5, 0 :: v_dual_bitop2_b32 v16, 31, v3 bitop3:0x40
	s_cselect_b32 s30, ttmp9, s31
	s_cselect_b32 s2, s34, s35
	s_ashr_i32 s31, s30, 31
	s_lshl_b32 s36, s2, 5
	s_lshl_b64 s[34:35], s[30:31], 5
	s_mov_b32 s37, s29
	v_dual_mov_b32 v7, s35 :: v_dual_bitop2_b32 v6, s34, v16 bitop3:0x54
	v_add_nc_u64_e32 v[8:9], s[36:37], v[4:5]
	v_dual_lshrrev_b32 v10, 3, v3 :: v_dual_bitop2_b32 v17, 7, v0 bitop3:0x40
	v_mov_b32_e32 v11, v5
	s_wait_kmcnt 0x0
	v_mul_u64_e32 v[6:7], s[14:15], v[6:7]
	s_load_b32 s30, s[0:1], 0x50
	v_lshl_add_u32 v24, v4, 5, 0x400
	v_mul_u64_e32 v[12:13], s[6:7], v[8:9]
	v_mul_u64_e32 v[0:1], s[20:21], v[8:9]
	v_lshlrev_b32_e32 v8, 2, v17
	v_mad_nc_u64_u32 v[14:15], s24, v17, v[10:11]
	s_wait_xcnt 0x0
	s_load_b96 s[0:2], s[0:1], 0x10
	v_dual_lshrrev_b32 v9, 5, v3 :: v_dual_lshlrev_b32 v11, 2, v16
	v_lshl_or_b32 v8, v10, 5, v8
	v_dual_mov_b32 v3, v5 :: v_dual_lshlrev_b32 v25, 2, v2
	s_delay_alu instid0(VALU_DEP_3) | instskip(NEXT) | instid1(VALU_DEP_4)
	v_lshlrev_b32_e32 v4, 1, v9
	v_lshl_or_b32 v22, v9, 7, v11
	s_delay_alu instid0(VALU_DEP_4) | instskip(NEXT) | instid1(VALU_DEP_4)
	v_add_nc_u32_e32 v23, 0x400, v8
	v_add_nc_u64_e32 v[2:3], s[34:35], v[2:3]
	v_mad_u32 v15, s25, v17, v15
	s_wait_kmcnt 0x0
	s_cmp_eq_f32 s30, 0
	s_cselect_b32 s31, -1, 0
	s_lshl_b64 s[14:15], s[20:21], 4
	v_cmp_gt_i64_e64 s20, s[0:1], 0
	s_delay_alu instid0(VALU_DEP_2) | instskip(SKIP_3) | instid1(VALU_DEP_2)
	v_add_nc_u64_e32 v[8:9], s[36:37], v[14:15]
	s_lshl_b64 s[6:7], s[6:7], 4
	s_lshl_b64 s[16:17], s[16:17], 1
	v_lshl_add_u64 v[10:11], v[6:7], 1, v[4:5]
	v_lshl_add_u64 v[6:7], v[8:9], 1, s[18:19]
	;; [unrolled: 1-line block ×3, first 2 shown]
	s_delay_alu instid0(VALU_DEP_3)
	v_add_nc_u64_e32 v[8:9], s[12:13], v[10:11]
	s_lshl_b64 s[4:5], s[26:27], 1
	s_lshl_b64 s[12:13], s[24:25], 4
	s_branch .LBB431_4
.LBB431_2:                              ;   in Loop: Header=BB431_4 Depth=1
	s_or_b32 exec_lo, exec_lo, s18
	global_store_d16_hi_b16 v[14:15], v11, off offset:32
.LBB431_3:                              ;   in Loop: Header=BB431_4 Depth=1
	s_add_co_i32 s28, s28, 0x10000
	s_delay_alu instid0(SALU_CYCLE_1)
	s_cmp_lt_i32 s28, s3
	s_cbranch_scc0 .LBB431_58
.LBB431_4:                              ; =>This Loop Header: Depth=1
                                        ;     Child Loop BB431_6 Depth 2
	v_dual_mov_b32 v13, 0 :: v_dual_mov_b32 v12, 0
	s_wait_xcnt 0x0
	v_dual_mov_b32 v11, 0 :: v_dual_mov_b32 v10, 0
	s_and_not1_b32 vcc_lo, exec_lo, s20
	s_cbranch_vccnz .LBB431_7
; %bb.5:                                ;   in Loop: Header=BB431_4 Depth=1
	v_mad_nc_u64_u32 v[14:15], s4, s28, v[6:7]
	v_mad_nc_u64_u32 v[16:17], s16, s28, v[8:9]
	v_mov_b32_e32 v10, 0
	s_mov_b64 s[18:19], 0
	s_delay_alu instid0(VALU_DEP_1)
	v_dual_mov_b32 v11, v10 :: v_dual_mov_b32 v12, v10
	v_mov_b32_e32 v13, v10
	v_mad_u32 v15, s5, s28, v15
	v_mad_u32 v17, s17, s28, v17
.LBB431_6:                              ;   Parent Loop BB431_4 Depth=1
                                        ; =>  This Inner Loop Header: Depth=2
	global_load_u16 v18, v[16:17], off
	global_load_u16 v19, v[14:15], off
	s_add_nc_u64 s[18:19], s[18:19], 8
	s_wait_xcnt 0x0
	v_add_nc_u64_e32 v[14:15], s[12:13], v[14:15]
	v_cmp_lt_i64_e64 s21, s[18:19], s[0:1]
	v_add_nc_u64_e32 v[16:17], 16, v[16:17]
	s_and_b32 vcc_lo, exec_lo, s21
	s_wait_loadcnt 0x0
	v_dual_lshlrev_b32 v18, 16, v18 :: v_dual_lshlrev_b32 v19, 16, v19
	ds_store_b32 v22, v18
	ds_store_b32 v23, v19
	s_wait_dscnt 0x0
	s_barrier_signal -1
	s_barrier_wait -1
	ds_load_b128 v[18:21], v24
	ds_load_2addr_b32 v[38:39], v25 offset1:16
	ds_load_b128 v[26:29], v24 offset:512
	ds_load_2addr_b32 v[40:41], v25 offset0:32 offset1:48
	ds_load_2addr_b32 v[42:43], v25 offset0:64 offset1:80
	ds_load_b128 v[30:33], v24 offset:16
	ds_load_2addr_b32 v[44:45], v25 offset0:96 offset1:112
	ds_load_2addr_b32 v[46:47], v25 offset0:128 offset1:144
	;; [unrolled: 3-line block ×3, first 2 shown]
	s_wait_dscnt 0x9
	v_pk_fma_f32 v[12:13], v[38:39], v[18:19], v[12:13] op_sel_hi:[1,0,1]
	s_wait_dscnt 0x8
	v_pk_fma_f32 v[10:11], v[38:39], v[26:27], v[10:11] op_sel_hi:[1,0,1]
	v_mov_b32_e32 v38, v21
	s_wait_dscnt 0x7
	v_pk_fma_f32 v[12:13], v[40:41], v[18:19], v[12:13] op_sel:[0,1,0]
	s_delay_alu instid0(VALU_DEP_3) | instskip(SKIP_2) | instid1(VALU_DEP_3)
	v_pk_fma_f32 v[10:11], v[40:41], v[26:27], v[10:11] op_sel:[0,1,0]
	s_wait_dscnt 0x2
	v_dual_mov_b32 v18, v29 :: v_dual_mov_b32 v26, v37
	v_pk_fma_f32 v[12:13], v[42:43], v[20:21], v[12:13] op_sel_hi:[1,0,1]
	s_delay_alu instid0(VALU_DEP_3)
	v_pk_fma_f32 v[10:11], v[42:43], v[28:29], v[10:11] op_sel_hi:[1,0,1]
	ds_load_2addr_b32 v[20:21], v25 offset0:224 offset1:240
	s_wait_dscnt 0x0
	s_barrier_signal -1
	v_pk_fma_f32 v[12:13], v[44:45], v[38:39], v[12:13] op_sel_hi:[1,0,1]
	v_pk_fma_f32 v[10:11], v[44:45], v[18:19], v[10:11] op_sel_hi:[1,0,1]
	v_mov_b32_e32 v18, v33
	s_barrier_wait -1
	s_delay_alu instid0(VALU_DEP_3) | instskip(NEXT) | instid1(VALU_DEP_3)
	v_pk_fma_f32 v[12:13], v[46:47], v[30:31], v[12:13] op_sel_hi:[1,0,1]
	v_pk_fma_f32 v[10:11], v[46:47], v[34:35], v[10:11] op_sel_hi:[1,0,1]
	s_delay_alu instid0(VALU_DEP_2) | instskip(NEXT) | instid1(VALU_DEP_2)
	v_pk_fma_f32 v[12:13], v[48:49], v[30:31], v[12:13] op_sel:[0,1,0]
	v_pk_fma_f32 v[10:11], v[48:49], v[34:35], v[10:11] op_sel:[0,1,0]
	s_delay_alu instid0(VALU_DEP_2) | instskip(NEXT) | instid1(VALU_DEP_2)
	v_pk_fma_f32 v[12:13], v[50:51], v[32:33], v[12:13] op_sel_hi:[1,0,1]
	v_pk_fma_f32 v[10:11], v[50:51], v[36:37], v[10:11] op_sel_hi:[1,0,1]
	s_delay_alu instid0(VALU_DEP_2) | instskip(NEXT) | instid1(VALU_DEP_2)
	v_pk_fma_f32 v[12:13], v[20:21], v[18:19], v[12:13] op_sel_hi:[1,0,1]
	v_pk_fma_f32 v[10:11], v[20:21], v[26:27], v[10:11] op_sel_hi:[1,0,1]
	s_cbranch_vccnz .LBB431_6
.LBB431_7:                              ;   in Loop: Header=BB431_4 Depth=1
	s_mul_u64 s[18:19], s[22:23], s[28:29]
	s_and_not1_b32 vcc_lo, exec_lo, s31
	s_lshl_b64 s[18:19], s[18:19], 1
	s_delay_alu instid0(SALU_CYCLE_1)
	s_add_nc_u64 s[18:19], s[10:11], s[18:19]
	s_cbranch_vccnz .LBB431_25
; %bb.8:                                ;   in Loop: Header=BB431_4 Depth=1
	v_mul_f32_e32 v14, s2, v12
	s_mov_b32 s21, exec_lo
                                        ; implicit-def: $vgpr18
	s_delay_alu instid0(VALU_DEP_1) | instskip(NEXT) | instid1(VALU_DEP_1)
	v_and_b32_e32 v15, 0x7f800000, v14
	v_cmpx_ne_u32_e32 0x7f800000, v15
	s_xor_b32 s21, exec_lo, s21
; %bb.9:                                ;   in Loop: Header=BB431_4 Depth=1
	v_bfe_u32 v15, v14, 16, 1
	s_delay_alu instid0(VALU_DEP_1)
	v_add3_u32 v18, v14, v15, 0x7fff
                                        ; implicit-def: $vgpr14
; %bb.10:                               ;   in Loop: Header=BB431_4 Depth=1
	s_and_not1_saveexec_b32 s21, s21
; %bb.11:                               ;   in Loop: Header=BB431_4 Depth=1
	v_and_b32_e32 v15, 0xffff, v14
	v_or_b32_e32 v16, 0x10000, v14
	s_delay_alu instid0(VALU_DEP_2) | instskip(NEXT) | instid1(VALU_DEP_2)
	v_cmp_eq_u32_e32 vcc_lo, 0, v15
	v_cndmask_b32_e32 v18, v16, v14, vcc_lo
; %bb.12:                               ;   in Loop: Header=BB431_4 Depth=1
	s_or_b32 exec_lo, exec_lo, s21
	v_mul_f32_e32 v19, s2, v13
	v_lshl_add_u64 v[14:15], v[0:1], 1, s[18:19]
	s_delay_alu instid0(VALU_DEP_2) | instskip(NEXT) | instid1(VALU_DEP_2)
	v_and_b32_e32 v20, 0x7f800000, v19
	v_lshl_add_u64 v[16:17], v[2:3], 1, v[14:15]
	s_delay_alu instid0(VALU_DEP_2) | instskip(SKIP_3) | instid1(SALU_CYCLE_1)
	v_cmp_ne_u32_e32 vcc_lo, 0x7f800000, v20
	global_store_d16_hi_b16 v[16:17], v18, off
                                        ; implicit-def: $vgpr20
	s_wait_xcnt 0x0
	s_and_saveexec_b32 s21, vcc_lo
	s_xor_b32 s21, exec_lo, s21
; %bb.13:                               ;   in Loop: Header=BB431_4 Depth=1
	v_bfe_u32 v18, v19, 16, 1
	s_delay_alu instid0(VALU_DEP_1)
	v_add3_u32 v20, v19, v18, 0x7fff
                                        ; implicit-def: $vgpr19
; %bb.14:                               ;   in Loop: Header=BB431_4 Depth=1
	s_and_not1_saveexec_b32 s21, s21
; %bb.15:                               ;   in Loop: Header=BB431_4 Depth=1
	v_and_b32_e32 v18, 0xffff, v19
	v_or_b32_e32 v20, 0x10000, v19
	s_delay_alu instid0(VALU_DEP_2) | instskip(NEXT) | instid1(VALU_DEP_2)
	v_cmp_eq_u32_e32 vcc_lo, 0, v18
	v_cndmask_b32_e32 v20, v20, v19, vcc_lo
; %bb.16:                               ;   in Loop: Header=BB431_4 Depth=1
	s_or_b32 exec_lo, exec_lo, s21
	v_mul_f32_e32 v18, s2, v10
	s_mov_b32 s21, exec_lo
	global_store_d16_hi_b16 v[16:17], v20, off offset:32
                                        ; implicit-def: $vgpr16
	v_and_b32_e32 v19, 0x7f800000, v18
	s_wait_xcnt 0x0
	s_delay_alu instid0(VALU_DEP_1)
	v_cmpx_ne_u32_e32 0x7f800000, v19
	s_xor_b32 s21, exec_lo, s21
; %bb.17:                               ;   in Loop: Header=BB431_4 Depth=1
	v_bfe_u32 v16, v18, 16, 1
	s_delay_alu instid0(VALU_DEP_1)
	v_add3_u32 v16, v18, v16, 0x7fff
                                        ; implicit-def: $vgpr18
; %bb.18:                               ;   in Loop: Header=BB431_4 Depth=1
	s_and_not1_saveexec_b32 s21, s21
; %bb.19:                               ;   in Loop: Header=BB431_4 Depth=1
	v_and_b32_e32 v16, 0xffff, v18
	v_or_b32_e32 v17, 0x10000, v18
	s_delay_alu instid0(VALU_DEP_2) | instskip(NEXT) | instid1(VALU_DEP_2)
	v_cmp_eq_u32_e32 vcc_lo, 0, v16
	v_cndmask_b32_e32 v16, v17, v18, vcc_lo
; %bb.20:                               ;   in Loop: Header=BB431_4 Depth=1
	s_or_b32 exec_lo, exec_lo, s21
	v_mul_f32_e32 v17, s2, v11
	v_lshl_add_u64 v[14:15], s[14:15], 1, v[14:15]
	s_mov_b32 s21, exec_lo
	s_delay_alu instid0(VALU_DEP_2) | instskip(NEXT) | instid1(VALU_DEP_2)
	v_and_b32_e32 v18, 0x7f800000, v17
	v_lshl_add_u64 v[14:15], v[2:3], 1, v[14:15]
	global_store_d16_hi_b16 v[14:15], v16, off
                                        ; implicit-def: $vgpr16
	s_wait_xcnt 0x0
	v_cmpx_ne_u32_e32 0x7f800000, v18
	s_xor_b32 s21, exec_lo, s21
; %bb.21:                               ;   in Loop: Header=BB431_4 Depth=1
	v_bfe_u32 v16, v17, 16, 1
	s_delay_alu instid0(VALU_DEP_1)
	v_add3_u32 v16, v17, v16, 0x7fff
                                        ; implicit-def: $vgpr17
; %bb.22:                               ;   in Loop: Header=BB431_4 Depth=1
	s_and_not1_saveexec_b32 s21, s21
; %bb.23:                               ;   in Loop: Header=BB431_4 Depth=1
	v_and_b32_e32 v16, 0xffff, v17
	v_or_b32_e32 v18, 0x10000, v17
	s_delay_alu instid0(VALU_DEP_2) | instskip(NEXT) | instid1(VALU_DEP_2)
	v_cmp_eq_u32_e32 vcc_lo, 0, v16
	v_cndmask_b32_e32 v16, v18, v17, vcc_lo
; %bb.24:                               ;   in Loop: Header=BB431_4 Depth=1
	s_or_b32 exec_lo, exec_lo, s21
	global_store_d16_hi_b16 v[14:15], v16, off offset:32
	s_branch .LBB431_3
.LBB431_25:                             ;   in Loop: Header=BB431_4 Depth=1
	s_cbranch_execz .LBB431_3
; %bb.26:                               ;   in Loop: Header=BB431_4 Depth=1
	s_mul_u64 s[24:25], s[8:9], s[28:29]
	s_wait_xcnt 0x0
	v_lshl_add_u64 v[14:15], s[24:25], 1, v[4:5]
	s_delay_alu instid0(VALU_DEP_1) | instskip(SKIP_3) | instid1(VALU_DEP_1)
	v_lshl_add_u64 v[18:19], v[2:3], 1, v[14:15]
	global_load_u16 v16, v[18:19], off
	s_wait_loadcnt 0x0
	v_lshlrev_b32_e32 v16, 16, v16
	v_mul_f32_e32 v16, s30, v16
	s_delay_alu instid0(VALU_DEP_1) | instskip(NEXT) | instid1(VALU_DEP_1)
	v_and_b32_e32 v17, 0x7f800000, v16
	v_cmp_ne_u32_e32 vcc_lo, 0x7f800000, v17
                                        ; implicit-def: $vgpr17
	s_wait_xcnt 0x0
	s_and_saveexec_b32 s21, vcc_lo
	s_delay_alu instid0(SALU_CYCLE_1)
	s_xor_b32 s21, exec_lo, s21
; %bb.27:                               ;   in Loop: Header=BB431_4 Depth=1
	v_bfe_u32 v17, v16, 16, 1
	s_delay_alu instid0(VALU_DEP_1)
	v_add3_u32 v17, v16, v17, 0x7fff
                                        ; implicit-def: $vgpr16
; %bb.28:                               ;   in Loop: Header=BB431_4 Depth=1
	s_and_not1_saveexec_b32 s21, s21
; %bb.29:                               ;   in Loop: Header=BB431_4 Depth=1
	v_and_b32_e32 v17, 0xffff, v16
	v_or_b32_e32 v20, 0x10000, v16
	s_delay_alu instid0(VALU_DEP_2) | instskip(NEXT) | instid1(VALU_DEP_2)
	v_cmp_eq_u32_e32 vcc_lo, 0, v17
	v_cndmask_b32_e32 v17, v20, v16, vcc_lo
; %bb.30:                               ;   in Loop: Header=BB431_4 Depth=1
	s_or_b32 exec_lo, exec_lo, s21
	s_delay_alu instid0(VALU_DEP_1) | instskip(SKIP_1) | instid1(VALU_DEP_1)
	v_fma_mix_f32_bf16 v12, s2, v12, v17 op_sel:[0,0,1] op_sel_hi:[0,0,1]
	s_mov_b32 s21, exec_lo
                                        ; implicit-def: $vgpr26
	v_and_b32_e32 v16, 0x7f800000, v12
	s_delay_alu instid0(VALU_DEP_1)
	v_cmpx_ne_u32_e32 0x7f800000, v16
	s_xor_b32 s21, exec_lo, s21
; %bb.31:                               ;   in Loop: Header=BB431_4 Depth=1
	v_bfe_u32 v16, v12, 16, 1
	s_delay_alu instid0(VALU_DEP_1)
	v_add3_u32 v26, v12, v16, 0x7fff
                                        ; implicit-def: $vgpr12
; %bb.32:                               ;   in Loop: Header=BB431_4 Depth=1
	s_and_not1_saveexec_b32 s21, s21
; %bb.33:                               ;   in Loop: Header=BB431_4 Depth=1
	v_and_b32_e32 v16, 0xffff, v12
	v_or_b32_e32 v17, 0x10000, v12
	s_delay_alu instid0(VALU_DEP_2) | instskip(NEXT) | instid1(VALU_DEP_2)
	v_cmp_eq_u32_e32 vcc_lo, 0, v16
	v_cndmask_b32_e32 v26, v17, v12, vcc_lo
; %bb.34:                               ;   in Loop: Header=BB431_4 Depth=1
	s_or_b32 exec_lo, exec_lo, s21
	v_lshl_add_u64 v[16:17], v[0:1], 1, s[18:19]
	s_delay_alu instid0(VALU_DEP_1) | instskip(SKIP_4) | instid1(VALU_DEP_1)
	v_lshl_add_u64 v[20:21], v[2:3], 1, v[16:17]
	global_store_d16_hi_b16 v[20:21], v26, off
	global_load_u16 v12, v[18:19], off offset:32
	s_wait_loadcnt 0x0
	v_lshlrev_b32_e32 v12, 16, v12
	v_mul_f32_e32 v12, s30, v12
	s_wait_xcnt 0x0
	s_delay_alu instid0(VALU_DEP_1) | instskip(NEXT) | instid1(VALU_DEP_1)
	v_and_b32_e32 v18, 0x7f800000, v12
	v_cmp_ne_u32_e32 vcc_lo, 0x7f800000, v18
                                        ; implicit-def: $vgpr18
	s_and_saveexec_b32 s18, vcc_lo
	s_delay_alu instid0(SALU_CYCLE_1)
	s_xor_b32 s18, exec_lo, s18
; %bb.35:                               ;   in Loop: Header=BB431_4 Depth=1
	v_bfe_u32 v18, v12, 16, 1
	s_delay_alu instid0(VALU_DEP_1)
	v_add3_u32 v18, v12, v18, 0x7fff
                                        ; implicit-def: $vgpr12
; %bb.36:                               ;   in Loop: Header=BB431_4 Depth=1
	s_and_not1_saveexec_b32 s18, s18
; %bb.37:                               ;   in Loop: Header=BB431_4 Depth=1
	v_and_b32_e32 v18, 0xffff, v12
	v_or_b32_e32 v19, 0x10000, v12
	s_delay_alu instid0(VALU_DEP_2) | instskip(NEXT) | instid1(VALU_DEP_2)
	v_cmp_eq_u32_e32 vcc_lo, 0, v18
	v_cndmask_b32_e32 v18, v19, v12, vcc_lo
; %bb.38:                               ;   in Loop: Header=BB431_4 Depth=1
	s_or_b32 exec_lo, exec_lo, s18
	s_delay_alu instid0(VALU_DEP_1) | instskip(SKIP_1) | instid1(VALU_DEP_1)
	v_fma_mix_f32_bf16 v12, s2, v13, v18 op_sel:[0,0,1] op_sel_hi:[0,0,1]
	s_mov_b32 s18, exec_lo
                                        ; implicit-def: $vgpr18
	v_and_b32_e32 v13, 0x7f800000, v12
	s_delay_alu instid0(VALU_DEP_1)
	v_cmpx_ne_u32_e32 0x7f800000, v13
	s_xor_b32 s18, exec_lo, s18
; %bb.39:                               ;   in Loop: Header=BB431_4 Depth=1
	v_bfe_u32 v13, v12, 16, 1
	s_delay_alu instid0(VALU_DEP_1)
	v_add3_u32 v18, v12, v13, 0x7fff
                                        ; implicit-def: $vgpr12
; %bb.40:                               ;   in Loop: Header=BB431_4 Depth=1
	s_and_not1_saveexec_b32 s18, s18
; %bb.41:                               ;   in Loop: Header=BB431_4 Depth=1
	v_and_b32_e32 v13, 0xffff, v12
	v_or_b32_e32 v18, 0x10000, v12
	s_delay_alu instid0(VALU_DEP_2) | instskip(NEXT) | instid1(VALU_DEP_2)
	v_cmp_eq_u32_e32 vcc_lo, 0, v13
	v_cndmask_b32_e32 v18, v18, v12, vcc_lo
; %bb.42:                               ;   in Loop: Header=BB431_4 Depth=1
	s_or_b32 exec_lo, exec_lo, s18
	v_lshl_add_u64 v[12:13], s[6:7], 1, v[14:15]
	global_store_d16_hi_b16 v[20:21], v18, off offset:32
	v_lshl_add_u64 v[12:13], v[2:3], 1, v[12:13]
	global_load_u16 v14, v[12:13], off
	s_wait_loadcnt 0x0
	v_lshlrev_b32_e32 v14, 16, v14
	s_delay_alu instid0(VALU_DEP_1) | instskip(NEXT) | instid1(VALU_DEP_1)
	v_mul_f32_e32 v14, s30, v14
	v_and_b32_e32 v15, 0x7f800000, v14
	s_delay_alu instid0(VALU_DEP_1) | instskip(SKIP_2) | instid1(SALU_CYCLE_1)
	v_cmp_ne_u32_e32 vcc_lo, 0x7f800000, v15
                                        ; implicit-def: $vgpr15
	s_wait_xcnt 0x0
	s_and_saveexec_b32 s18, vcc_lo
	s_xor_b32 s18, exec_lo, s18
; %bb.43:                               ;   in Loop: Header=BB431_4 Depth=1
	v_bfe_u32 v15, v14, 16, 1
	s_delay_alu instid0(VALU_DEP_1)
	v_add3_u32 v15, v14, v15, 0x7fff
                                        ; implicit-def: $vgpr14
; %bb.44:                               ;   in Loop: Header=BB431_4 Depth=1
	s_and_not1_saveexec_b32 s18, s18
; %bb.45:                               ;   in Loop: Header=BB431_4 Depth=1
	v_and_b32_e32 v15, 0xffff, v14
	v_or_b32_e32 v18, 0x10000, v14
	s_delay_alu instid0(VALU_DEP_2) | instskip(NEXT) | instid1(VALU_DEP_2)
	v_cmp_eq_u32_e32 vcc_lo, 0, v15
	v_cndmask_b32_e32 v15, v18, v14, vcc_lo
; %bb.46:                               ;   in Loop: Header=BB431_4 Depth=1
	s_or_b32 exec_lo, exec_lo, s18
	s_delay_alu instid0(VALU_DEP_1) | instskip(SKIP_1) | instid1(VALU_DEP_1)
	v_fma_mix_f32_bf16 v10, s2, v10, v15 op_sel:[0,0,1] op_sel_hi:[0,0,1]
	s_mov_b32 s18, exec_lo
                                        ; implicit-def: $vgpr18
	v_and_b32_e32 v14, 0x7f800000, v10
	s_delay_alu instid0(VALU_DEP_1)
	v_cmpx_ne_u32_e32 0x7f800000, v14
	s_xor_b32 s18, exec_lo, s18
; %bb.47:                               ;   in Loop: Header=BB431_4 Depth=1
	v_bfe_u32 v14, v10, 16, 1
	s_delay_alu instid0(VALU_DEP_1)
	v_add3_u32 v18, v10, v14, 0x7fff
                                        ; implicit-def: $vgpr10
; %bb.48:                               ;   in Loop: Header=BB431_4 Depth=1
	s_and_not1_saveexec_b32 s18, s18
; %bb.49:                               ;   in Loop: Header=BB431_4 Depth=1
	v_and_b32_e32 v14, 0xffff, v10
	v_or_b32_e32 v15, 0x10000, v10
	s_delay_alu instid0(VALU_DEP_2) | instskip(NEXT) | instid1(VALU_DEP_2)
	v_cmp_eq_u32_e32 vcc_lo, 0, v14
	v_cndmask_b32_e32 v18, v15, v10, vcc_lo
; %bb.50:                               ;   in Loop: Header=BB431_4 Depth=1
	s_or_b32 exec_lo, exec_lo, s18
	v_lshl_add_u64 v[14:15], s[14:15], 1, v[16:17]
	s_delay_alu instid0(VALU_DEP_1) | instskip(SKIP_4) | instid1(VALU_DEP_1)
	v_lshl_add_u64 v[14:15], v[2:3], 1, v[14:15]
	global_store_d16_hi_b16 v[14:15], v18, off
	global_load_u16 v10, v[12:13], off offset:32
	s_wait_loadcnt 0x0
	v_lshlrev_b32_e32 v10, 16, v10
	v_mul_f32_e32 v10, s30, v10
	s_wait_xcnt 0x0
	s_delay_alu instid0(VALU_DEP_1) | instskip(NEXT) | instid1(VALU_DEP_1)
	v_and_b32_e32 v12, 0x7f800000, v10
	v_cmp_ne_u32_e32 vcc_lo, 0x7f800000, v12
                                        ; implicit-def: $vgpr12
	s_and_saveexec_b32 s18, vcc_lo
	s_delay_alu instid0(SALU_CYCLE_1)
	s_xor_b32 s18, exec_lo, s18
; %bb.51:                               ;   in Loop: Header=BB431_4 Depth=1
	v_bfe_u32 v12, v10, 16, 1
	s_delay_alu instid0(VALU_DEP_1)
	v_add3_u32 v12, v10, v12, 0x7fff
                                        ; implicit-def: $vgpr10
; %bb.52:                               ;   in Loop: Header=BB431_4 Depth=1
	s_and_not1_saveexec_b32 s18, s18
; %bb.53:                               ;   in Loop: Header=BB431_4 Depth=1
	v_and_b32_e32 v12, 0xffff, v10
	v_or_b32_e32 v13, 0x10000, v10
	s_delay_alu instid0(VALU_DEP_2) | instskip(NEXT) | instid1(VALU_DEP_2)
	v_cmp_eq_u32_e32 vcc_lo, 0, v12
	v_cndmask_b32_e32 v12, v13, v10, vcc_lo
; %bb.54:                               ;   in Loop: Header=BB431_4 Depth=1
	s_or_b32 exec_lo, exec_lo, s18
	s_delay_alu instid0(VALU_DEP_1) | instskip(NEXT) | instid1(VALU_DEP_1)
	v_fma_mix_f32_bf16 v10, s2, v11, v12 op_sel:[0,0,1] op_sel_hi:[0,0,1]
	v_and_b32_e32 v11, 0x7f800000, v10
	s_delay_alu instid0(VALU_DEP_1) | instskip(SKIP_1) | instid1(SALU_CYCLE_1)
	v_cmp_ne_u32_e32 vcc_lo, 0x7f800000, v11
                                        ; implicit-def: $vgpr11
	s_and_saveexec_b32 s18, vcc_lo
	s_xor_b32 s18, exec_lo, s18
; %bb.55:                               ;   in Loop: Header=BB431_4 Depth=1
	v_bfe_u32 v11, v10, 16, 1
	s_delay_alu instid0(VALU_DEP_1)
	v_add3_u32 v11, v10, v11, 0x7fff
                                        ; implicit-def: $vgpr10
; %bb.56:                               ;   in Loop: Header=BB431_4 Depth=1
	s_and_not1_saveexec_b32 s18, s18
	s_cbranch_execz .LBB431_2
; %bb.57:                               ;   in Loop: Header=BB431_4 Depth=1
	v_and_b32_e32 v11, 0xffff, v10
	v_or_b32_e32 v12, 0x10000, v10
	s_delay_alu instid0(VALU_DEP_2) | instskip(NEXT) | instid1(VALU_DEP_2)
	v_cmp_eq_u32_e32 vcc_lo, 0, v11
	v_cndmask_b32_e32 v11, v12, v10, vcc_lo
	s_branch .LBB431_2
.LBB431_58:
	s_endpgm
	.section	.rodata,"a",@progbits
	.p2align	6, 0x0
	.amdhsa_kernel _ZN12_GLOBAL__N_127rocblas_gemm_batched_kernelIfLi16ELi16ELi32ELi32ELi8ELi32ELi8ELi8ELi32ELc67ELc67EK16rocblas_bfloat16S2_S1_EEvlllT_PT11_llS5_llS3_PT12_llPT13_lli
		.amdhsa_group_segment_fixed_size 2048
		.amdhsa_private_segment_fixed_size 0
		.amdhsa_kernarg_size 140
		.amdhsa_user_sgpr_count 2
		.amdhsa_user_sgpr_dispatch_ptr 0
		.amdhsa_user_sgpr_queue_ptr 0
		.amdhsa_user_sgpr_kernarg_segment_ptr 1
		.amdhsa_user_sgpr_dispatch_id 0
		.amdhsa_user_sgpr_kernarg_preload_length 0
		.amdhsa_user_sgpr_kernarg_preload_offset 0
		.amdhsa_user_sgpr_private_segment_size 0
		.amdhsa_wavefront_size32 1
		.amdhsa_uses_dynamic_stack 0
		.amdhsa_enable_private_segment 0
		.amdhsa_system_sgpr_workgroup_id_x 1
		.amdhsa_system_sgpr_workgroup_id_y 1
		.amdhsa_system_sgpr_workgroup_id_z 1
		.amdhsa_system_sgpr_workgroup_info 0
		.amdhsa_system_vgpr_workitem_id 1
		.amdhsa_next_free_vgpr 52
		.amdhsa_next_free_sgpr 38
		.amdhsa_named_barrier_count 0
		.amdhsa_reserve_vcc 1
		.amdhsa_float_round_mode_32 0
		.amdhsa_float_round_mode_16_64 0
		.amdhsa_float_denorm_mode_32 3
		.amdhsa_float_denorm_mode_16_64 3
		.amdhsa_fp16_overflow 0
		.amdhsa_memory_ordered 1
		.amdhsa_forward_progress 1
		.amdhsa_inst_pref_size 20
		.amdhsa_round_robin_scheduling 0
		.amdhsa_exception_fp_ieee_invalid_op 0
		.amdhsa_exception_fp_denorm_src 0
		.amdhsa_exception_fp_ieee_div_zero 0
		.amdhsa_exception_fp_ieee_overflow 0
		.amdhsa_exception_fp_ieee_underflow 0
		.amdhsa_exception_fp_ieee_inexact 0
		.amdhsa_exception_int_div_zero 0
	.end_amdhsa_kernel
	.section	.text._ZN12_GLOBAL__N_127rocblas_gemm_batched_kernelIfLi16ELi16ELi32ELi32ELi8ELi32ELi8ELi8ELi32ELc67ELc67EK16rocblas_bfloat16S2_S1_EEvlllT_PT11_llS5_llS3_PT12_llPT13_lli,"axG",@progbits,_ZN12_GLOBAL__N_127rocblas_gemm_batched_kernelIfLi16ELi16ELi32ELi32ELi8ELi32ELi8ELi8ELi32ELc67ELc67EK16rocblas_bfloat16S2_S1_EEvlllT_PT11_llS5_llS3_PT12_llPT13_lli,comdat
.Lfunc_end431:
	.size	_ZN12_GLOBAL__N_127rocblas_gemm_batched_kernelIfLi16ELi16ELi32ELi32ELi8ELi32ELi8ELi8ELi32ELc67ELc67EK16rocblas_bfloat16S2_S1_EEvlllT_PT11_llS5_llS3_PT12_llPT13_lli, .Lfunc_end431-_ZN12_GLOBAL__N_127rocblas_gemm_batched_kernelIfLi16ELi16ELi32ELi32ELi8ELi32ELi8ELi8ELi32ELc67ELc67EK16rocblas_bfloat16S2_S1_EEvlllT_PT11_llS5_llS3_PT12_llPT13_lli
                                        ; -- End function
	.set _ZN12_GLOBAL__N_127rocblas_gemm_batched_kernelIfLi16ELi16ELi32ELi32ELi8ELi32ELi8ELi8ELi32ELc67ELc67EK16rocblas_bfloat16S2_S1_EEvlllT_PT11_llS5_llS3_PT12_llPT13_lli.num_vgpr, 52
	.set _ZN12_GLOBAL__N_127rocblas_gemm_batched_kernelIfLi16ELi16ELi32ELi32ELi8ELi32ELi8ELi8ELi32ELc67ELc67EK16rocblas_bfloat16S2_S1_EEvlllT_PT11_llS5_llS3_PT12_llPT13_lli.num_agpr, 0
	.set _ZN12_GLOBAL__N_127rocblas_gemm_batched_kernelIfLi16ELi16ELi32ELi32ELi8ELi32ELi8ELi8ELi32ELc67ELc67EK16rocblas_bfloat16S2_S1_EEvlllT_PT11_llS5_llS3_PT12_llPT13_lli.numbered_sgpr, 38
	.set _ZN12_GLOBAL__N_127rocblas_gemm_batched_kernelIfLi16ELi16ELi32ELi32ELi8ELi32ELi8ELi8ELi32ELc67ELc67EK16rocblas_bfloat16S2_S1_EEvlllT_PT11_llS5_llS3_PT12_llPT13_lli.num_named_barrier, 0
	.set _ZN12_GLOBAL__N_127rocblas_gemm_batched_kernelIfLi16ELi16ELi32ELi32ELi8ELi32ELi8ELi8ELi32ELc67ELc67EK16rocblas_bfloat16S2_S1_EEvlllT_PT11_llS5_llS3_PT12_llPT13_lli.private_seg_size, 0
	.set _ZN12_GLOBAL__N_127rocblas_gemm_batched_kernelIfLi16ELi16ELi32ELi32ELi8ELi32ELi8ELi8ELi32ELc67ELc67EK16rocblas_bfloat16S2_S1_EEvlllT_PT11_llS5_llS3_PT12_llPT13_lli.uses_vcc, 1
	.set _ZN12_GLOBAL__N_127rocblas_gemm_batched_kernelIfLi16ELi16ELi32ELi32ELi8ELi32ELi8ELi8ELi32ELc67ELc67EK16rocblas_bfloat16S2_S1_EEvlllT_PT11_llS5_llS3_PT12_llPT13_lli.uses_flat_scratch, 0
	.set _ZN12_GLOBAL__N_127rocblas_gemm_batched_kernelIfLi16ELi16ELi32ELi32ELi8ELi32ELi8ELi8ELi32ELc67ELc67EK16rocblas_bfloat16S2_S1_EEvlllT_PT11_llS5_llS3_PT12_llPT13_lli.has_dyn_sized_stack, 0
	.set _ZN12_GLOBAL__N_127rocblas_gemm_batched_kernelIfLi16ELi16ELi32ELi32ELi8ELi32ELi8ELi8ELi32ELc67ELc67EK16rocblas_bfloat16S2_S1_EEvlllT_PT11_llS5_llS3_PT12_llPT13_lli.has_recursion, 0
	.set _ZN12_GLOBAL__N_127rocblas_gemm_batched_kernelIfLi16ELi16ELi32ELi32ELi8ELi32ELi8ELi8ELi32ELc67ELc67EK16rocblas_bfloat16S2_S1_EEvlllT_PT11_llS5_llS3_PT12_llPT13_lli.has_indirect_call, 0
	.section	.AMDGPU.csdata,"",@progbits
; Kernel info:
; codeLenInByte = 2500
; TotalNumSgprs: 40
; NumVgprs: 52
; ScratchSize: 0
; MemoryBound: 0
; FloatMode: 240
; IeeeMode: 1
; LDSByteSize: 2048 bytes/workgroup (compile time only)
; SGPRBlocks: 0
; VGPRBlocks: 3
; NumSGPRsForWavesPerEU: 40
; NumVGPRsForWavesPerEU: 52
; NamedBarCnt: 0
; Occupancy: 16
; WaveLimiterHint : 0
; COMPUTE_PGM_RSRC2:SCRATCH_EN: 0
; COMPUTE_PGM_RSRC2:USER_SGPR: 2
; COMPUTE_PGM_RSRC2:TRAP_HANDLER: 0
; COMPUTE_PGM_RSRC2:TGID_X_EN: 1
; COMPUTE_PGM_RSRC2:TGID_Y_EN: 1
; COMPUTE_PGM_RSRC2:TGID_Z_EN: 1
; COMPUTE_PGM_RSRC2:TIDIG_COMP_CNT: 1
	.section	.text._ZN12_GLOBAL__N_127rocblas_gemm_batched_kernelIfLi16ELi16ELi32ELi32ELi8ELi32ELi8ELi8ELi32ELc67ELc78EK16rocblas_bfloat16S2_S1_EEvlllT_PT11_llS5_llS3_PT12_llPT13_lli,"axG",@progbits,_ZN12_GLOBAL__N_127rocblas_gemm_batched_kernelIfLi16ELi16ELi32ELi32ELi8ELi32ELi8ELi8ELi32ELc67ELc78EK16rocblas_bfloat16S2_S1_EEvlllT_PT11_llS5_llS3_PT12_llPT13_lli,comdat
	.globl	_ZN12_GLOBAL__N_127rocblas_gemm_batched_kernelIfLi16ELi16ELi32ELi32ELi8ELi32ELi8ELi8ELi32ELc67ELc78EK16rocblas_bfloat16S2_S1_EEvlllT_PT11_llS5_llS3_PT12_llPT13_lli ; -- Begin function _ZN12_GLOBAL__N_127rocblas_gemm_batched_kernelIfLi16ELi16ELi32ELi32ELi8ELi32ELi8ELi8ELi32ELc67ELc78EK16rocblas_bfloat16S2_S1_EEvlllT_PT11_llS5_llS3_PT12_llPT13_lli
	.p2align	8
	.type	_ZN12_GLOBAL__N_127rocblas_gemm_batched_kernelIfLi16ELi16ELi32ELi32ELi8ELi32ELi8ELi8ELi32ELc67ELc78EK16rocblas_bfloat16S2_S1_EEvlllT_PT11_llS5_llS3_PT12_llPT13_lli,@function
_ZN12_GLOBAL__N_127rocblas_gemm_batched_kernelIfLi16ELi16ELi32ELi32ELi8ELi32ELi8ELi8ELi32ELc67ELc78EK16rocblas_bfloat16S2_S1_EEvlllT_PT11_llS5_llS3_PT12_llPT13_lli: ; @_ZN12_GLOBAL__N_127rocblas_gemm_batched_kernelIfLi16ELi16ELi32ELi32ELi8ELi32ELi8ELi8ELi32ELc67ELc78EK16rocblas_bfloat16S2_S1_EEvlllT_PT11_llS5_llS3_PT12_llPT13_lli
; %bb.0:
	s_load_b32 s3, s[0:1], 0x88
	s_bfe_u32 s2, ttmp6, 0x40014
	s_lshr_b32 s4, ttmp7, 16
	s_add_co_i32 s2, s2, 1
	s_bfe_u32 s6, ttmp6, 0x40008
	s_mul_i32 s5, s4, s2
	s_getreg_b32 s2, hwreg(HW_REG_IB_STS2, 6, 4)
	s_add_co_i32 s6, s6, s5
	s_cmp_eq_u32 s2, 0
	s_mov_b32 s29, 0
	s_cselect_b32 s28, s4, s6
	s_wait_kmcnt 0x0
	s_cmp_ge_i32 s28, s3
	s_cbranch_scc1 .LBB432_58
; %bb.1:
	s_bfe_u32 s20, ttmp6, 0x4000c
	s_bfe_u32 s22, ttmp6, 0x40010
	s_add_co_i32 s20, s20, 1
	s_and_b32 s23, ttmp7, 0xffff
	s_add_co_i32 s22, s22, 1
	v_bfe_u32 v4, v0, 10, 10
	v_and_b32_e32 v6, 0x3ff, v0
	s_and_b32 s21, ttmp6, 15
	s_mul_i32 s20, ttmp9, s20
	s_mul_i32 s22, s23, s22
	s_bfe_u32 s30, ttmp6, 0x40004
	s_clause 0x2
	s_load_b256 s[12:19], s[0:1], 0x20
	s_load_b128 s[24:27], s[0:1], 0x40
	s_load_b256 s[4:11], s[0:1], 0x58
	s_add_co_i32 s21, s21, s20
	s_add_co_i32 s30, s30, s22
	s_cmp_eq_u32 s2, 0
	v_lshl_add_u32 v1, v4, 4, v6
	v_mov_b32_e32 v5, 0
	s_cselect_b32 s34, ttmp9, s21
	s_cselect_b32 s2, s23, s30
	s_ashr_i32 s35, s34, 31
	v_lshrrev_b32_e32 v8, 3, v1
	s_lshl_b64 s[34:35], s[34:35], 5
	v_mov_b32_e32 v9, v5
	s_lshl_b32 s36, s2, 5
	s_mov_b32 s37, s29
	s_clause 0x1
	s_load_b32 s30, s[0:1], 0x50
	s_load_b128 s[20:23], s[0:1], 0x78
	v_add_nc_u64_e32 v[2:3], s[36:37], v[8:9]
	v_dual_mov_b32 v7, v5 :: v_dual_bitop2_b32 v9, 31, v1 bitop3:0x40
	v_and_b32_e32 v0, 7, v0
	v_add_nc_u64_e32 v[12:13], s[36:37], v[4:5]
	s_wait_xcnt 0x0
	s_load_b96 s[0:2], s[0:1], 0x10
	v_lshl_add_u32 v22, v4, 5, 0x400
	s_wait_kmcnt 0x0
	v_mul_u64_e32 v[10:11], s[24:25], v[2:3]
	v_dual_mov_b32 v3, s35 :: v_dual_bitop2_b32 v2, s34, v9 bitop3:0x54
	v_lshlrev_b32_e32 v4, 1, v0
	v_mul_u64_e32 v[16:17], s[6:7], v[12:13]
	v_lshlrev_b32_e32 v25, 2, v6
	s_delay_alu instid0(VALU_DEP_4)
	v_mul_u64_e32 v[14:15], s[14:15], v[2:3]
	s_cmp_eq_f32 s30, 0
	v_mul_u64_e32 v[2:3], s[20:21], v[12:13]
	v_dual_lshlrev_b32 v12, 2, v0 :: v_dual_lshrrev_b32 v0, 5, v1
	v_lshlrev_b32_e32 v1, 2, v9
	s_cselect_b32 s24, -1, 0
	s_lshl_b64 s[14:15], s[20:21], 4
	s_delay_alu instid0(VALU_DEP_2) | instskip(NEXT) | instid1(VALU_DEP_2)
	v_lshl_or_b32 v12, v8, 5, v12
	v_lshl_or_b32 v23, v0, 7, v1
	s_delay_alu instid0(VALU_DEP_2) | instskip(SKIP_3) | instid1(VALU_DEP_3)
	v_add_nc_u32_e32 v24, 0x400, v12
	v_lshl_add_u64 v[8:9], v[10:11], 1, v[4:5]
	v_lshlrev_b32_e32 v4, 1, v0
	v_add_nc_u64_e32 v[0:1], s[34:35], v[6:7]
	v_add_nc_u64_e32 v[6:7], s[18:19], v[8:9]
	v_cmp_gt_i64_e64 s18, s[0:1], 0
	s_delay_alu instid0(VALU_DEP_4) | instskip(SKIP_3) | instid1(VALU_DEP_2)
	v_lshl_add_u64 v[10:11], v[14:15], 1, v[4:5]
	v_lshl_add_u64 v[4:5], v[16:17], 1, s[4:5]
	s_lshl_b64 s[4:5], s[6:7], 4
	s_lshl_b64 s[6:7], s[26:27], 1
	v_add_nc_u64_e32 v[8:9], s[12:13], v[10:11]
	s_lshl_b64 s[12:13], s[16:17], 1
	s_branch .LBB432_4
.LBB432_2:                              ;   in Loop: Header=BB432_4 Depth=1
	s_or_b32 exec_lo, exec_lo, s16
	global_store_d16_hi_b16 v[14:15], v11, off offset:32
.LBB432_3:                              ;   in Loop: Header=BB432_4 Depth=1
	s_add_co_i32 s28, s28, 0x10000
	s_delay_alu instid0(SALU_CYCLE_1)
	s_cmp_lt_i32 s28, s3
	s_cbranch_scc0 .LBB432_58
.LBB432_4:                              ; =>This Loop Header: Depth=1
                                        ;     Child Loop BB432_6 Depth 2
	v_dual_mov_b32 v13, 0 :: v_dual_mov_b32 v12, 0
	s_wait_xcnt 0x0
	v_dual_mov_b32 v11, 0 :: v_dual_mov_b32 v10, 0
	s_and_not1_b32 vcc_lo, exec_lo, s18
	s_cbranch_vccnz .LBB432_7
; %bb.5:                                ;   in Loop: Header=BB432_4 Depth=1
	v_mad_nc_u64_u32 v[14:15], s6, s28, v[6:7]
	v_mad_nc_u64_u32 v[16:17], s12, s28, v[8:9]
	v_mov_b32_e32 v10, 0
	s_mov_b64 s[16:17], 0
	s_delay_alu instid0(VALU_DEP_1)
	v_dual_mov_b32 v11, v10 :: v_dual_mov_b32 v12, v10
	v_mov_b32_e32 v13, v10
	v_mad_u32 v15, s7, s28, v15
	v_mad_u32 v17, s13, s28, v17
.LBB432_6:                              ;   Parent Loop BB432_4 Depth=1
                                        ; =>  This Inner Loop Header: Depth=2
	global_load_u16 v18, v[16:17], off
	global_load_u16 v19, v[14:15], off
	s_add_nc_u64 s[16:17], s[16:17], 8
	s_wait_xcnt 0x0
	v_add_nc_u64_e32 v[14:15], 16, v[14:15]
	v_cmp_lt_i64_e64 s19, s[16:17], s[0:1]
	v_add_nc_u64_e32 v[16:17], 16, v[16:17]
	s_and_b32 vcc_lo, exec_lo, s19
	s_wait_loadcnt 0x0
	v_dual_lshlrev_b32 v18, 16, v18 :: v_dual_lshlrev_b32 v19, 16, v19
	ds_store_b32 v23, v18
	ds_store_b32 v24, v19
	s_wait_dscnt 0x0
	s_barrier_signal -1
	s_barrier_wait -1
	ds_load_b128 v[18:21], v22
	ds_load_2addr_b32 v[38:39], v25 offset1:16
	ds_load_b128 v[26:29], v22 offset:512
	ds_load_2addr_b32 v[40:41], v25 offset0:32 offset1:48
	ds_load_2addr_b32 v[42:43], v25 offset0:64 offset1:80
	ds_load_b128 v[30:33], v22 offset:16
	ds_load_2addr_b32 v[44:45], v25 offset0:96 offset1:112
	ds_load_2addr_b32 v[46:47], v25 offset0:128 offset1:144
	;; [unrolled: 3-line block ×3, first 2 shown]
	s_wait_dscnt 0x9
	v_pk_fma_f32 v[12:13], v[38:39], v[18:19], v[12:13] op_sel_hi:[1,0,1]
	s_wait_dscnt 0x8
	v_pk_fma_f32 v[10:11], v[38:39], v[26:27], v[10:11] op_sel_hi:[1,0,1]
	v_mov_b32_e32 v38, v21
	s_wait_dscnt 0x7
	v_pk_fma_f32 v[12:13], v[40:41], v[18:19], v[12:13] op_sel:[0,1,0]
	s_delay_alu instid0(VALU_DEP_3) | instskip(SKIP_2) | instid1(VALU_DEP_3)
	v_pk_fma_f32 v[10:11], v[40:41], v[26:27], v[10:11] op_sel:[0,1,0]
	s_wait_dscnt 0x2
	v_dual_mov_b32 v18, v29 :: v_dual_mov_b32 v26, v37
	v_pk_fma_f32 v[12:13], v[42:43], v[20:21], v[12:13] op_sel_hi:[1,0,1]
	s_delay_alu instid0(VALU_DEP_3)
	v_pk_fma_f32 v[10:11], v[42:43], v[28:29], v[10:11] op_sel_hi:[1,0,1]
	ds_load_2addr_b32 v[20:21], v25 offset0:224 offset1:240
	s_wait_dscnt 0x0
	s_barrier_signal -1
	v_pk_fma_f32 v[12:13], v[44:45], v[38:39], v[12:13] op_sel_hi:[1,0,1]
	v_pk_fma_f32 v[10:11], v[44:45], v[18:19], v[10:11] op_sel_hi:[1,0,1]
	v_mov_b32_e32 v18, v33
	s_barrier_wait -1
	s_delay_alu instid0(VALU_DEP_3) | instskip(NEXT) | instid1(VALU_DEP_3)
	v_pk_fma_f32 v[12:13], v[46:47], v[30:31], v[12:13] op_sel_hi:[1,0,1]
	v_pk_fma_f32 v[10:11], v[46:47], v[34:35], v[10:11] op_sel_hi:[1,0,1]
	s_delay_alu instid0(VALU_DEP_2) | instskip(NEXT) | instid1(VALU_DEP_2)
	v_pk_fma_f32 v[12:13], v[48:49], v[30:31], v[12:13] op_sel:[0,1,0]
	v_pk_fma_f32 v[10:11], v[48:49], v[34:35], v[10:11] op_sel:[0,1,0]
	s_delay_alu instid0(VALU_DEP_2) | instskip(NEXT) | instid1(VALU_DEP_2)
	v_pk_fma_f32 v[12:13], v[50:51], v[32:33], v[12:13] op_sel_hi:[1,0,1]
	v_pk_fma_f32 v[10:11], v[50:51], v[36:37], v[10:11] op_sel_hi:[1,0,1]
	s_delay_alu instid0(VALU_DEP_2) | instskip(NEXT) | instid1(VALU_DEP_2)
	v_pk_fma_f32 v[12:13], v[20:21], v[18:19], v[12:13] op_sel_hi:[1,0,1]
	v_pk_fma_f32 v[10:11], v[20:21], v[26:27], v[10:11] op_sel_hi:[1,0,1]
	s_cbranch_vccnz .LBB432_6
.LBB432_7:                              ;   in Loop: Header=BB432_4 Depth=1
	s_mul_u64 s[16:17], s[22:23], s[28:29]
	s_and_not1_b32 vcc_lo, exec_lo, s24
	s_lshl_b64 s[16:17], s[16:17], 1
	s_delay_alu instid0(SALU_CYCLE_1)
	s_add_nc_u64 s[16:17], s[10:11], s[16:17]
	s_cbranch_vccnz .LBB432_25
; %bb.8:                                ;   in Loop: Header=BB432_4 Depth=1
	v_mul_f32_e32 v14, s2, v12
	s_mov_b32 s19, exec_lo
                                        ; implicit-def: $vgpr18
	s_delay_alu instid0(VALU_DEP_1) | instskip(NEXT) | instid1(VALU_DEP_1)
	v_and_b32_e32 v15, 0x7f800000, v14
	v_cmpx_ne_u32_e32 0x7f800000, v15
	s_xor_b32 s19, exec_lo, s19
; %bb.9:                                ;   in Loop: Header=BB432_4 Depth=1
	v_bfe_u32 v15, v14, 16, 1
	s_delay_alu instid0(VALU_DEP_1)
	v_add3_u32 v18, v14, v15, 0x7fff
                                        ; implicit-def: $vgpr14
; %bb.10:                               ;   in Loop: Header=BB432_4 Depth=1
	s_and_not1_saveexec_b32 s19, s19
; %bb.11:                               ;   in Loop: Header=BB432_4 Depth=1
	v_and_b32_e32 v15, 0xffff, v14
	v_or_b32_e32 v16, 0x10000, v14
	s_delay_alu instid0(VALU_DEP_2) | instskip(NEXT) | instid1(VALU_DEP_2)
	v_cmp_eq_u32_e32 vcc_lo, 0, v15
	v_cndmask_b32_e32 v18, v16, v14, vcc_lo
; %bb.12:                               ;   in Loop: Header=BB432_4 Depth=1
	s_or_b32 exec_lo, exec_lo, s19
	v_mul_f32_e32 v19, s2, v13
	v_lshl_add_u64 v[14:15], v[2:3], 1, s[16:17]
	s_delay_alu instid0(VALU_DEP_2) | instskip(NEXT) | instid1(VALU_DEP_2)
	v_and_b32_e32 v20, 0x7f800000, v19
	v_lshl_add_u64 v[16:17], v[0:1], 1, v[14:15]
	s_delay_alu instid0(VALU_DEP_2) | instskip(SKIP_3) | instid1(SALU_CYCLE_1)
	v_cmp_ne_u32_e32 vcc_lo, 0x7f800000, v20
	global_store_d16_hi_b16 v[16:17], v18, off
                                        ; implicit-def: $vgpr20
	s_wait_xcnt 0x0
	s_and_saveexec_b32 s19, vcc_lo
	s_xor_b32 s19, exec_lo, s19
; %bb.13:                               ;   in Loop: Header=BB432_4 Depth=1
	v_bfe_u32 v18, v19, 16, 1
	s_delay_alu instid0(VALU_DEP_1)
	v_add3_u32 v20, v19, v18, 0x7fff
                                        ; implicit-def: $vgpr19
; %bb.14:                               ;   in Loop: Header=BB432_4 Depth=1
	s_and_not1_saveexec_b32 s19, s19
; %bb.15:                               ;   in Loop: Header=BB432_4 Depth=1
	v_and_b32_e32 v18, 0xffff, v19
	v_or_b32_e32 v20, 0x10000, v19
	s_delay_alu instid0(VALU_DEP_2) | instskip(NEXT) | instid1(VALU_DEP_2)
	v_cmp_eq_u32_e32 vcc_lo, 0, v18
	v_cndmask_b32_e32 v20, v20, v19, vcc_lo
; %bb.16:                               ;   in Loop: Header=BB432_4 Depth=1
	s_or_b32 exec_lo, exec_lo, s19
	v_mul_f32_e32 v18, s2, v10
	s_mov_b32 s19, exec_lo
	global_store_d16_hi_b16 v[16:17], v20, off offset:32
                                        ; implicit-def: $vgpr16
	v_and_b32_e32 v19, 0x7f800000, v18
	s_wait_xcnt 0x0
	s_delay_alu instid0(VALU_DEP_1)
	v_cmpx_ne_u32_e32 0x7f800000, v19
	s_xor_b32 s19, exec_lo, s19
; %bb.17:                               ;   in Loop: Header=BB432_4 Depth=1
	v_bfe_u32 v16, v18, 16, 1
	s_delay_alu instid0(VALU_DEP_1)
	v_add3_u32 v16, v18, v16, 0x7fff
                                        ; implicit-def: $vgpr18
; %bb.18:                               ;   in Loop: Header=BB432_4 Depth=1
	s_and_not1_saveexec_b32 s19, s19
; %bb.19:                               ;   in Loop: Header=BB432_4 Depth=1
	v_and_b32_e32 v16, 0xffff, v18
	v_or_b32_e32 v17, 0x10000, v18
	s_delay_alu instid0(VALU_DEP_2) | instskip(NEXT) | instid1(VALU_DEP_2)
	v_cmp_eq_u32_e32 vcc_lo, 0, v16
	v_cndmask_b32_e32 v16, v17, v18, vcc_lo
; %bb.20:                               ;   in Loop: Header=BB432_4 Depth=1
	s_or_b32 exec_lo, exec_lo, s19
	v_mul_f32_e32 v17, s2, v11
	v_lshl_add_u64 v[14:15], s[14:15], 1, v[14:15]
	s_mov_b32 s19, exec_lo
	s_delay_alu instid0(VALU_DEP_2) | instskip(NEXT) | instid1(VALU_DEP_2)
	v_and_b32_e32 v18, 0x7f800000, v17
	v_lshl_add_u64 v[14:15], v[0:1], 1, v[14:15]
	global_store_d16_hi_b16 v[14:15], v16, off
                                        ; implicit-def: $vgpr16
	s_wait_xcnt 0x0
	v_cmpx_ne_u32_e32 0x7f800000, v18
	s_xor_b32 s19, exec_lo, s19
; %bb.21:                               ;   in Loop: Header=BB432_4 Depth=1
	v_bfe_u32 v16, v17, 16, 1
	s_delay_alu instid0(VALU_DEP_1)
	v_add3_u32 v16, v17, v16, 0x7fff
                                        ; implicit-def: $vgpr17
; %bb.22:                               ;   in Loop: Header=BB432_4 Depth=1
	s_and_not1_saveexec_b32 s19, s19
; %bb.23:                               ;   in Loop: Header=BB432_4 Depth=1
	v_and_b32_e32 v16, 0xffff, v17
	v_or_b32_e32 v18, 0x10000, v17
	s_delay_alu instid0(VALU_DEP_2) | instskip(NEXT) | instid1(VALU_DEP_2)
	v_cmp_eq_u32_e32 vcc_lo, 0, v16
	v_cndmask_b32_e32 v16, v18, v17, vcc_lo
; %bb.24:                               ;   in Loop: Header=BB432_4 Depth=1
	s_or_b32 exec_lo, exec_lo, s19
	global_store_d16_hi_b16 v[14:15], v16, off offset:32
	s_branch .LBB432_3
.LBB432_25:                             ;   in Loop: Header=BB432_4 Depth=1
	s_cbranch_execz .LBB432_3
; %bb.26:                               ;   in Loop: Header=BB432_4 Depth=1
	s_mul_u64 s[20:21], s[8:9], s[28:29]
	s_wait_xcnt 0x0
	v_lshl_add_u64 v[14:15], s[20:21], 1, v[4:5]
	s_delay_alu instid0(VALU_DEP_1) | instskip(SKIP_3) | instid1(VALU_DEP_1)
	v_lshl_add_u64 v[18:19], v[0:1], 1, v[14:15]
	global_load_u16 v16, v[18:19], off
	s_wait_loadcnt 0x0
	v_lshlrev_b32_e32 v16, 16, v16
	v_mul_f32_e32 v16, s30, v16
	s_delay_alu instid0(VALU_DEP_1) | instskip(NEXT) | instid1(VALU_DEP_1)
	v_and_b32_e32 v17, 0x7f800000, v16
	v_cmp_ne_u32_e32 vcc_lo, 0x7f800000, v17
                                        ; implicit-def: $vgpr17
	s_wait_xcnt 0x0
	s_and_saveexec_b32 s19, vcc_lo
	s_delay_alu instid0(SALU_CYCLE_1)
	s_xor_b32 s19, exec_lo, s19
; %bb.27:                               ;   in Loop: Header=BB432_4 Depth=1
	v_bfe_u32 v17, v16, 16, 1
	s_delay_alu instid0(VALU_DEP_1)
	v_add3_u32 v17, v16, v17, 0x7fff
                                        ; implicit-def: $vgpr16
; %bb.28:                               ;   in Loop: Header=BB432_4 Depth=1
	s_and_not1_saveexec_b32 s19, s19
; %bb.29:                               ;   in Loop: Header=BB432_4 Depth=1
	v_and_b32_e32 v17, 0xffff, v16
	v_or_b32_e32 v20, 0x10000, v16
	s_delay_alu instid0(VALU_DEP_2) | instskip(NEXT) | instid1(VALU_DEP_2)
	v_cmp_eq_u32_e32 vcc_lo, 0, v17
	v_cndmask_b32_e32 v17, v20, v16, vcc_lo
; %bb.30:                               ;   in Loop: Header=BB432_4 Depth=1
	s_or_b32 exec_lo, exec_lo, s19
	s_delay_alu instid0(VALU_DEP_1) | instskip(SKIP_1) | instid1(VALU_DEP_1)
	v_fma_mix_f32_bf16 v12, s2, v12, v17 op_sel:[0,0,1] op_sel_hi:[0,0,1]
	s_mov_b32 s19, exec_lo
                                        ; implicit-def: $vgpr26
	v_and_b32_e32 v16, 0x7f800000, v12
	s_delay_alu instid0(VALU_DEP_1)
	v_cmpx_ne_u32_e32 0x7f800000, v16
	s_xor_b32 s19, exec_lo, s19
; %bb.31:                               ;   in Loop: Header=BB432_4 Depth=1
	v_bfe_u32 v16, v12, 16, 1
	s_delay_alu instid0(VALU_DEP_1)
	v_add3_u32 v26, v12, v16, 0x7fff
                                        ; implicit-def: $vgpr12
; %bb.32:                               ;   in Loop: Header=BB432_4 Depth=1
	s_and_not1_saveexec_b32 s19, s19
; %bb.33:                               ;   in Loop: Header=BB432_4 Depth=1
	v_and_b32_e32 v16, 0xffff, v12
	v_or_b32_e32 v17, 0x10000, v12
	s_delay_alu instid0(VALU_DEP_2) | instskip(NEXT) | instid1(VALU_DEP_2)
	v_cmp_eq_u32_e32 vcc_lo, 0, v16
	v_cndmask_b32_e32 v26, v17, v12, vcc_lo
; %bb.34:                               ;   in Loop: Header=BB432_4 Depth=1
	s_or_b32 exec_lo, exec_lo, s19
	v_lshl_add_u64 v[16:17], v[2:3], 1, s[16:17]
	s_delay_alu instid0(VALU_DEP_1) | instskip(SKIP_4) | instid1(VALU_DEP_1)
	v_lshl_add_u64 v[20:21], v[0:1], 1, v[16:17]
	global_store_d16_hi_b16 v[20:21], v26, off
	global_load_u16 v12, v[18:19], off offset:32
	s_wait_loadcnt 0x0
	v_lshlrev_b32_e32 v12, 16, v12
	v_mul_f32_e32 v12, s30, v12
	s_wait_xcnt 0x0
	s_delay_alu instid0(VALU_DEP_1) | instskip(NEXT) | instid1(VALU_DEP_1)
	v_and_b32_e32 v18, 0x7f800000, v12
	v_cmp_ne_u32_e32 vcc_lo, 0x7f800000, v18
                                        ; implicit-def: $vgpr18
	s_and_saveexec_b32 s16, vcc_lo
	s_delay_alu instid0(SALU_CYCLE_1)
	s_xor_b32 s16, exec_lo, s16
; %bb.35:                               ;   in Loop: Header=BB432_4 Depth=1
	v_bfe_u32 v18, v12, 16, 1
	s_delay_alu instid0(VALU_DEP_1)
	v_add3_u32 v18, v12, v18, 0x7fff
                                        ; implicit-def: $vgpr12
; %bb.36:                               ;   in Loop: Header=BB432_4 Depth=1
	s_and_not1_saveexec_b32 s16, s16
; %bb.37:                               ;   in Loop: Header=BB432_4 Depth=1
	v_and_b32_e32 v18, 0xffff, v12
	v_or_b32_e32 v19, 0x10000, v12
	s_delay_alu instid0(VALU_DEP_2) | instskip(NEXT) | instid1(VALU_DEP_2)
	v_cmp_eq_u32_e32 vcc_lo, 0, v18
	v_cndmask_b32_e32 v18, v19, v12, vcc_lo
; %bb.38:                               ;   in Loop: Header=BB432_4 Depth=1
	s_or_b32 exec_lo, exec_lo, s16
	s_delay_alu instid0(VALU_DEP_1) | instskip(SKIP_1) | instid1(VALU_DEP_1)
	v_fma_mix_f32_bf16 v12, s2, v13, v18 op_sel:[0,0,1] op_sel_hi:[0,0,1]
	s_mov_b32 s16, exec_lo
                                        ; implicit-def: $vgpr18
	v_and_b32_e32 v13, 0x7f800000, v12
	s_delay_alu instid0(VALU_DEP_1)
	v_cmpx_ne_u32_e32 0x7f800000, v13
	s_xor_b32 s16, exec_lo, s16
; %bb.39:                               ;   in Loop: Header=BB432_4 Depth=1
	v_bfe_u32 v13, v12, 16, 1
	s_delay_alu instid0(VALU_DEP_1)
	v_add3_u32 v18, v12, v13, 0x7fff
                                        ; implicit-def: $vgpr12
; %bb.40:                               ;   in Loop: Header=BB432_4 Depth=1
	s_and_not1_saveexec_b32 s16, s16
; %bb.41:                               ;   in Loop: Header=BB432_4 Depth=1
	v_and_b32_e32 v13, 0xffff, v12
	v_or_b32_e32 v18, 0x10000, v12
	s_delay_alu instid0(VALU_DEP_2) | instskip(NEXT) | instid1(VALU_DEP_2)
	v_cmp_eq_u32_e32 vcc_lo, 0, v13
	v_cndmask_b32_e32 v18, v18, v12, vcc_lo
; %bb.42:                               ;   in Loop: Header=BB432_4 Depth=1
	s_or_b32 exec_lo, exec_lo, s16
	v_lshl_add_u64 v[12:13], s[4:5], 1, v[14:15]
	global_store_d16_hi_b16 v[20:21], v18, off offset:32
	v_lshl_add_u64 v[12:13], v[0:1], 1, v[12:13]
	global_load_u16 v14, v[12:13], off
	s_wait_loadcnt 0x0
	v_lshlrev_b32_e32 v14, 16, v14
	s_delay_alu instid0(VALU_DEP_1) | instskip(NEXT) | instid1(VALU_DEP_1)
	v_mul_f32_e32 v14, s30, v14
	v_and_b32_e32 v15, 0x7f800000, v14
	s_delay_alu instid0(VALU_DEP_1) | instskip(SKIP_2) | instid1(SALU_CYCLE_1)
	v_cmp_ne_u32_e32 vcc_lo, 0x7f800000, v15
                                        ; implicit-def: $vgpr15
	s_wait_xcnt 0x0
	s_and_saveexec_b32 s16, vcc_lo
	s_xor_b32 s16, exec_lo, s16
; %bb.43:                               ;   in Loop: Header=BB432_4 Depth=1
	v_bfe_u32 v15, v14, 16, 1
	s_delay_alu instid0(VALU_DEP_1)
	v_add3_u32 v15, v14, v15, 0x7fff
                                        ; implicit-def: $vgpr14
; %bb.44:                               ;   in Loop: Header=BB432_4 Depth=1
	s_and_not1_saveexec_b32 s16, s16
; %bb.45:                               ;   in Loop: Header=BB432_4 Depth=1
	v_and_b32_e32 v15, 0xffff, v14
	v_or_b32_e32 v18, 0x10000, v14
	s_delay_alu instid0(VALU_DEP_2) | instskip(NEXT) | instid1(VALU_DEP_2)
	v_cmp_eq_u32_e32 vcc_lo, 0, v15
	v_cndmask_b32_e32 v15, v18, v14, vcc_lo
; %bb.46:                               ;   in Loop: Header=BB432_4 Depth=1
	s_or_b32 exec_lo, exec_lo, s16
	s_delay_alu instid0(VALU_DEP_1) | instskip(SKIP_1) | instid1(VALU_DEP_1)
	v_fma_mix_f32_bf16 v10, s2, v10, v15 op_sel:[0,0,1] op_sel_hi:[0,0,1]
	s_mov_b32 s16, exec_lo
                                        ; implicit-def: $vgpr18
	v_and_b32_e32 v14, 0x7f800000, v10
	s_delay_alu instid0(VALU_DEP_1)
	v_cmpx_ne_u32_e32 0x7f800000, v14
	s_xor_b32 s16, exec_lo, s16
; %bb.47:                               ;   in Loop: Header=BB432_4 Depth=1
	v_bfe_u32 v14, v10, 16, 1
	s_delay_alu instid0(VALU_DEP_1)
	v_add3_u32 v18, v10, v14, 0x7fff
                                        ; implicit-def: $vgpr10
; %bb.48:                               ;   in Loop: Header=BB432_4 Depth=1
	s_and_not1_saveexec_b32 s16, s16
; %bb.49:                               ;   in Loop: Header=BB432_4 Depth=1
	v_and_b32_e32 v14, 0xffff, v10
	v_or_b32_e32 v15, 0x10000, v10
	s_delay_alu instid0(VALU_DEP_2) | instskip(NEXT) | instid1(VALU_DEP_2)
	v_cmp_eq_u32_e32 vcc_lo, 0, v14
	v_cndmask_b32_e32 v18, v15, v10, vcc_lo
; %bb.50:                               ;   in Loop: Header=BB432_4 Depth=1
	s_or_b32 exec_lo, exec_lo, s16
	v_lshl_add_u64 v[14:15], s[14:15], 1, v[16:17]
	s_delay_alu instid0(VALU_DEP_1) | instskip(SKIP_4) | instid1(VALU_DEP_1)
	v_lshl_add_u64 v[14:15], v[0:1], 1, v[14:15]
	global_store_d16_hi_b16 v[14:15], v18, off
	global_load_u16 v10, v[12:13], off offset:32
	s_wait_loadcnt 0x0
	v_lshlrev_b32_e32 v10, 16, v10
	v_mul_f32_e32 v10, s30, v10
	s_wait_xcnt 0x0
	s_delay_alu instid0(VALU_DEP_1) | instskip(NEXT) | instid1(VALU_DEP_1)
	v_and_b32_e32 v12, 0x7f800000, v10
	v_cmp_ne_u32_e32 vcc_lo, 0x7f800000, v12
                                        ; implicit-def: $vgpr12
	s_and_saveexec_b32 s16, vcc_lo
	s_delay_alu instid0(SALU_CYCLE_1)
	s_xor_b32 s16, exec_lo, s16
; %bb.51:                               ;   in Loop: Header=BB432_4 Depth=1
	v_bfe_u32 v12, v10, 16, 1
	s_delay_alu instid0(VALU_DEP_1)
	v_add3_u32 v12, v10, v12, 0x7fff
                                        ; implicit-def: $vgpr10
; %bb.52:                               ;   in Loop: Header=BB432_4 Depth=1
	s_and_not1_saveexec_b32 s16, s16
; %bb.53:                               ;   in Loop: Header=BB432_4 Depth=1
	v_and_b32_e32 v12, 0xffff, v10
	v_or_b32_e32 v13, 0x10000, v10
	s_delay_alu instid0(VALU_DEP_2) | instskip(NEXT) | instid1(VALU_DEP_2)
	v_cmp_eq_u32_e32 vcc_lo, 0, v12
	v_cndmask_b32_e32 v12, v13, v10, vcc_lo
; %bb.54:                               ;   in Loop: Header=BB432_4 Depth=1
	s_or_b32 exec_lo, exec_lo, s16
	s_delay_alu instid0(VALU_DEP_1) | instskip(NEXT) | instid1(VALU_DEP_1)
	v_fma_mix_f32_bf16 v10, s2, v11, v12 op_sel:[0,0,1] op_sel_hi:[0,0,1]
	v_and_b32_e32 v11, 0x7f800000, v10
	s_delay_alu instid0(VALU_DEP_1) | instskip(SKIP_1) | instid1(SALU_CYCLE_1)
	v_cmp_ne_u32_e32 vcc_lo, 0x7f800000, v11
                                        ; implicit-def: $vgpr11
	s_and_saveexec_b32 s16, vcc_lo
	s_xor_b32 s16, exec_lo, s16
; %bb.55:                               ;   in Loop: Header=BB432_4 Depth=1
	v_bfe_u32 v11, v10, 16, 1
	s_delay_alu instid0(VALU_DEP_1)
	v_add3_u32 v11, v10, v11, 0x7fff
                                        ; implicit-def: $vgpr10
; %bb.56:                               ;   in Loop: Header=BB432_4 Depth=1
	s_and_not1_saveexec_b32 s16, s16
	s_cbranch_execz .LBB432_2
; %bb.57:                               ;   in Loop: Header=BB432_4 Depth=1
	v_and_b32_e32 v11, 0xffff, v10
	v_or_b32_e32 v12, 0x10000, v10
	s_delay_alu instid0(VALU_DEP_2) | instskip(NEXT) | instid1(VALU_DEP_2)
	v_cmp_eq_u32_e32 vcc_lo, 0, v11
	v_cndmask_b32_e32 v11, v12, v10, vcc_lo
	s_branch .LBB432_2
.LBB432_58:
	s_endpgm
	.section	.rodata,"a",@progbits
	.p2align	6, 0x0
	.amdhsa_kernel _ZN12_GLOBAL__N_127rocblas_gemm_batched_kernelIfLi16ELi16ELi32ELi32ELi8ELi32ELi8ELi8ELi32ELc67ELc78EK16rocblas_bfloat16S2_S1_EEvlllT_PT11_llS5_llS3_PT12_llPT13_lli
		.amdhsa_group_segment_fixed_size 2048
		.amdhsa_private_segment_fixed_size 0
		.amdhsa_kernarg_size 140
		.amdhsa_user_sgpr_count 2
		.amdhsa_user_sgpr_dispatch_ptr 0
		.amdhsa_user_sgpr_queue_ptr 0
		.amdhsa_user_sgpr_kernarg_segment_ptr 1
		.amdhsa_user_sgpr_dispatch_id 0
		.amdhsa_user_sgpr_kernarg_preload_length 0
		.amdhsa_user_sgpr_kernarg_preload_offset 0
		.amdhsa_user_sgpr_private_segment_size 0
		.amdhsa_wavefront_size32 1
		.amdhsa_uses_dynamic_stack 0
		.amdhsa_enable_private_segment 0
		.amdhsa_system_sgpr_workgroup_id_x 1
		.amdhsa_system_sgpr_workgroup_id_y 1
		.amdhsa_system_sgpr_workgroup_id_z 1
		.amdhsa_system_sgpr_workgroup_info 0
		.amdhsa_system_vgpr_workitem_id 1
		.amdhsa_next_free_vgpr 52
		.amdhsa_next_free_sgpr 38
		.amdhsa_named_barrier_count 0
		.amdhsa_reserve_vcc 1
		.amdhsa_float_round_mode_32 0
		.amdhsa_float_round_mode_16_64 0
		.amdhsa_float_denorm_mode_32 3
		.amdhsa_float_denorm_mode_16_64 3
		.amdhsa_fp16_overflow 0
		.amdhsa_memory_ordered 1
		.amdhsa_forward_progress 1
		.amdhsa_inst_pref_size 20
		.amdhsa_round_robin_scheduling 0
		.amdhsa_exception_fp_ieee_invalid_op 0
		.amdhsa_exception_fp_denorm_src 0
		.amdhsa_exception_fp_ieee_div_zero 0
		.amdhsa_exception_fp_ieee_overflow 0
		.amdhsa_exception_fp_ieee_underflow 0
		.amdhsa_exception_fp_ieee_inexact 0
		.amdhsa_exception_int_div_zero 0
	.end_amdhsa_kernel
	.section	.text._ZN12_GLOBAL__N_127rocblas_gemm_batched_kernelIfLi16ELi16ELi32ELi32ELi8ELi32ELi8ELi8ELi32ELc67ELc78EK16rocblas_bfloat16S2_S1_EEvlllT_PT11_llS5_llS3_PT12_llPT13_lli,"axG",@progbits,_ZN12_GLOBAL__N_127rocblas_gemm_batched_kernelIfLi16ELi16ELi32ELi32ELi8ELi32ELi8ELi8ELi32ELc67ELc78EK16rocblas_bfloat16S2_S1_EEvlllT_PT11_llS5_llS3_PT12_llPT13_lli,comdat
.Lfunc_end432:
	.size	_ZN12_GLOBAL__N_127rocblas_gemm_batched_kernelIfLi16ELi16ELi32ELi32ELi8ELi32ELi8ELi8ELi32ELc67ELc78EK16rocblas_bfloat16S2_S1_EEvlllT_PT11_llS5_llS3_PT12_llPT13_lli, .Lfunc_end432-_ZN12_GLOBAL__N_127rocblas_gemm_batched_kernelIfLi16ELi16ELi32ELi32ELi8ELi32ELi8ELi8ELi32ELc67ELc78EK16rocblas_bfloat16S2_S1_EEvlllT_PT11_llS5_llS3_PT12_llPT13_lli
                                        ; -- End function
	.set _ZN12_GLOBAL__N_127rocblas_gemm_batched_kernelIfLi16ELi16ELi32ELi32ELi8ELi32ELi8ELi8ELi32ELc67ELc78EK16rocblas_bfloat16S2_S1_EEvlllT_PT11_llS5_llS3_PT12_llPT13_lli.num_vgpr, 52
	.set _ZN12_GLOBAL__N_127rocblas_gemm_batched_kernelIfLi16ELi16ELi32ELi32ELi8ELi32ELi8ELi8ELi32ELc67ELc78EK16rocblas_bfloat16S2_S1_EEvlllT_PT11_llS5_llS3_PT12_llPT13_lli.num_agpr, 0
	.set _ZN12_GLOBAL__N_127rocblas_gemm_batched_kernelIfLi16ELi16ELi32ELi32ELi8ELi32ELi8ELi8ELi32ELc67ELc78EK16rocblas_bfloat16S2_S1_EEvlllT_PT11_llS5_llS3_PT12_llPT13_lli.numbered_sgpr, 38
	.set _ZN12_GLOBAL__N_127rocblas_gemm_batched_kernelIfLi16ELi16ELi32ELi32ELi8ELi32ELi8ELi8ELi32ELc67ELc78EK16rocblas_bfloat16S2_S1_EEvlllT_PT11_llS5_llS3_PT12_llPT13_lli.num_named_barrier, 0
	.set _ZN12_GLOBAL__N_127rocblas_gemm_batched_kernelIfLi16ELi16ELi32ELi32ELi8ELi32ELi8ELi8ELi32ELc67ELc78EK16rocblas_bfloat16S2_S1_EEvlllT_PT11_llS5_llS3_PT12_llPT13_lli.private_seg_size, 0
	.set _ZN12_GLOBAL__N_127rocblas_gemm_batched_kernelIfLi16ELi16ELi32ELi32ELi8ELi32ELi8ELi8ELi32ELc67ELc78EK16rocblas_bfloat16S2_S1_EEvlllT_PT11_llS5_llS3_PT12_llPT13_lli.uses_vcc, 1
	.set _ZN12_GLOBAL__N_127rocblas_gemm_batched_kernelIfLi16ELi16ELi32ELi32ELi8ELi32ELi8ELi8ELi32ELc67ELc78EK16rocblas_bfloat16S2_S1_EEvlllT_PT11_llS5_llS3_PT12_llPT13_lli.uses_flat_scratch, 0
	.set _ZN12_GLOBAL__N_127rocblas_gemm_batched_kernelIfLi16ELi16ELi32ELi32ELi8ELi32ELi8ELi8ELi32ELc67ELc78EK16rocblas_bfloat16S2_S1_EEvlllT_PT11_llS5_llS3_PT12_llPT13_lli.has_dyn_sized_stack, 0
	.set _ZN12_GLOBAL__N_127rocblas_gemm_batched_kernelIfLi16ELi16ELi32ELi32ELi8ELi32ELi8ELi8ELi32ELc67ELc78EK16rocblas_bfloat16S2_S1_EEvlllT_PT11_llS5_llS3_PT12_llPT13_lli.has_recursion, 0
	.set _ZN12_GLOBAL__N_127rocblas_gemm_batched_kernelIfLi16ELi16ELi32ELi32ELi8ELi32ELi8ELi8ELi32ELc67ELc78EK16rocblas_bfloat16S2_S1_EEvlllT_PT11_llS5_llS3_PT12_llPT13_lli.has_indirect_call, 0
	.section	.AMDGPU.csdata,"",@progbits
; Kernel info:
; codeLenInByte = 2480
; TotalNumSgprs: 40
; NumVgprs: 52
; ScratchSize: 0
; MemoryBound: 0
; FloatMode: 240
; IeeeMode: 1
; LDSByteSize: 2048 bytes/workgroup (compile time only)
; SGPRBlocks: 0
; VGPRBlocks: 3
; NumSGPRsForWavesPerEU: 40
; NumVGPRsForWavesPerEU: 52
; NamedBarCnt: 0
; Occupancy: 16
; WaveLimiterHint : 0
; COMPUTE_PGM_RSRC2:SCRATCH_EN: 0
; COMPUTE_PGM_RSRC2:USER_SGPR: 2
; COMPUTE_PGM_RSRC2:TRAP_HANDLER: 0
; COMPUTE_PGM_RSRC2:TGID_X_EN: 1
; COMPUTE_PGM_RSRC2:TGID_Y_EN: 1
; COMPUTE_PGM_RSRC2:TGID_Z_EN: 1
; COMPUTE_PGM_RSRC2:TIDIG_COMP_CNT: 1
	.section	.text._ZN12_GLOBAL__N_127rocblas_gemm_batched_kernelIfLi16ELi16ELi32ELi32ELi8ELi32ELi8ELi8ELi32ELc67ELc84EK16rocblas_bfloat16S2_S1_EEvlllT_PT11_llS5_llS3_PT12_llPT13_lli,"axG",@progbits,_ZN12_GLOBAL__N_127rocblas_gemm_batched_kernelIfLi16ELi16ELi32ELi32ELi8ELi32ELi8ELi8ELi32ELc67ELc84EK16rocblas_bfloat16S2_S1_EEvlllT_PT11_llS5_llS3_PT12_llPT13_lli,comdat
	.globl	_ZN12_GLOBAL__N_127rocblas_gemm_batched_kernelIfLi16ELi16ELi32ELi32ELi8ELi32ELi8ELi8ELi32ELc67ELc84EK16rocblas_bfloat16S2_S1_EEvlllT_PT11_llS5_llS3_PT12_llPT13_lli ; -- Begin function _ZN12_GLOBAL__N_127rocblas_gemm_batched_kernelIfLi16ELi16ELi32ELi32ELi8ELi32ELi8ELi8ELi32ELc67ELc84EK16rocblas_bfloat16S2_S1_EEvlllT_PT11_llS5_llS3_PT12_llPT13_lli
	.p2align	8
	.type	_ZN12_GLOBAL__N_127rocblas_gemm_batched_kernelIfLi16ELi16ELi32ELi32ELi8ELi32ELi8ELi8ELi32ELc67ELc84EK16rocblas_bfloat16S2_S1_EEvlllT_PT11_llS5_llS3_PT12_llPT13_lli,@function
_ZN12_GLOBAL__N_127rocblas_gemm_batched_kernelIfLi16ELi16ELi32ELi32ELi8ELi32ELi8ELi8ELi32ELc67ELc84EK16rocblas_bfloat16S2_S1_EEvlllT_PT11_llS5_llS3_PT12_llPT13_lli: ; @_ZN12_GLOBAL__N_127rocblas_gemm_batched_kernelIfLi16ELi16ELi32ELi32ELi8ELi32ELi8ELi8ELi32ELc67ELc84EK16rocblas_bfloat16S2_S1_EEvlllT_PT11_llS5_llS3_PT12_llPT13_lli
; %bb.0:
	s_load_b32 s3, s[0:1], 0x88
	s_bfe_u32 s2, ttmp6, 0x40014
	s_lshr_b32 s4, ttmp7, 16
	s_add_co_i32 s2, s2, 1
	s_bfe_u32 s6, ttmp6, 0x40008
	s_mul_i32 s5, s4, s2
	s_getreg_b32 s2, hwreg(HW_REG_IB_STS2, 6, 4)
	s_add_co_i32 s6, s6, s5
	s_cmp_eq_u32 s2, 0
	s_mov_b32 s29, 0
	s_cselect_b32 s28, s4, s6
	s_wait_kmcnt 0x0
	s_cmp_ge_i32 s28, s3
	s_cbranch_scc1 .LBB433_58
; %bb.1:
	v_bfe_u32 v4, v0, 10, 10
	v_and_b32_e32 v2, 0x3ff, v0
	s_bfe_u32 s30, ttmp6, 0x4000c
	s_bfe_u32 s33, ttmp6, 0x40010
	s_add_co_i32 s30, s30, 1
	s_and_b32 s34, ttmp7, 0xffff
	s_add_co_i32 s33, s33, 1
	s_clause 0x3
	s_load_b256 s[12:19], s[0:1], 0x20
	s_load_b128 s[24:27], s[0:1], 0x40
	s_load_b128 s[20:23], s[0:1], 0x78
	s_load_b256 s[4:11], s[0:1], 0x58
	s_and_b32 s31, ttmp6, 15
	s_mul_i32 s30, ttmp9, s30
	s_mul_i32 s33, s34, s33
	s_bfe_u32 s35, ttmp6, 0x40004
	v_lshl_add_u32 v3, v4, 4, v2
	s_add_co_i32 s31, s31, s30
	s_add_co_i32 s35, s35, s33
	s_cmp_eq_u32 s2, 0
	s_delay_alu instid0(VALU_DEP_1)
	v_dual_mov_b32 v5, 0 :: v_dual_bitop2_b32 v16, 31, v3 bitop3:0x40
	s_cselect_b32 s30, ttmp9, s31
	s_cselect_b32 s2, s34, s35
	s_ashr_i32 s31, s30, 31
	s_lshl_b32 s36, s2, 5
	s_lshl_b64 s[34:35], s[30:31], 5
	s_mov_b32 s37, s29
	v_dual_mov_b32 v7, s35 :: v_dual_bitop2_b32 v6, s34, v16 bitop3:0x54
	v_add_nc_u64_e32 v[8:9], s[36:37], v[4:5]
	v_dual_lshrrev_b32 v10, 3, v3 :: v_dual_bitop2_b32 v17, 7, v0 bitop3:0x40
	v_mov_b32_e32 v11, v5
	s_wait_kmcnt 0x0
	v_mul_u64_e32 v[6:7], s[14:15], v[6:7]
	s_load_b32 s30, s[0:1], 0x50
	v_lshl_add_u32 v24, v4, 5, 0x400
	v_mul_u64_e32 v[12:13], s[6:7], v[8:9]
	v_mul_u64_e32 v[0:1], s[20:21], v[8:9]
	v_lshlrev_b32_e32 v8, 2, v17
	v_mad_nc_u64_u32 v[14:15], s24, v17, v[10:11]
	s_wait_xcnt 0x0
	s_load_b96 s[0:2], s[0:1], 0x10
	v_dual_lshrrev_b32 v9, 5, v3 :: v_dual_lshlrev_b32 v11, 2, v16
	v_lshl_or_b32 v8, v10, 5, v8
	v_dual_mov_b32 v3, v5 :: v_dual_lshlrev_b32 v25, 2, v2
	s_delay_alu instid0(VALU_DEP_3) | instskip(NEXT) | instid1(VALU_DEP_4)
	v_lshlrev_b32_e32 v4, 1, v9
	v_lshl_or_b32 v22, v9, 7, v11
	s_delay_alu instid0(VALU_DEP_4) | instskip(NEXT) | instid1(VALU_DEP_4)
	v_add_nc_u32_e32 v23, 0x400, v8
	v_add_nc_u64_e32 v[2:3], s[34:35], v[2:3]
	v_mad_u32 v15, s25, v17, v15
	s_wait_kmcnt 0x0
	s_cmp_eq_f32 s30, 0
	s_cselect_b32 s31, -1, 0
	s_lshl_b64 s[14:15], s[20:21], 4
	v_cmp_gt_i64_e64 s20, s[0:1], 0
	s_delay_alu instid0(VALU_DEP_2) | instskip(SKIP_3) | instid1(VALU_DEP_2)
	v_add_nc_u64_e32 v[8:9], s[36:37], v[14:15]
	s_lshl_b64 s[6:7], s[6:7], 4
	s_lshl_b64 s[16:17], s[16:17], 1
	v_lshl_add_u64 v[10:11], v[6:7], 1, v[4:5]
	v_lshl_add_u64 v[6:7], v[8:9], 1, s[18:19]
	;; [unrolled: 1-line block ×3, first 2 shown]
	s_delay_alu instid0(VALU_DEP_3)
	v_add_nc_u64_e32 v[8:9], s[12:13], v[10:11]
	s_lshl_b64 s[4:5], s[26:27], 1
	s_lshl_b64 s[12:13], s[24:25], 4
	s_branch .LBB433_4
.LBB433_2:                              ;   in Loop: Header=BB433_4 Depth=1
	s_or_b32 exec_lo, exec_lo, s18
	global_store_d16_hi_b16 v[14:15], v11, off offset:32
.LBB433_3:                              ;   in Loop: Header=BB433_4 Depth=1
	s_add_co_i32 s28, s28, 0x10000
	s_delay_alu instid0(SALU_CYCLE_1)
	s_cmp_lt_i32 s28, s3
	s_cbranch_scc0 .LBB433_58
.LBB433_4:                              ; =>This Loop Header: Depth=1
                                        ;     Child Loop BB433_6 Depth 2
	v_dual_mov_b32 v13, 0 :: v_dual_mov_b32 v12, 0
	s_wait_xcnt 0x0
	v_dual_mov_b32 v11, 0 :: v_dual_mov_b32 v10, 0
	s_and_not1_b32 vcc_lo, exec_lo, s20
	s_cbranch_vccnz .LBB433_7
; %bb.5:                                ;   in Loop: Header=BB433_4 Depth=1
	v_mad_nc_u64_u32 v[14:15], s4, s28, v[6:7]
	v_mad_nc_u64_u32 v[16:17], s16, s28, v[8:9]
	v_mov_b32_e32 v10, 0
	s_mov_b64 s[18:19], 0
	s_delay_alu instid0(VALU_DEP_1)
	v_dual_mov_b32 v11, v10 :: v_dual_mov_b32 v12, v10
	v_mov_b32_e32 v13, v10
	v_mad_u32 v15, s5, s28, v15
	v_mad_u32 v17, s17, s28, v17
.LBB433_6:                              ;   Parent Loop BB433_4 Depth=1
                                        ; =>  This Inner Loop Header: Depth=2
	global_load_u16 v18, v[16:17], off
	global_load_u16 v19, v[14:15], off
	s_add_nc_u64 s[18:19], s[18:19], 8
	s_wait_xcnt 0x0
	v_add_nc_u64_e32 v[14:15], s[12:13], v[14:15]
	v_cmp_lt_i64_e64 s21, s[18:19], s[0:1]
	v_add_nc_u64_e32 v[16:17], 16, v[16:17]
	s_and_b32 vcc_lo, exec_lo, s21
	s_wait_loadcnt 0x0
	v_dual_lshlrev_b32 v18, 16, v18 :: v_dual_lshlrev_b32 v19, 16, v19
	ds_store_b32 v22, v18
	ds_store_b32 v23, v19
	s_wait_dscnt 0x0
	s_barrier_signal -1
	s_barrier_wait -1
	ds_load_b128 v[18:21], v24
	ds_load_2addr_b32 v[38:39], v25 offset1:16
	ds_load_b128 v[26:29], v24 offset:512
	ds_load_2addr_b32 v[40:41], v25 offset0:32 offset1:48
	ds_load_2addr_b32 v[42:43], v25 offset0:64 offset1:80
	ds_load_b128 v[30:33], v24 offset:16
	ds_load_2addr_b32 v[44:45], v25 offset0:96 offset1:112
	ds_load_2addr_b32 v[46:47], v25 offset0:128 offset1:144
	;; [unrolled: 3-line block ×3, first 2 shown]
	s_wait_dscnt 0x9
	v_pk_fma_f32 v[12:13], v[38:39], v[18:19], v[12:13] op_sel_hi:[1,0,1]
	s_wait_dscnt 0x8
	v_pk_fma_f32 v[10:11], v[38:39], v[26:27], v[10:11] op_sel_hi:[1,0,1]
	v_mov_b32_e32 v38, v21
	s_wait_dscnt 0x7
	v_pk_fma_f32 v[12:13], v[40:41], v[18:19], v[12:13] op_sel:[0,1,0]
	s_delay_alu instid0(VALU_DEP_3) | instskip(SKIP_2) | instid1(VALU_DEP_3)
	v_pk_fma_f32 v[10:11], v[40:41], v[26:27], v[10:11] op_sel:[0,1,0]
	s_wait_dscnt 0x2
	v_dual_mov_b32 v18, v29 :: v_dual_mov_b32 v26, v37
	v_pk_fma_f32 v[12:13], v[42:43], v[20:21], v[12:13] op_sel_hi:[1,0,1]
	s_delay_alu instid0(VALU_DEP_3)
	v_pk_fma_f32 v[10:11], v[42:43], v[28:29], v[10:11] op_sel_hi:[1,0,1]
	ds_load_2addr_b32 v[20:21], v25 offset0:224 offset1:240
	s_wait_dscnt 0x0
	s_barrier_signal -1
	v_pk_fma_f32 v[12:13], v[44:45], v[38:39], v[12:13] op_sel_hi:[1,0,1]
	v_pk_fma_f32 v[10:11], v[44:45], v[18:19], v[10:11] op_sel_hi:[1,0,1]
	v_mov_b32_e32 v18, v33
	s_barrier_wait -1
	s_delay_alu instid0(VALU_DEP_3) | instskip(NEXT) | instid1(VALU_DEP_3)
	v_pk_fma_f32 v[12:13], v[46:47], v[30:31], v[12:13] op_sel_hi:[1,0,1]
	v_pk_fma_f32 v[10:11], v[46:47], v[34:35], v[10:11] op_sel_hi:[1,0,1]
	s_delay_alu instid0(VALU_DEP_2) | instskip(NEXT) | instid1(VALU_DEP_2)
	v_pk_fma_f32 v[12:13], v[48:49], v[30:31], v[12:13] op_sel:[0,1,0]
	v_pk_fma_f32 v[10:11], v[48:49], v[34:35], v[10:11] op_sel:[0,1,0]
	s_delay_alu instid0(VALU_DEP_2) | instskip(NEXT) | instid1(VALU_DEP_2)
	v_pk_fma_f32 v[12:13], v[50:51], v[32:33], v[12:13] op_sel_hi:[1,0,1]
	v_pk_fma_f32 v[10:11], v[50:51], v[36:37], v[10:11] op_sel_hi:[1,0,1]
	s_delay_alu instid0(VALU_DEP_2) | instskip(NEXT) | instid1(VALU_DEP_2)
	v_pk_fma_f32 v[12:13], v[20:21], v[18:19], v[12:13] op_sel_hi:[1,0,1]
	v_pk_fma_f32 v[10:11], v[20:21], v[26:27], v[10:11] op_sel_hi:[1,0,1]
	s_cbranch_vccnz .LBB433_6
.LBB433_7:                              ;   in Loop: Header=BB433_4 Depth=1
	s_mul_u64 s[18:19], s[22:23], s[28:29]
	s_and_not1_b32 vcc_lo, exec_lo, s31
	s_lshl_b64 s[18:19], s[18:19], 1
	s_delay_alu instid0(SALU_CYCLE_1)
	s_add_nc_u64 s[18:19], s[10:11], s[18:19]
	s_cbranch_vccnz .LBB433_25
; %bb.8:                                ;   in Loop: Header=BB433_4 Depth=1
	v_mul_f32_e32 v14, s2, v12
	s_mov_b32 s21, exec_lo
                                        ; implicit-def: $vgpr18
	s_delay_alu instid0(VALU_DEP_1) | instskip(NEXT) | instid1(VALU_DEP_1)
	v_and_b32_e32 v15, 0x7f800000, v14
	v_cmpx_ne_u32_e32 0x7f800000, v15
	s_xor_b32 s21, exec_lo, s21
; %bb.9:                                ;   in Loop: Header=BB433_4 Depth=1
	v_bfe_u32 v15, v14, 16, 1
	s_delay_alu instid0(VALU_DEP_1)
	v_add3_u32 v18, v14, v15, 0x7fff
                                        ; implicit-def: $vgpr14
; %bb.10:                               ;   in Loop: Header=BB433_4 Depth=1
	s_and_not1_saveexec_b32 s21, s21
; %bb.11:                               ;   in Loop: Header=BB433_4 Depth=1
	v_and_b32_e32 v15, 0xffff, v14
	v_or_b32_e32 v16, 0x10000, v14
	s_delay_alu instid0(VALU_DEP_2) | instskip(NEXT) | instid1(VALU_DEP_2)
	v_cmp_eq_u32_e32 vcc_lo, 0, v15
	v_cndmask_b32_e32 v18, v16, v14, vcc_lo
; %bb.12:                               ;   in Loop: Header=BB433_4 Depth=1
	s_or_b32 exec_lo, exec_lo, s21
	v_mul_f32_e32 v19, s2, v13
	v_lshl_add_u64 v[14:15], v[0:1], 1, s[18:19]
	s_delay_alu instid0(VALU_DEP_2) | instskip(NEXT) | instid1(VALU_DEP_2)
	v_and_b32_e32 v20, 0x7f800000, v19
	v_lshl_add_u64 v[16:17], v[2:3], 1, v[14:15]
	s_delay_alu instid0(VALU_DEP_2) | instskip(SKIP_3) | instid1(SALU_CYCLE_1)
	v_cmp_ne_u32_e32 vcc_lo, 0x7f800000, v20
	global_store_d16_hi_b16 v[16:17], v18, off
                                        ; implicit-def: $vgpr20
	s_wait_xcnt 0x0
	s_and_saveexec_b32 s21, vcc_lo
	s_xor_b32 s21, exec_lo, s21
; %bb.13:                               ;   in Loop: Header=BB433_4 Depth=1
	v_bfe_u32 v18, v19, 16, 1
	s_delay_alu instid0(VALU_DEP_1)
	v_add3_u32 v20, v19, v18, 0x7fff
                                        ; implicit-def: $vgpr19
; %bb.14:                               ;   in Loop: Header=BB433_4 Depth=1
	s_and_not1_saveexec_b32 s21, s21
; %bb.15:                               ;   in Loop: Header=BB433_4 Depth=1
	v_and_b32_e32 v18, 0xffff, v19
	v_or_b32_e32 v20, 0x10000, v19
	s_delay_alu instid0(VALU_DEP_2) | instskip(NEXT) | instid1(VALU_DEP_2)
	v_cmp_eq_u32_e32 vcc_lo, 0, v18
	v_cndmask_b32_e32 v20, v20, v19, vcc_lo
; %bb.16:                               ;   in Loop: Header=BB433_4 Depth=1
	s_or_b32 exec_lo, exec_lo, s21
	v_mul_f32_e32 v18, s2, v10
	s_mov_b32 s21, exec_lo
	global_store_d16_hi_b16 v[16:17], v20, off offset:32
                                        ; implicit-def: $vgpr16
	v_and_b32_e32 v19, 0x7f800000, v18
	s_wait_xcnt 0x0
	s_delay_alu instid0(VALU_DEP_1)
	v_cmpx_ne_u32_e32 0x7f800000, v19
	s_xor_b32 s21, exec_lo, s21
; %bb.17:                               ;   in Loop: Header=BB433_4 Depth=1
	v_bfe_u32 v16, v18, 16, 1
	s_delay_alu instid0(VALU_DEP_1)
	v_add3_u32 v16, v18, v16, 0x7fff
                                        ; implicit-def: $vgpr18
; %bb.18:                               ;   in Loop: Header=BB433_4 Depth=1
	s_and_not1_saveexec_b32 s21, s21
; %bb.19:                               ;   in Loop: Header=BB433_4 Depth=1
	v_and_b32_e32 v16, 0xffff, v18
	v_or_b32_e32 v17, 0x10000, v18
	s_delay_alu instid0(VALU_DEP_2) | instskip(NEXT) | instid1(VALU_DEP_2)
	v_cmp_eq_u32_e32 vcc_lo, 0, v16
	v_cndmask_b32_e32 v16, v17, v18, vcc_lo
; %bb.20:                               ;   in Loop: Header=BB433_4 Depth=1
	s_or_b32 exec_lo, exec_lo, s21
	v_mul_f32_e32 v17, s2, v11
	v_lshl_add_u64 v[14:15], s[14:15], 1, v[14:15]
	s_mov_b32 s21, exec_lo
	s_delay_alu instid0(VALU_DEP_2) | instskip(NEXT) | instid1(VALU_DEP_2)
	v_and_b32_e32 v18, 0x7f800000, v17
	v_lshl_add_u64 v[14:15], v[2:3], 1, v[14:15]
	global_store_d16_hi_b16 v[14:15], v16, off
                                        ; implicit-def: $vgpr16
	s_wait_xcnt 0x0
	v_cmpx_ne_u32_e32 0x7f800000, v18
	s_xor_b32 s21, exec_lo, s21
; %bb.21:                               ;   in Loop: Header=BB433_4 Depth=1
	v_bfe_u32 v16, v17, 16, 1
	s_delay_alu instid0(VALU_DEP_1)
	v_add3_u32 v16, v17, v16, 0x7fff
                                        ; implicit-def: $vgpr17
; %bb.22:                               ;   in Loop: Header=BB433_4 Depth=1
	s_and_not1_saveexec_b32 s21, s21
; %bb.23:                               ;   in Loop: Header=BB433_4 Depth=1
	v_and_b32_e32 v16, 0xffff, v17
	v_or_b32_e32 v18, 0x10000, v17
	s_delay_alu instid0(VALU_DEP_2) | instskip(NEXT) | instid1(VALU_DEP_2)
	v_cmp_eq_u32_e32 vcc_lo, 0, v16
	v_cndmask_b32_e32 v16, v18, v17, vcc_lo
; %bb.24:                               ;   in Loop: Header=BB433_4 Depth=1
	s_or_b32 exec_lo, exec_lo, s21
	global_store_d16_hi_b16 v[14:15], v16, off offset:32
	s_branch .LBB433_3
.LBB433_25:                             ;   in Loop: Header=BB433_4 Depth=1
	s_cbranch_execz .LBB433_3
; %bb.26:                               ;   in Loop: Header=BB433_4 Depth=1
	s_mul_u64 s[24:25], s[8:9], s[28:29]
	s_wait_xcnt 0x0
	v_lshl_add_u64 v[14:15], s[24:25], 1, v[4:5]
	s_delay_alu instid0(VALU_DEP_1) | instskip(SKIP_3) | instid1(VALU_DEP_1)
	v_lshl_add_u64 v[18:19], v[2:3], 1, v[14:15]
	global_load_u16 v16, v[18:19], off
	s_wait_loadcnt 0x0
	v_lshlrev_b32_e32 v16, 16, v16
	v_mul_f32_e32 v16, s30, v16
	s_delay_alu instid0(VALU_DEP_1) | instskip(NEXT) | instid1(VALU_DEP_1)
	v_and_b32_e32 v17, 0x7f800000, v16
	v_cmp_ne_u32_e32 vcc_lo, 0x7f800000, v17
                                        ; implicit-def: $vgpr17
	s_wait_xcnt 0x0
	s_and_saveexec_b32 s21, vcc_lo
	s_delay_alu instid0(SALU_CYCLE_1)
	s_xor_b32 s21, exec_lo, s21
; %bb.27:                               ;   in Loop: Header=BB433_4 Depth=1
	v_bfe_u32 v17, v16, 16, 1
	s_delay_alu instid0(VALU_DEP_1)
	v_add3_u32 v17, v16, v17, 0x7fff
                                        ; implicit-def: $vgpr16
; %bb.28:                               ;   in Loop: Header=BB433_4 Depth=1
	s_and_not1_saveexec_b32 s21, s21
; %bb.29:                               ;   in Loop: Header=BB433_4 Depth=1
	v_and_b32_e32 v17, 0xffff, v16
	v_or_b32_e32 v20, 0x10000, v16
	s_delay_alu instid0(VALU_DEP_2) | instskip(NEXT) | instid1(VALU_DEP_2)
	v_cmp_eq_u32_e32 vcc_lo, 0, v17
	v_cndmask_b32_e32 v17, v20, v16, vcc_lo
; %bb.30:                               ;   in Loop: Header=BB433_4 Depth=1
	s_or_b32 exec_lo, exec_lo, s21
	s_delay_alu instid0(VALU_DEP_1) | instskip(SKIP_1) | instid1(VALU_DEP_1)
	v_fma_mix_f32_bf16 v12, s2, v12, v17 op_sel:[0,0,1] op_sel_hi:[0,0,1]
	s_mov_b32 s21, exec_lo
                                        ; implicit-def: $vgpr26
	v_and_b32_e32 v16, 0x7f800000, v12
	s_delay_alu instid0(VALU_DEP_1)
	v_cmpx_ne_u32_e32 0x7f800000, v16
	s_xor_b32 s21, exec_lo, s21
; %bb.31:                               ;   in Loop: Header=BB433_4 Depth=1
	v_bfe_u32 v16, v12, 16, 1
	s_delay_alu instid0(VALU_DEP_1)
	v_add3_u32 v26, v12, v16, 0x7fff
                                        ; implicit-def: $vgpr12
; %bb.32:                               ;   in Loop: Header=BB433_4 Depth=1
	s_and_not1_saveexec_b32 s21, s21
; %bb.33:                               ;   in Loop: Header=BB433_4 Depth=1
	v_and_b32_e32 v16, 0xffff, v12
	v_or_b32_e32 v17, 0x10000, v12
	s_delay_alu instid0(VALU_DEP_2) | instskip(NEXT) | instid1(VALU_DEP_2)
	v_cmp_eq_u32_e32 vcc_lo, 0, v16
	v_cndmask_b32_e32 v26, v17, v12, vcc_lo
; %bb.34:                               ;   in Loop: Header=BB433_4 Depth=1
	s_or_b32 exec_lo, exec_lo, s21
	v_lshl_add_u64 v[16:17], v[0:1], 1, s[18:19]
	s_delay_alu instid0(VALU_DEP_1) | instskip(SKIP_4) | instid1(VALU_DEP_1)
	v_lshl_add_u64 v[20:21], v[2:3], 1, v[16:17]
	global_store_d16_hi_b16 v[20:21], v26, off
	global_load_u16 v12, v[18:19], off offset:32
	s_wait_loadcnt 0x0
	v_lshlrev_b32_e32 v12, 16, v12
	v_mul_f32_e32 v12, s30, v12
	s_wait_xcnt 0x0
	s_delay_alu instid0(VALU_DEP_1) | instskip(NEXT) | instid1(VALU_DEP_1)
	v_and_b32_e32 v18, 0x7f800000, v12
	v_cmp_ne_u32_e32 vcc_lo, 0x7f800000, v18
                                        ; implicit-def: $vgpr18
	s_and_saveexec_b32 s18, vcc_lo
	s_delay_alu instid0(SALU_CYCLE_1)
	s_xor_b32 s18, exec_lo, s18
; %bb.35:                               ;   in Loop: Header=BB433_4 Depth=1
	v_bfe_u32 v18, v12, 16, 1
	s_delay_alu instid0(VALU_DEP_1)
	v_add3_u32 v18, v12, v18, 0x7fff
                                        ; implicit-def: $vgpr12
; %bb.36:                               ;   in Loop: Header=BB433_4 Depth=1
	s_and_not1_saveexec_b32 s18, s18
; %bb.37:                               ;   in Loop: Header=BB433_4 Depth=1
	v_and_b32_e32 v18, 0xffff, v12
	v_or_b32_e32 v19, 0x10000, v12
	s_delay_alu instid0(VALU_DEP_2) | instskip(NEXT) | instid1(VALU_DEP_2)
	v_cmp_eq_u32_e32 vcc_lo, 0, v18
	v_cndmask_b32_e32 v18, v19, v12, vcc_lo
; %bb.38:                               ;   in Loop: Header=BB433_4 Depth=1
	s_or_b32 exec_lo, exec_lo, s18
	s_delay_alu instid0(VALU_DEP_1) | instskip(SKIP_1) | instid1(VALU_DEP_1)
	v_fma_mix_f32_bf16 v12, s2, v13, v18 op_sel:[0,0,1] op_sel_hi:[0,0,1]
	s_mov_b32 s18, exec_lo
                                        ; implicit-def: $vgpr18
	v_and_b32_e32 v13, 0x7f800000, v12
	s_delay_alu instid0(VALU_DEP_1)
	v_cmpx_ne_u32_e32 0x7f800000, v13
	s_xor_b32 s18, exec_lo, s18
; %bb.39:                               ;   in Loop: Header=BB433_4 Depth=1
	v_bfe_u32 v13, v12, 16, 1
	s_delay_alu instid0(VALU_DEP_1)
	v_add3_u32 v18, v12, v13, 0x7fff
                                        ; implicit-def: $vgpr12
; %bb.40:                               ;   in Loop: Header=BB433_4 Depth=1
	s_and_not1_saveexec_b32 s18, s18
; %bb.41:                               ;   in Loop: Header=BB433_4 Depth=1
	v_and_b32_e32 v13, 0xffff, v12
	v_or_b32_e32 v18, 0x10000, v12
	s_delay_alu instid0(VALU_DEP_2) | instskip(NEXT) | instid1(VALU_DEP_2)
	v_cmp_eq_u32_e32 vcc_lo, 0, v13
	v_cndmask_b32_e32 v18, v18, v12, vcc_lo
; %bb.42:                               ;   in Loop: Header=BB433_4 Depth=1
	s_or_b32 exec_lo, exec_lo, s18
	v_lshl_add_u64 v[12:13], s[6:7], 1, v[14:15]
	global_store_d16_hi_b16 v[20:21], v18, off offset:32
	v_lshl_add_u64 v[12:13], v[2:3], 1, v[12:13]
	global_load_u16 v14, v[12:13], off
	s_wait_loadcnt 0x0
	v_lshlrev_b32_e32 v14, 16, v14
	s_delay_alu instid0(VALU_DEP_1) | instskip(NEXT) | instid1(VALU_DEP_1)
	v_mul_f32_e32 v14, s30, v14
	v_and_b32_e32 v15, 0x7f800000, v14
	s_delay_alu instid0(VALU_DEP_1) | instskip(SKIP_2) | instid1(SALU_CYCLE_1)
	v_cmp_ne_u32_e32 vcc_lo, 0x7f800000, v15
                                        ; implicit-def: $vgpr15
	s_wait_xcnt 0x0
	s_and_saveexec_b32 s18, vcc_lo
	s_xor_b32 s18, exec_lo, s18
; %bb.43:                               ;   in Loop: Header=BB433_4 Depth=1
	v_bfe_u32 v15, v14, 16, 1
	s_delay_alu instid0(VALU_DEP_1)
	v_add3_u32 v15, v14, v15, 0x7fff
                                        ; implicit-def: $vgpr14
; %bb.44:                               ;   in Loop: Header=BB433_4 Depth=1
	s_and_not1_saveexec_b32 s18, s18
; %bb.45:                               ;   in Loop: Header=BB433_4 Depth=1
	v_and_b32_e32 v15, 0xffff, v14
	v_or_b32_e32 v18, 0x10000, v14
	s_delay_alu instid0(VALU_DEP_2) | instskip(NEXT) | instid1(VALU_DEP_2)
	v_cmp_eq_u32_e32 vcc_lo, 0, v15
	v_cndmask_b32_e32 v15, v18, v14, vcc_lo
; %bb.46:                               ;   in Loop: Header=BB433_4 Depth=1
	s_or_b32 exec_lo, exec_lo, s18
	s_delay_alu instid0(VALU_DEP_1) | instskip(SKIP_1) | instid1(VALU_DEP_1)
	v_fma_mix_f32_bf16 v10, s2, v10, v15 op_sel:[0,0,1] op_sel_hi:[0,0,1]
	s_mov_b32 s18, exec_lo
                                        ; implicit-def: $vgpr18
	v_and_b32_e32 v14, 0x7f800000, v10
	s_delay_alu instid0(VALU_DEP_1)
	v_cmpx_ne_u32_e32 0x7f800000, v14
	s_xor_b32 s18, exec_lo, s18
; %bb.47:                               ;   in Loop: Header=BB433_4 Depth=1
	v_bfe_u32 v14, v10, 16, 1
	s_delay_alu instid0(VALU_DEP_1)
	v_add3_u32 v18, v10, v14, 0x7fff
                                        ; implicit-def: $vgpr10
; %bb.48:                               ;   in Loop: Header=BB433_4 Depth=1
	s_and_not1_saveexec_b32 s18, s18
; %bb.49:                               ;   in Loop: Header=BB433_4 Depth=1
	v_and_b32_e32 v14, 0xffff, v10
	v_or_b32_e32 v15, 0x10000, v10
	s_delay_alu instid0(VALU_DEP_2) | instskip(NEXT) | instid1(VALU_DEP_2)
	v_cmp_eq_u32_e32 vcc_lo, 0, v14
	v_cndmask_b32_e32 v18, v15, v10, vcc_lo
; %bb.50:                               ;   in Loop: Header=BB433_4 Depth=1
	s_or_b32 exec_lo, exec_lo, s18
	v_lshl_add_u64 v[14:15], s[14:15], 1, v[16:17]
	s_delay_alu instid0(VALU_DEP_1) | instskip(SKIP_4) | instid1(VALU_DEP_1)
	v_lshl_add_u64 v[14:15], v[2:3], 1, v[14:15]
	global_store_d16_hi_b16 v[14:15], v18, off
	global_load_u16 v10, v[12:13], off offset:32
	s_wait_loadcnt 0x0
	v_lshlrev_b32_e32 v10, 16, v10
	v_mul_f32_e32 v10, s30, v10
	s_wait_xcnt 0x0
	s_delay_alu instid0(VALU_DEP_1) | instskip(NEXT) | instid1(VALU_DEP_1)
	v_and_b32_e32 v12, 0x7f800000, v10
	v_cmp_ne_u32_e32 vcc_lo, 0x7f800000, v12
                                        ; implicit-def: $vgpr12
	s_and_saveexec_b32 s18, vcc_lo
	s_delay_alu instid0(SALU_CYCLE_1)
	s_xor_b32 s18, exec_lo, s18
; %bb.51:                               ;   in Loop: Header=BB433_4 Depth=1
	v_bfe_u32 v12, v10, 16, 1
	s_delay_alu instid0(VALU_DEP_1)
	v_add3_u32 v12, v10, v12, 0x7fff
                                        ; implicit-def: $vgpr10
; %bb.52:                               ;   in Loop: Header=BB433_4 Depth=1
	s_and_not1_saveexec_b32 s18, s18
; %bb.53:                               ;   in Loop: Header=BB433_4 Depth=1
	v_and_b32_e32 v12, 0xffff, v10
	v_or_b32_e32 v13, 0x10000, v10
	s_delay_alu instid0(VALU_DEP_2) | instskip(NEXT) | instid1(VALU_DEP_2)
	v_cmp_eq_u32_e32 vcc_lo, 0, v12
	v_cndmask_b32_e32 v12, v13, v10, vcc_lo
; %bb.54:                               ;   in Loop: Header=BB433_4 Depth=1
	s_or_b32 exec_lo, exec_lo, s18
	s_delay_alu instid0(VALU_DEP_1) | instskip(NEXT) | instid1(VALU_DEP_1)
	v_fma_mix_f32_bf16 v10, s2, v11, v12 op_sel:[0,0,1] op_sel_hi:[0,0,1]
	v_and_b32_e32 v11, 0x7f800000, v10
	s_delay_alu instid0(VALU_DEP_1) | instskip(SKIP_1) | instid1(SALU_CYCLE_1)
	v_cmp_ne_u32_e32 vcc_lo, 0x7f800000, v11
                                        ; implicit-def: $vgpr11
	s_and_saveexec_b32 s18, vcc_lo
	s_xor_b32 s18, exec_lo, s18
; %bb.55:                               ;   in Loop: Header=BB433_4 Depth=1
	v_bfe_u32 v11, v10, 16, 1
	s_delay_alu instid0(VALU_DEP_1)
	v_add3_u32 v11, v10, v11, 0x7fff
                                        ; implicit-def: $vgpr10
; %bb.56:                               ;   in Loop: Header=BB433_4 Depth=1
	s_and_not1_saveexec_b32 s18, s18
	s_cbranch_execz .LBB433_2
; %bb.57:                               ;   in Loop: Header=BB433_4 Depth=1
	v_and_b32_e32 v11, 0xffff, v10
	v_or_b32_e32 v12, 0x10000, v10
	s_delay_alu instid0(VALU_DEP_2) | instskip(NEXT) | instid1(VALU_DEP_2)
	v_cmp_eq_u32_e32 vcc_lo, 0, v11
	v_cndmask_b32_e32 v11, v12, v10, vcc_lo
	s_branch .LBB433_2
.LBB433_58:
	s_endpgm
	.section	.rodata,"a",@progbits
	.p2align	6, 0x0
	.amdhsa_kernel _ZN12_GLOBAL__N_127rocblas_gemm_batched_kernelIfLi16ELi16ELi32ELi32ELi8ELi32ELi8ELi8ELi32ELc67ELc84EK16rocblas_bfloat16S2_S1_EEvlllT_PT11_llS5_llS3_PT12_llPT13_lli
		.amdhsa_group_segment_fixed_size 2048
		.amdhsa_private_segment_fixed_size 0
		.amdhsa_kernarg_size 140
		.amdhsa_user_sgpr_count 2
		.amdhsa_user_sgpr_dispatch_ptr 0
		.amdhsa_user_sgpr_queue_ptr 0
		.amdhsa_user_sgpr_kernarg_segment_ptr 1
		.amdhsa_user_sgpr_dispatch_id 0
		.amdhsa_user_sgpr_kernarg_preload_length 0
		.amdhsa_user_sgpr_kernarg_preload_offset 0
		.amdhsa_user_sgpr_private_segment_size 0
		.amdhsa_wavefront_size32 1
		.amdhsa_uses_dynamic_stack 0
		.amdhsa_enable_private_segment 0
		.amdhsa_system_sgpr_workgroup_id_x 1
		.amdhsa_system_sgpr_workgroup_id_y 1
		.amdhsa_system_sgpr_workgroup_id_z 1
		.amdhsa_system_sgpr_workgroup_info 0
		.amdhsa_system_vgpr_workitem_id 1
		.amdhsa_next_free_vgpr 52
		.amdhsa_next_free_sgpr 38
		.amdhsa_named_barrier_count 0
		.amdhsa_reserve_vcc 1
		.amdhsa_float_round_mode_32 0
		.amdhsa_float_round_mode_16_64 0
		.amdhsa_float_denorm_mode_32 3
		.amdhsa_float_denorm_mode_16_64 3
		.amdhsa_fp16_overflow 0
		.amdhsa_memory_ordered 1
		.amdhsa_forward_progress 1
		.amdhsa_inst_pref_size 20
		.amdhsa_round_robin_scheduling 0
		.amdhsa_exception_fp_ieee_invalid_op 0
		.amdhsa_exception_fp_denorm_src 0
		.amdhsa_exception_fp_ieee_div_zero 0
		.amdhsa_exception_fp_ieee_overflow 0
		.amdhsa_exception_fp_ieee_underflow 0
		.amdhsa_exception_fp_ieee_inexact 0
		.amdhsa_exception_int_div_zero 0
	.end_amdhsa_kernel
	.section	.text._ZN12_GLOBAL__N_127rocblas_gemm_batched_kernelIfLi16ELi16ELi32ELi32ELi8ELi32ELi8ELi8ELi32ELc67ELc84EK16rocblas_bfloat16S2_S1_EEvlllT_PT11_llS5_llS3_PT12_llPT13_lli,"axG",@progbits,_ZN12_GLOBAL__N_127rocblas_gemm_batched_kernelIfLi16ELi16ELi32ELi32ELi8ELi32ELi8ELi8ELi32ELc67ELc84EK16rocblas_bfloat16S2_S1_EEvlllT_PT11_llS5_llS3_PT12_llPT13_lli,comdat
.Lfunc_end433:
	.size	_ZN12_GLOBAL__N_127rocblas_gemm_batched_kernelIfLi16ELi16ELi32ELi32ELi8ELi32ELi8ELi8ELi32ELc67ELc84EK16rocblas_bfloat16S2_S1_EEvlllT_PT11_llS5_llS3_PT12_llPT13_lli, .Lfunc_end433-_ZN12_GLOBAL__N_127rocblas_gemm_batched_kernelIfLi16ELi16ELi32ELi32ELi8ELi32ELi8ELi8ELi32ELc67ELc84EK16rocblas_bfloat16S2_S1_EEvlllT_PT11_llS5_llS3_PT12_llPT13_lli
                                        ; -- End function
	.set _ZN12_GLOBAL__N_127rocblas_gemm_batched_kernelIfLi16ELi16ELi32ELi32ELi8ELi32ELi8ELi8ELi32ELc67ELc84EK16rocblas_bfloat16S2_S1_EEvlllT_PT11_llS5_llS3_PT12_llPT13_lli.num_vgpr, 52
	.set _ZN12_GLOBAL__N_127rocblas_gemm_batched_kernelIfLi16ELi16ELi32ELi32ELi8ELi32ELi8ELi8ELi32ELc67ELc84EK16rocblas_bfloat16S2_S1_EEvlllT_PT11_llS5_llS3_PT12_llPT13_lli.num_agpr, 0
	.set _ZN12_GLOBAL__N_127rocblas_gemm_batched_kernelIfLi16ELi16ELi32ELi32ELi8ELi32ELi8ELi8ELi32ELc67ELc84EK16rocblas_bfloat16S2_S1_EEvlllT_PT11_llS5_llS3_PT12_llPT13_lli.numbered_sgpr, 38
	.set _ZN12_GLOBAL__N_127rocblas_gemm_batched_kernelIfLi16ELi16ELi32ELi32ELi8ELi32ELi8ELi8ELi32ELc67ELc84EK16rocblas_bfloat16S2_S1_EEvlllT_PT11_llS5_llS3_PT12_llPT13_lli.num_named_barrier, 0
	.set _ZN12_GLOBAL__N_127rocblas_gemm_batched_kernelIfLi16ELi16ELi32ELi32ELi8ELi32ELi8ELi8ELi32ELc67ELc84EK16rocblas_bfloat16S2_S1_EEvlllT_PT11_llS5_llS3_PT12_llPT13_lli.private_seg_size, 0
	.set _ZN12_GLOBAL__N_127rocblas_gemm_batched_kernelIfLi16ELi16ELi32ELi32ELi8ELi32ELi8ELi8ELi32ELc67ELc84EK16rocblas_bfloat16S2_S1_EEvlllT_PT11_llS5_llS3_PT12_llPT13_lli.uses_vcc, 1
	.set _ZN12_GLOBAL__N_127rocblas_gemm_batched_kernelIfLi16ELi16ELi32ELi32ELi8ELi32ELi8ELi8ELi32ELc67ELc84EK16rocblas_bfloat16S2_S1_EEvlllT_PT11_llS5_llS3_PT12_llPT13_lli.uses_flat_scratch, 0
	.set _ZN12_GLOBAL__N_127rocblas_gemm_batched_kernelIfLi16ELi16ELi32ELi32ELi8ELi32ELi8ELi8ELi32ELc67ELc84EK16rocblas_bfloat16S2_S1_EEvlllT_PT11_llS5_llS3_PT12_llPT13_lli.has_dyn_sized_stack, 0
	.set _ZN12_GLOBAL__N_127rocblas_gemm_batched_kernelIfLi16ELi16ELi32ELi32ELi8ELi32ELi8ELi8ELi32ELc67ELc84EK16rocblas_bfloat16S2_S1_EEvlllT_PT11_llS5_llS3_PT12_llPT13_lli.has_recursion, 0
	.set _ZN12_GLOBAL__N_127rocblas_gemm_batched_kernelIfLi16ELi16ELi32ELi32ELi8ELi32ELi8ELi8ELi32ELc67ELc84EK16rocblas_bfloat16S2_S1_EEvlllT_PT11_llS5_llS3_PT12_llPT13_lli.has_indirect_call, 0
	.section	.AMDGPU.csdata,"",@progbits
; Kernel info:
; codeLenInByte = 2500
; TotalNumSgprs: 40
; NumVgprs: 52
; ScratchSize: 0
; MemoryBound: 0
; FloatMode: 240
; IeeeMode: 1
; LDSByteSize: 2048 bytes/workgroup (compile time only)
; SGPRBlocks: 0
; VGPRBlocks: 3
; NumSGPRsForWavesPerEU: 40
; NumVGPRsForWavesPerEU: 52
; NamedBarCnt: 0
; Occupancy: 16
; WaveLimiterHint : 0
; COMPUTE_PGM_RSRC2:SCRATCH_EN: 0
; COMPUTE_PGM_RSRC2:USER_SGPR: 2
; COMPUTE_PGM_RSRC2:TRAP_HANDLER: 0
; COMPUTE_PGM_RSRC2:TGID_X_EN: 1
; COMPUTE_PGM_RSRC2:TGID_Y_EN: 1
; COMPUTE_PGM_RSRC2:TGID_Z_EN: 1
; COMPUTE_PGM_RSRC2:TIDIG_COMP_CNT: 1
	.section	.text._ZN12_GLOBAL__N_127rocblas_gemm_batched_kernelIfLi16ELi16ELi32ELi32ELi8ELi32ELi8ELi8ELi32ELc78ELc67EK16rocblas_bfloat16S2_S1_EEvlllT_PT11_llS5_llS3_PT12_llPT13_lli,"axG",@progbits,_ZN12_GLOBAL__N_127rocblas_gemm_batched_kernelIfLi16ELi16ELi32ELi32ELi8ELi32ELi8ELi8ELi32ELc78ELc67EK16rocblas_bfloat16S2_S1_EEvlllT_PT11_llS5_llS3_PT12_llPT13_lli,comdat
	.globl	_ZN12_GLOBAL__N_127rocblas_gemm_batched_kernelIfLi16ELi16ELi32ELi32ELi8ELi32ELi8ELi8ELi32ELc78ELc67EK16rocblas_bfloat16S2_S1_EEvlllT_PT11_llS5_llS3_PT12_llPT13_lli ; -- Begin function _ZN12_GLOBAL__N_127rocblas_gemm_batched_kernelIfLi16ELi16ELi32ELi32ELi8ELi32ELi8ELi8ELi32ELc78ELc67EK16rocblas_bfloat16S2_S1_EEvlllT_PT11_llS5_llS3_PT12_llPT13_lli
	.p2align	8
	.type	_ZN12_GLOBAL__N_127rocblas_gemm_batched_kernelIfLi16ELi16ELi32ELi32ELi8ELi32ELi8ELi8ELi32ELc78ELc67EK16rocblas_bfloat16S2_S1_EEvlllT_PT11_llS5_llS3_PT12_llPT13_lli,@function
_ZN12_GLOBAL__N_127rocblas_gemm_batched_kernelIfLi16ELi16ELi32ELi32ELi8ELi32ELi8ELi8ELi32ELc78ELc67EK16rocblas_bfloat16S2_S1_EEvlllT_PT11_llS5_llS3_PT12_llPT13_lli: ; @_ZN12_GLOBAL__N_127rocblas_gemm_batched_kernelIfLi16ELi16ELi32ELi32ELi8ELi32ELi8ELi8ELi32ELc78ELc67EK16rocblas_bfloat16S2_S1_EEvlllT_PT11_llS5_llS3_PT12_llPT13_lli
; %bb.0:
	s_load_b32 s3, s[0:1], 0x88
	s_bfe_u32 s2, ttmp6, 0x40014
	s_lshr_b32 s4, ttmp7, 16
	s_add_co_i32 s2, s2, 1
	s_bfe_u32 s6, ttmp6, 0x40008
	s_mul_i32 s5, s4, s2
	s_getreg_b32 s2, hwreg(HW_REG_IB_STS2, 6, 4)
	s_add_co_i32 s6, s6, s5
	s_cmp_eq_u32 s2, 0
	s_mov_b32 s29, 0
	s_cselect_b32 s28, s4, s6
	s_wait_kmcnt 0x0
	s_cmp_ge_i32 s28, s3
	s_cbranch_scc1 .LBB434_58
; %bb.1:
	s_clause 0x3
	s_load_b256 s[12:19], s[0:1], 0x20
	s_load_b128 s[24:27], s[0:1], 0x40
	s_load_b128 s[20:23], s[0:1], 0x78
	s_load_b256 s[4:11], s[0:1], 0x58
	s_bfe_u32 s30, ttmp6, 0x4000c
	s_bfe_u32 s33, ttmp6, 0x40010
	s_add_co_i32 s30, s30, 1
	s_and_b32 s34, ttmp7, 0xffff
	s_add_co_i32 s33, s33, 1
	v_bfe_u32 v2, v0, 10, 10
	v_and_b32_e32 v4, 0x3ff, v0
	s_and_b32 s31, ttmp6, 15
	s_mul_i32 s30, ttmp9, s30
	s_mul_i32 s33, s34, s33
	s_bfe_u32 s35, ttmp6, 0x40004
	s_add_co_i32 s31, s31, s30
	s_add_co_i32 s35, s35, s33
	s_cmp_eq_u32 s2, 0
	v_lshl_add_u32 v1, v2, 4, v4
	v_mov_b32_e32 v3, 0
	s_cselect_b32 s2, s34, s35
	s_cselect_b32 s34, ttmp9, s31
	s_lshl_b32 s36, s2, 5
	s_mov_b32 s37, s29
	v_lshrrev_b32_e32 v18, 5, v1
	v_add_nc_u64_e32 v[6:7], s[36:37], v[2:3]
	v_dual_lshrrev_b32 v8, 3, v1 :: v_dual_bitop2_b32 v5, 7, v0 bitop3:0x40
	v_dual_mov_b32 v9, v3 :: v_dual_bitop2_b32 v16, 31, v1 bitop3:0x40
	s_ashr_i32 s35, s34, 31
	s_load_b32 s30, s[0:1], 0x50
	s_wait_kmcnt 0x0
	s_delay_alu instid0(VALU_DEP_3)
	v_mul_u64_e32 v[10:11], s[6:7], v[6:7]
	s_lshl_b64 s[34:35], s[34:35], 5
	v_mad_nc_u64_u32 v[12:13], s24, v5, v[8:9]
	v_mad_nc_u64_u32 v[14:15], s14, v18, s[34:35]
	v_mul_u64_e32 v[0:1], s[20:21], v[6:7]
	s_load_b96 s[0:2], s[0:1], 0x10
	v_dual_lshlrev_b32 v6, 2, v5 :: v_dual_lshlrev_b32 v7, 2, v16
	v_dual_mov_b32 v17, v3 :: v_dual_lshlrev_b32 v24, 2, v4
	v_lshl_add_u32 v25, v2, 5, 0x400
	s_delay_alu instid0(VALU_DEP_3) | instskip(NEXT) | instid1(VALU_DEP_4)
	v_lshl_or_b32 v6, v8, 5, v6
	v_lshl_or_b32 v22, v18, 7, v7
	v_mad_u32 v13, s25, v5, v13
	v_mad_u32 v15, s15, v18, v15
	v_mov_b32_e32 v5, v3
	v_add_nc_u32_e32 v23, 0x400, v6
	s_cmp_eq_f32 s30, 0
	s_delay_alu instid0(VALU_DEP_2)
	v_add_nc_u64_e32 v[2:3], s[34:35], v[4:5]
	s_cselect_b32 s31, -1, 0
	v_add_nc_u64_e32 v[6:7], s[36:37], v[12:13]
	v_add_nc_u64_e32 v[8:9], v[14:15], v[16:17]
	s_lshl_b64 s[20:21], s[20:21], 4
	s_lshl_b64 s[6:7], s[6:7], 4
	;; [unrolled: 1-line block ×4, first 2 shown]
	s_delay_alu instid0(VALU_DEP_2)
	v_lshl_add_u64 v[6:7], v[6:7], 1, s[18:19]
	v_lshl_add_u64 v[4:5], v[10:11], 1, s[4:5]
	s_lshl_b64 s[4:5], s[26:27], 1
	s_wait_kmcnt 0x0
	v_cmp_gt_i64_e64 s26, s[0:1], 0
	v_lshl_add_u64 v[8:9], v[8:9], 1, s[12:13]
	s_lshl_b64 s[12:13], s[24:25], 4
	s_branch .LBB434_4
.LBB434_2:                              ;   in Loop: Header=BB434_4 Depth=1
	s_or_b32 exec_lo, exec_lo, s18
	global_store_d16_hi_b16 v[14:15], v11, off offset:32
.LBB434_3:                              ;   in Loop: Header=BB434_4 Depth=1
	s_add_co_i32 s28, s28, 0x10000
	s_delay_alu instid0(SALU_CYCLE_1)
	s_cmp_lt_i32 s28, s3
	s_cbranch_scc0 .LBB434_58
.LBB434_4:                              ; =>This Loop Header: Depth=1
                                        ;     Child Loop BB434_6 Depth 2
	v_dual_mov_b32 v13, 0 :: v_dual_mov_b32 v12, 0
	s_wait_xcnt 0x0
	v_dual_mov_b32 v11, 0 :: v_dual_mov_b32 v10, 0
	s_and_not1_b32 vcc_lo, exec_lo, s26
	s_cbranch_vccnz .LBB434_7
; %bb.5:                                ;   in Loop: Header=BB434_4 Depth=1
	v_mad_nc_u64_u32 v[14:15], s4, s28, v[6:7]
	v_mad_nc_u64_u32 v[16:17], s16, s28, v[8:9]
	v_mov_b32_e32 v10, 0
	s_mov_b64 s[18:19], 0
	s_delay_alu instid0(VALU_DEP_1)
	v_dual_mov_b32 v11, v10 :: v_dual_mov_b32 v12, v10
	v_mov_b32_e32 v13, v10
	v_mad_u32 v15, s5, s28, v15
	v_mad_u32 v17, s17, s28, v17
.LBB434_6:                              ;   Parent Loop BB434_4 Depth=1
                                        ; =>  This Inner Loop Header: Depth=2
	global_load_u16 v18, v[16:17], off
	global_load_u16 v19, v[14:15], off
	s_add_nc_u64 s[18:19], s[18:19], 8
	s_wait_xcnt 0x0
	v_add_nc_u64_e32 v[14:15], s[12:13], v[14:15]
	v_cmp_lt_i64_e64 s24, s[18:19], s[0:1]
	v_add_nc_u64_e32 v[16:17], s[14:15], v[16:17]
	s_and_b32 vcc_lo, exec_lo, s24
	s_wait_loadcnt 0x0
	v_dual_lshlrev_b32 v18, 16, v18 :: v_dual_lshlrev_b32 v19, 16, v19
	ds_store_b32 v22, v18
	ds_store_b32 v23, v19
	s_wait_dscnt 0x0
	s_barrier_signal -1
	s_barrier_wait -1
	ds_load_b128 v[18:21], v25
	ds_load_2addr_b32 v[38:39], v24 offset1:16
	ds_load_b128 v[26:29], v25 offset:512
	ds_load_2addr_b32 v[40:41], v24 offset0:32 offset1:48
	ds_load_2addr_b32 v[42:43], v24 offset0:64 offset1:80
	ds_load_b128 v[30:33], v25 offset:16
	ds_load_2addr_b32 v[44:45], v24 offset0:96 offset1:112
	ds_load_2addr_b32 v[46:47], v24 offset0:128 offset1:144
	;; [unrolled: 3-line block ×3, first 2 shown]
	s_wait_dscnt 0x9
	v_pk_fma_f32 v[12:13], v[38:39], v[18:19], v[12:13] op_sel_hi:[1,0,1]
	s_wait_dscnt 0x8
	v_pk_fma_f32 v[10:11], v[38:39], v[26:27], v[10:11] op_sel_hi:[1,0,1]
	v_mov_b32_e32 v38, v21
	s_wait_dscnt 0x7
	v_pk_fma_f32 v[12:13], v[40:41], v[18:19], v[12:13] op_sel:[0,1,0]
	s_delay_alu instid0(VALU_DEP_3) | instskip(SKIP_2) | instid1(VALU_DEP_3)
	v_pk_fma_f32 v[10:11], v[40:41], v[26:27], v[10:11] op_sel:[0,1,0]
	s_wait_dscnt 0x2
	v_dual_mov_b32 v18, v29 :: v_dual_mov_b32 v26, v37
	v_pk_fma_f32 v[12:13], v[42:43], v[20:21], v[12:13] op_sel_hi:[1,0,1]
	s_delay_alu instid0(VALU_DEP_3)
	v_pk_fma_f32 v[10:11], v[42:43], v[28:29], v[10:11] op_sel_hi:[1,0,1]
	ds_load_2addr_b32 v[20:21], v24 offset0:224 offset1:240
	s_wait_dscnt 0x0
	s_barrier_signal -1
	v_pk_fma_f32 v[12:13], v[44:45], v[38:39], v[12:13] op_sel_hi:[1,0,1]
	v_pk_fma_f32 v[10:11], v[44:45], v[18:19], v[10:11] op_sel_hi:[1,0,1]
	v_mov_b32_e32 v18, v33
	s_barrier_wait -1
	s_delay_alu instid0(VALU_DEP_3) | instskip(NEXT) | instid1(VALU_DEP_3)
	v_pk_fma_f32 v[12:13], v[46:47], v[30:31], v[12:13] op_sel_hi:[1,0,1]
	v_pk_fma_f32 v[10:11], v[46:47], v[34:35], v[10:11] op_sel_hi:[1,0,1]
	s_delay_alu instid0(VALU_DEP_2) | instskip(NEXT) | instid1(VALU_DEP_2)
	v_pk_fma_f32 v[12:13], v[48:49], v[30:31], v[12:13] op_sel:[0,1,0]
	v_pk_fma_f32 v[10:11], v[48:49], v[34:35], v[10:11] op_sel:[0,1,0]
	s_delay_alu instid0(VALU_DEP_2) | instskip(NEXT) | instid1(VALU_DEP_2)
	v_pk_fma_f32 v[12:13], v[50:51], v[32:33], v[12:13] op_sel_hi:[1,0,1]
	v_pk_fma_f32 v[10:11], v[50:51], v[36:37], v[10:11] op_sel_hi:[1,0,1]
	s_delay_alu instid0(VALU_DEP_2) | instskip(NEXT) | instid1(VALU_DEP_2)
	v_pk_fma_f32 v[12:13], v[20:21], v[18:19], v[12:13] op_sel_hi:[1,0,1]
	v_pk_fma_f32 v[10:11], v[20:21], v[26:27], v[10:11] op_sel_hi:[1,0,1]
	s_cbranch_vccnz .LBB434_6
.LBB434_7:                              ;   in Loop: Header=BB434_4 Depth=1
	s_mul_u64 s[18:19], s[22:23], s[28:29]
	s_and_not1_b32 vcc_lo, exec_lo, s31
	s_lshl_b64 s[18:19], s[18:19], 1
	s_delay_alu instid0(SALU_CYCLE_1)
	s_add_nc_u64 s[18:19], s[10:11], s[18:19]
	s_cbranch_vccnz .LBB434_25
; %bb.8:                                ;   in Loop: Header=BB434_4 Depth=1
	v_mul_f32_e32 v14, s2, v12
	s_mov_b32 s24, exec_lo
                                        ; implicit-def: $vgpr18
	s_delay_alu instid0(VALU_DEP_1) | instskip(NEXT) | instid1(VALU_DEP_1)
	v_and_b32_e32 v15, 0x7f800000, v14
	v_cmpx_ne_u32_e32 0x7f800000, v15
	s_xor_b32 s24, exec_lo, s24
; %bb.9:                                ;   in Loop: Header=BB434_4 Depth=1
	v_bfe_u32 v15, v14, 16, 1
	s_delay_alu instid0(VALU_DEP_1)
	v_add3_u32 v18, v14, v15, 0x7fff
                                        ; implicit-def: $vgpr14
; %bb.10:                               ;   in Loop: Header=BB434_4 Depth=1
	s_and_not1_saveexec_b32 s24, s24
; %bb.11:                               ;   in Loop: Header=BB434_4 Depth=1
	v_and_b32_e32 v15, 0xffff, v14
	v_or_b32_e32 v16, 0x10000, v14
	s_delay_alu instid0(VALU_DEP_2) | instskip(NEXT) | instid1(VALU_DEP_2)
	v_cmp_eq_u32_e32 vcc_lo, 0, v15
	v_cndmask_b32_e32 v18, v16, v14, vcc_lo
; %bb.12:                               ;   in Loop: Header=BB434_4 Depth=1
	s_or_b32 exec_lo, exec_lo, s24
	v_mul_f32_e32 v19, s2, v13
	v_lshl_add_u64 v[14:15], v[0:1], 1, s[18:19]
	s_delay_alu instid0(VALU_DEP_2) | instskip(NEXT) | instid1(VALU_DEP_2)
	v_and_b32_e32 v20, 0x7f800000, v19
	v_lshl_add_u64 v[16:17], v[2:3], 1, v[14:15]
	s_delay_alu instid0(VALU_DEP_2) | instskip(SKIP_3) | instid1(SALU_CYCLE_1)
	v_cmp_ne_u32_e32 vcc_lo, 0x7f800000, v20
	global_store_d16_hi_b16 v[16:17], v18, off
                                        ; implicit-def: $vgpr20
	s_wait_xcnt 0x0
	s_and_saveexec_b32 s24, vcc_lo
	s_xor_b32 s24, exec_lo, s24
; %bb.13:                               ;   in Loop: Header=BB434_4 Depth=1
	v_bfe_u32 v18, v19, 16, 1
	s_delay_alu instid0(VALU_DEP_1)
	v_add3_u32 v20, v19, v18, 0x7fff
                                        ; implicit-def: $vgpr19
; %bb.14:                               ;   in Loop: Header=BB434_4 Depth=1
	s_and_not1_saveexec_b32 s24, s24
; %bb.15:                               ;   in Loop: Header=BB434_4 Depth=1
	v_and_b32_e32 v18, 0xffff, v19
	v_or_b32_e32 v20, 0x10000, v19
	s_delay_alu instid0(VALU_DEP_2) | instskip(NEXT) | instid1(VALU_DEP_2)
	v_cmp_eq_u32_e32 vcc_lo, 0, v18
	v_cndmask_b32_e32 v20, v20, v19, vcc_lo
; %bb.16:                               ;   in Loop: Header=BB434_4 Depth=1
	s_or_b32 exec_lo, exec_lo, s24
	v_mul_f32_e32 v18, s2, v10
	s_mov_b32 s24, exec_lo
	global_store_d16_hi_b16 v[16:17], v20, off offset:32
                                        ; implicit-def: $vgpr16
	v_and_b32_e32 v19, 0x7f800000, v18
	s_wait_xcnt 0x0
	s_delay_alu instid0(VALU_DEP_1)
	v_cmpx_ne_u32_e32 0x7f800000, v19
	s_xor_b32 s24, exec_lo, s24
; %bb.17:                               ;   in Loop: Header=BB434_4 Depth=1
	v_bfe_u32 v16, v18, 16, 1
	s_delay_alu instid0(VALU_DEP_1)
	v_add3_u32 v16, v18, v16, 0x7fff
                                        ; implicit-def: $vgpr18
; %bb.18:                               ;   in Loop: Header=BB434_4 Depth=1
	s_and_not1_saveexec_b32 s24, s24
; %bb.19:                               ;   in Loop: Header=BB434_4 Depth=1
	v_and_b32_e32 v16, 0xffff, v18
	v_or_b32_e32 v17, 0x10000, v18
	s_delay_alu instid0(VALU_DEP_2) | instskip(NEXT) | instid1(VALU_DEP_2)
	v_cmp_eq_u32_e32 vcc_lo, 0, v16
	v_cndmask_b32_e32 v16, v17, v18, vcc_lo
; %bb.20:                               ;   in Loop: Header=BB434_4 Depth=1
	s_or_b32 exec_lo, exec_lo, s24
	v_mul_f32_e32 v17, s2, v11
	v_lshl_add_u64 v[14:15], s[20:21], 1, v[14:15]
	s_mov_b32 s24, exec_lo
	s_delay_alu instid0(VALU_DEP_2) | instskip(NEXT) | instid1(VALU_DEP_2)
	v_and_b32_e32 v18, 0x7f800000, v17
	v_lshl_add_u64 v[14:15], v[2:3], 1, v[14:15]
	global_store_d16_hi_b16 v[14:15], v16, off
                                        ; implicit-def: $vgpr16
	s_wait_xcnt 0x0
	v_cmpx_ne_u32_e32 0x7f800000, v18
	s_xor_b32 s24, exec_lo, s24
; %bb.21:                               ;   in Loop: Header=BB434_4 Depth=1
	v_bfe_u32 v16, v17, 16, 1
	s_delay_alu instid0(VALU_DEP_1)
	v_add3_u32 v16, v17, v16, 0x7fff
                                        ; implicit-def: $vgpr17
; %bb.22:                               ;   in Loop: Header=BB434_4 Depth=1
	s_and_not1_saveexec_b32 s24, s24
; %bb.23:                               ;   in Loop: Header=BB434_4 Depth=1
	v_and_b32_e32 v16, 0xffff, v17
	v_or_b32_e32 v18, 0x10000, v17
	s_delay_alu instid0(VALU_DEP_2) | instskip(NEXT) | instid1(VALU_DEP_2)
	v_cmp_eq_u32_e32 vcc_lo, 0, v16
	v_cndmask_b32_e32 v16, v18, v17, vcc_lo
; %bb.24:                               ;   in Loop: Header=BB434_4 Depth=1
	s_or_b32 exec_lo, exec_lo, s24
	global_store_d16_hi_b16 v[14:15], v16, off offset:32
	s_branch .LBB434_3
.LBB434_25:                             ;   in Loop: Header=BB434_4 Depth=1
	s_cbranch_execz .LBB434_3
; %bb.26:                               ;   in Loop: Header=BB434_4 Depth=1
	s_mul_u64 s[24:25], s[8:9], s[28:29]
	s_wait_xcnt 0x0
	v_lshl_add_u64 v[14:15], s[24:25], 1, v[4:5]
	s_delay_alu instid0(VALU_DEP_1) | instskip(SKIP_3) | instid1(VALU_DEP_1)
	v_lshl_add_u64 v[18:19], v[2:3], 1, v[14:15]
	global_load_u16 v16, v[18:19], off
	s_wait_loadcnt 0x0
	v_lshlrev_b32_e32 v16, 16, v16
	v_mul_f32_e32 v16, s30, v16
	s_delay_alu instid0(VALU_DEP_1) | instskip(NEXT) | instid1(VALU_DEP_1)
	v_and_b32_e32 v17, 0x7f800000, v16
	v_cmp_ne_u32_e32 vcc_lo, 0x7f800000, v17
                                        ; implicit-def: $vgpr17
	s_wait_xcnt 0x0
	s_and_saveexec_b32 s24, vcc_lo
	s_delay_alu instid0(SALU_CYCLE_1)
	s_xor_b32 s24, exec_lo, s24
; %bb.27:                               ;   in Loop: Header=BB434_4 Depth=1
	v_bfe_u32 v17, v16, 16, 1
	s_delay_alu instid0(VALU_DEP_1)
	v_add3_u32 v17, v16, v17, 0x7fff
                                        ; implicit-def: $vgpr16
; %bb.28:                               ;   in Loop: Header=BB434_4 Depth=1
	s_and_not1_saveexec_b32 s24, s24
; %bb.29:                               ;   in Loop: Header=BB434_4 Depth=1
	v_and_b32_e32 v17, 0xffff, v16
	v_or_b32_e32 v20, 0x10000, v16
	s_delay_alu instid0(VALU_DEP_2) | instskip(NEXT) | instid1(VALU_DEP_2)
	v_cmp_eq_u32_e32 vcc_lo, 0, v17
	v_cndmask_b32_e32 v17, v20, v16, vcc_lo
; %bb.30:                               ;   in Loop: Header=BB434_4 Depth=1
	s_or_b32 exec_lo, exec_lo, s24
	s_delay_alu instid0(VALU_DEP_1) | instskip(SKIP_1) | instid1(VALU_DEP_1)
	v_fma_mix_f32_bf16 v12, s2, v12, v17 op_sel:[0,0,1] op_sel_hi:[0,0,1]
	s_mov_b32 s24, exec_lo
                                        ; implicit-def: $vgpr26
	v_and_b32_e32 v16, 0x7f800000, v12
	s_delay_alu instid0(VALU_DEP_1)
	v_cmpx_ne_u32_e32 0x7f800000, v16
	s_xor_b32 s24, exec_lo, s24
; %bb.31:                               ;   in Loop: Header=BB434_4 Depth=1
	v_bfe_u32 v16, v12, 16, 1
	s_delay_alu instid0(VALU_DEP_1)
	v_add3_u32 v26, v12, v16, 0x7fff
                                        ; implicit-def: $vgpr12
; %bb.32:                               ;   in Loop: Header=BB434_4 Depth=1
	s_and_not1_saveexec_b32 s24, s24
; %bb.33:                               ;   in Loop: Header=BB434_4 Depth=1
	v_and_b32_e32 v16, 0xffff, v12
	v_or_b32_e32 v17, 0x10000, v12
	s_delay_alu instid0(VALU_DEP_2) | instskip(NEXT) | instid1(VALU_DEP_2)
	v_cmp_eq_u32_e32 vcc_lo, 0, v16
	v_cndmask_b32_e32 v26, v17, v12, vcc_lo
; %bb.34:                               ;   in Loop: Header=BB434_4 Depth=1
	s_or_b32 exec_lo, exec_lo, s24
	v_lshl_add_u64 v[16:17], v[0:1], 1, s[18:19]
	s_delay_alu instid0(VALU_DEP_1) | instskip(SKIP_4) | instid1(VALU_DEP_1)
	v_lshl_add_u64 v[20:21], v[2:3], 1, v[16:17]
	global_store_d16_hi_b16 v[20:21], v26, off
	global_load_u16 v12, v[18:19], off offset:32
	s_wait_loadcnt 0x0
	v_lshlrev_b32_e32 v12, 16, v12
	v_mul_f32_e32 v12, s30, v12
	s_wait_xcnt 0x0
	s_delay_alu instid0(VALU_DEP_1) | instskip(NEXT) | instid1(VALU_DEP_1)
	v_and_b32_e32 v18, 0x7f800000, v12
	v_cmp_ne_u32_e32 vcc_lo, 0x7f800000, v18
                                        ; implicit-def: $vgpr18
	s_and_saveexec_b32 s18, vcc_lo
	s_delay_alu instid0(SALU_CYCLE_1)
	s_xor_b32 s18, exec_lo, s18
; %bb.35:                               ;   in Loop: Header=BB434_4 Depth=1
	v_bfe_u32 v18, v12, 16, 1
	s_delay_alu instid0(VALU_DEP_1)
	v_add3_u32 v18, v12, v18, 0x7fff
                                        ; implicit-def: $vgpr12
; %bb.36:                               ;   in Loop: Header=BB434_4 Depth=1
	s_and_not1_saveexec_b32 s18, s18
; %bb.37:                               ;   in Loop: Header=BB434_4 Depth=1
	v_and_b32_e32 v18, 0xffff, v12
	v_or_b32_e32 v19, 0x10000, v12
	s_delay_alu instid0(VALU_DEP_2) | instskip(NEXT) | instid1(VALU_DEP_2)
	v_cmp_eq_u32_e32 vcc_lo, 0, v18
	v_cndmask_b32_e32 v18, v19, v12, vcc_lo
; %bb.38:                               ;   in Loop: Header=BB434_4 Depth=1
	s_or_b32 exec_lo, exec_lo, s18
	s_delay_alu instid0(VALU_DEP_1) | instskip(SKIP_1) | instid1(VALU_DEP_1)
	v_fma_mix_f32_bf16 v12, s2, v13, v18 op_sel:[0,0,1] op_sel_hi:[0,0,1]
	s_mov_b32 s18, exec_lo
                                        ; implicit-def: $vgpr18
	v_and_b32_e32 v13, 0x7f800000, v12
	s_delay_alu instid0(VALU_DEP_1)
	v_cmpx_ne_u32_e32 0x7f800000, v13
	s_xor_b32 s18, exec_lo, s18
; %bb.39:                               ;   in Loop: Header=BB434_4 Depth=1
	v_bfe_u32 v13, v12, 16, 1
	s_delay_alu instid0(VALU_DEP_1)
	v_add3_u32 v18, v12, v13, 0x7fff
                                        ; implicit-def: $vgpr12
; %bb.40:                               ;   in Loop: Header=BB434_4 Depth=1
	s_and_not1_saveexec_b32 s18, s18
; %bb.41:                               ;   in Loop: Header=BB434_4 Depth=1
	v_and_b32_e32 v13, 0xffff, v12
	v_or_b32_e32 v18, 0x10000, v12
	s_delay_alu instid0(VALU_DEP_2) | instskip(NEXT) | instid1(VALU_DEP_2)
	v_cmp_eq_u32_e32 vcc_lo, 0, v13
	v_cndmask_b32_e32 v18, v18, v12, vcc_lo
; %bb.42:                               ;   in Loop: Header=BB434_4 Depth=1
	s_or_b32 exec_lo, exec_lo, s18
	v_lshl_add_u64 v[12:13], s[6:7], 1, v[14:15]
	global_store_d16_hi_b16 v[20:21], v18, off offset:32
	v_lshl_add_u64 v[12:13], v[2:3], 1, v[12:13]
	global_load_u16 v14, v[12:13], off
	s_wait_loadcnt 0x0
	v_lshlrev_b32_e32 v14, 16, v14
	s_delay_alu instid0(VALU_DEP_1) | instskip(NEXT) | instid1(VALU_DEP_1)
	v_mul_f32_e32 v14, s30, v14
	v_and_b32_e32 v15, 0x7f800000, v14
	s_delay_alu instid0(VALU_DEP_1) | instskip(SKIP_2) | instid1(SALU_CYCLE_1)
	v_cmp_ne_u32_e32 vcc_lo, 0x7f800000, v15
                                        ; implicit-def: $vgpr15
	s_wait_xcnt 0x0
	s_and_saveexec_b32 s18, vcc_lo
	s_xor_b32 s18, exec_lo, s18
; %bb.43:                               ;   in Loop: Header=BB434_4 Depth=1
	v_bfe_u32 v15, v14, 16, 1
	s_delay_alu instid0(VALU_DEP_1)
	v_add3_u32 v15, v14, v15, 0x7fff
                                        ; implicit-def: $vgpr14
; %bb.44:                               ;   in Loop: Header=BB434_4 Depth=1
	s_and_not1_saveexec_b32 s18, s18
; %bb.45:                               ;   in Loop: Header=BB434_4 Depth=1
	v_and_b32_e32 v15, 0xffff, v14
	v_or_b32_e32 v18, 0x10000, v14
	s_delay_alu instid0(VALU_DEP_2) | instskip(NEXT) | instid1(VALU_DEP_2)
	v_cmp_eq_u32_e32 vcc_lo, 0, v15
	v_cndmask_b32_e32 v15, v18, v14, vcc_lo
; %bb.46:                               ;   in Loop: Header=BB434_4 Depth=1
	s_or_b32 exec_lo, exec_lo, s18
	s_delay_alu instid0(VALU_DEP_1) | instskip(SKIP_1) | instid1(VALU_DEP_1)
	v_fma_mix_f32_bf16 v10, s2, v10, v15 op_sel:[0,0,1] op_sel_hi:[0,0,1]
	s_mov_b32 s18, exec_lo
                                        ; implicit-def: $vgpr18
	v_and_b32_e32 v14, 0x7f800000, v10
	s_delay_alu instid0(VALU_DEP_1)
	v_cmpx_ne_u32_e32 0x7f800000, v14
	s_xor_b32 s18, exec_lo, s18
; %bb.47:                               ;   in Loop: Header=BB434_4 Depth=1
	v_bfe_u32 v14, v10, 16, 1
	s_delay_alu instid0(VALU_DEP_1)
	v_add3_u32 v18, v10, v14, 0x7fff
                                        ; implicit-def: $vgpr10
; %bb.48:                               ;   in Loop: Header=BB434_4 Depth=1
	s_and_not1_saveexec_b32 s18, s18
; %bb.49:                               ;   in Loop: Header=BB434_4 Depth=1
	v_and_b32_e32 v14, 0xffff, v10
	v_or_b32_e32 v15, 0x10000, v10
	s_delay_alu instid0(VALU_DEP_2) | instskip(NEXT) | instid1(VALU_DEP_2)
	v_cmp_eq_u32_e32 vcc_lo, 0, v14
	v_cndmask_b32_e32 v18, v15, v10, vcc_lo
; %bb.50:                               ;   in Loop: Header=BB434_4 Depth=1
	s_or_b32 exec_lo, exec_lo, s18
	v_lshl_add_u64 v[14:15], s[20:21], 1, v[16:17]
	s_delay_alu instid0(VALU_DEP_1) | instskip(SKIP_4) | instid1(VALU_DEP_1)
	v_lshl_add_u64 v[14:15], v[2:3], 1, v[14:15]
	global_store_d16_hi_b16 v[14:15], v18, off
	global_load_u16 v10, v[12:13], off offset:32
	s_wait_loadcnt 0x0
	v_lshlrev_b32_e32 v10, 16, v10
	v_mul_f32_e32 v10, s30, v10
	s_wait_xcnt 0x0
	s_delay_alu instid0(VALU_DEP_1) | instskip(NEXT) | instid1(VALU_DEP_1)
	v_and_b32_e32 v12, 0x7f800000, v10
	v_cmp_ne_u32_e32 vcc_lo, 0x7f800000, v12
                                        ; implicit-def: $vgpr12
	s_and_saveexec_b32 s18, vcc_lo
	s_delay_alu instid0(SALU_CYCLE_1)
	s_xor_b32 s18, exec_lo, s18
; %bb.51:                               ;   in Loop: Header=BB434_4 Depth=1
	v_bfe_u32 v12, v10, 16, 1
	s_delay_alu instid0(VALU_DEP_1)
	v_add3_u32 v12, v10, v12, 0x7fff
                                        ; implicit-def: $vgpr10
; %bb.52:                               ;   in Loop: Header=BB434_4 Depth=1
	s_and_not1_saveexec_b32 s18, s18
; %bb.53:                               ;   in Loop: Header=BB434_4 Depth=1
	v_and_b32_e32 v12, 0xffff, v10
	v_or_b32_e32 v13, 0x10000, v10
	s_delay_alu instid0(VALU_DEP_2) | instskip(NEXT) | instid1(VALU_DEP_2)
	v_cmp_eq_u32_e32 vcc_lo, 0, v12
	v_cndmask_b32_e32 v12, v13, v10, vcc_lo
; %bb.54:                               ;   in Loop: Header=BB434_4 Depth=1
	s_or_b32 exec_lo, exec_lo, s18
	s_delay_alu instid0(VALU_DEP_1) | instskip(NEXT) | instid1(VALU_DEP_1)
	v_fma_mix_f32_bf16 v10, s2, v11, v12 op_sel:[0,0,1] op_sel_hi:[0,0,1]
	v_and_b32_e32 v11, 0x7f800000, v10
	s_delay_alu instid0(VALU_DEP_1) | instskip(SKIP_1) | instid1(SALU_CYCLE_1)
	v_cmp_ne_u32_e32 vcc_lo, 0x7f800000, v11
                                        ; implicit-def: $vgpr11
	s_and_saveexec_b32 s18, vcc_lo
	s_xor_b32 s18, exec_lo, s18
; %bb.55:                               ;   in Loop: Header=BB434_4 Depth=1
	v_bfe_u32 v11, v10, 16, 1
	s_delay_alu instid0(VALU_DEP_1)
	v_add3_u32 v11, v10, v11, 0x7fff
                                        ; implicit-def: $vgpr10
; %bb.56:                               ;   in Loop: Header=BB434_4 Depth=1
	s_and_not1_saveexec_b32 s18, s18
	s_cbranch_execz .LBB434_2
; %bb.57:                               ;   in Loop: Header=BB434_4 Depth=1
	v_and_b32_e32 v11, 0xffff, v10
	v_or_b32_e32 v12, 0x10000, v10
	s_delay_alu instid0(VALU_DEP_2) | instskip(NEXT) | instid1(VALU_DEP_2)
	v_cmp_eq_u32_e32 vcc_lo, 0, v11
	v_cndmask_b32_e32 v11, v12, v10, vcc_lo
	s_branch .LBB434_2
.LBB434_58:
	s_endpgm
	.section	.rodata,"a",@progbits
	.p2align	6, 0x0
	.amdhsa_kernel _ZN12_GLOBAL__N_127rocblas_gemm_batched_kernelIfLi16ELi16ELi32ELi32ELi8ELi32ELi8ELi8ELi32ELc78ELc67EK16rocblas_bfloat16S2_S1_EEvlllT_PT11_llS5_llS3_PT12_llPT13_lli
		.amdhsa_group_segment_fixed_size 2048
		.amdhsa_private_segment_fixed_size 0
		.amdhsa_kernarg_size 140
		.amdhsa_user_sgpr_count 2
		.amdhsa_user_sgpr_dispatch_ptr 0
		.amdhsa_user_sgpr_queue_ptr 0
		.amdhsa_user_sgpr_kernarg_segment_ptr 1
		.amdhsa_user_sgpr_dispatch_id 0
		.amdhsa_user_sgpr_kernarg_preload_length 0
		.amdhsa_user_sgpr_kernarg_preload_offset 0
		.amdhsa_user_sgpr_private_segment_size 0
		.amdhsa_wavefront_size32 1
		.amdhsa_uses_dynamic_stack 0
		.amdhsa_enable_private_segment 0
		.amdhsa_system_sgpr_workgroup_id_x 1
		.amdhsa_system_sgpr_workgroup_id_y 1
		.amdhsa_system_sgpr_workgroup_id_z 1
		.amdhsa_system_sgpr_workgroup_info 0
		.amdhsa_system_vgpr_workitem_id 1
		.amdhsa_next_free_vgpr 52
		.amdhsa_next_free_sgpr 38
		.amdhsa_named_barrier_count 0
		.amdhsa_reserve_vcc 1
		.amdhsa_float_round_mode_32 0
		.amdhsa_float_round_mode_16_64 0
		.amdhsa_float_denorm_mode_32 3
		.amdhsa_float_denorm_mode_16_64 3
		.amdhsa_fp16_overflow 0
		.amdhsa_memory_ordered 1
		.amdhsa_forward_progress 1
		.amdhsa_inst_pref_size 20
		.amdhsa_round_robin_scheduling 0
		.amdhsa_exception_fp_ieee_invalid_op 0
		.amdhsa_exception_fp_denorm_src 0
		.amdhsa_exception_fp_ieee_div_zero 0
		.amdhsa_exception_fp_ieee_overflow 0
		.amdhsa_exception_fp_ieee_underflow 0
		.amdhsa_exception_fp_ieee_inexact 0
		.amdhsa_exception_int_div_zero 0
	.end_amdhsa_kernel
	.section	.text._ZN12_GLOBAL__N_127rocblas_gemm_batched_kernelIfLi16ELi16ELi32ELi32ELi8ELi32ELi8ELi8ELi32ELc78ELc67EK16rocblas_bfloat16S2_S1_EEvlllT_PT11_llS5_llS3_PT12_llPT13_lli,"axG",@progbits,_ZN12_GLOBAL__N_127rocblas_gemm_batched_kernelIfLi16ELi16ELi32ELi32ELi8ELi32ELi8ELi8ELi32ELc78ELc67EK16rocblas_bfloat16S2_S1_EEvlllT_PT11_llS5_llS3_PT12_llPT13_lli,comdat
.Lfunc_end434:
	.size	_ZN12_GLOBAL__N_127rocblas_gemm_batched_kernelIfLi16ELi16ELi32ELi32ELi8ELi32ELi8ELi8ELi32ELc78ELc67EK16rocblas_bfloat16S2_S1_EEvlllT_PT11_llS5_llS3_PT12_llPT13_lli, .Lfunc_end434-_ZN12_GLOBAL__N_127rocblas_gemm_batched_kernelIfLi16ELi16ELi32ELi32ELi8ELi32ELi8ELi8ELi32ELc78ELc67EK16rocblas_bfloat16S2_S1_EEvlllT_PT11_llS5_llS3_PT12_llPT13_lli
                                        ; -- End function
	.set _ZN12_GLOBAL__N_127rocblas_gemm_batched_kernelIfLi16ELi16ELi32ELi32ELi8ELi32ELi8ELi8ELi32ELc78ELc67EK16rocblas_bfloat16S2_S1_EEvlllT_PT11_llS5_llS3_PT12_llPT13_lli.num_vgpr, 52
	.set _ZN12_GLOBAL__N_127rocblas_gemm_batched_kernelIfLi16ELi16ELi32ELi32ELi8ELi32ELi8ELi8ELi32ELc78ELc67EK16rocblas_bfloat16S2_S1_EEvlllT_PT11_llS5_llS3_PT12_llPT13_lli.num_agpr, 0
	.set _ZN12_GLOBAL__N_127rocblas_gemm_batched_kernelIfLi16ELi16ELi32ELi32ELi8ELi32ELi8ELi8ELi32ELc78ELc67EK16rocblas_bfloat16S2_S1_EEvlllT_PT11_llS5_llS3_PT12_llPT13_lli.numbered_sgpr, 38
	.set _ZN12_GLOBAL__N_127rocblas_gemm_batched_kernelIfLi16ELi16ELi32ELi32ELi8ELi32ELi8ELi8ELi32ELc78ELc67EK16rocblas_bfloat16S2_S1_EEvlllT_PT11_llS5_llS3_PT12_llPT13_lli.num_named_barrier, 0
	.set _ZN12_GLOBAL__N_127rocblas_gemm_batched_kernelIfLi16ELi16ELi32ELi32ELi8ELi32ELi8ELi8ELi32ELc78ELc67EK16rocblas_bfloat16S2_S1_EEvlllT_PT11_llS5_llS3_PT12_llPT13_lli.private_seg_size, 0
	.set _ZN12_GLOBAL__N_127rocblas_gemm_batched_kernelIfLi16ELi16ELi32ELi32ELi8ELi32ELi8ELi8ELi32ELc78ELc67EK16rocblas_bfloat16S2_S1_EEvlllT_PT11_llS5_llS3_PT12_llPT13_lli.uses_vcc, 1
	.set _ZN12_GLOBAL__N_127rocblas_gemm_batched_kernelIfLi16ELi16ELi32ELi32ELi8ELi32ELi8ELi8ELi32ELc78ELc67EK16rocblas_bfloat16S2_S1_EEvlllT_PT11_llS5_llS3_PT12_llPT13_lli.uses_flat_scratch, 0
	.set _ZN12_GLOBAL__N_127rocblas_gemm_batched_kernelIfLi16ELi16ELi32ELi32ELi8ELi32ELi8ELi8ELi32ELc78ELc67EK16rocblas_bfloat16S2_S1_EEvlllT_PT11_llS5_llS3_PT12_llPT13_lli.has_dyn_sized_stack, 0
	.set _ZN12_GLOBAL__N_127rocblas_gemm_batched_kernelIfLi16ELi16ELi32ELi32ELi8ELi32ELi8ELi8ELi32ELc78ELc67EK16rocblas_bfloat16S2_S1_EEvlllT_PT11_llS5_llS3_PT12_llPT13_lli.has_recursion, 0
	.set _ZN12_GLOBAL__N_127rocblas_gemm_batched_kernelIfLi16ELi16ELi32ELi32ELi8ELi32ELi8ELi8ELi32ELc78ELc67EK16rocblas_bfloat16S2_S1_EEvlllT_PT11_llS5_llS3_PT12_llPT13_lli.has_indirect_call, 0
	.section	.AMDGPU.csdata,"",@progbits
; Kernel info:
; codeLenInByte = 2492
; TotalNumSgprs: 40
; NumVgprs: 52
; ScratchSize: 0
; MemoryBound: 0
; FloatMode: 240
; IeeeMode: 1
; LDSByteSize: 2048 bytes/workgroup (compile time only)
; SGPRBlocks: 0
; VGPRBlocks: 3
; NumSGPRsForWavesPerEU: 40
; NumVGPRsForWavesPerEU: 52
; NamedBarCnt: 0
; Occupancy: 16
; WaveLimiterHint : 0
; COMPUTE_PGM_RSRC2:SCRATCH_EN: 0
; COMPUTE_PGM_RSRC2:USER_SGPR: 2
; COMPUTE_PGM_RSRC2:TRAP_HANDLER: 0
; COMPUTE_PGM_RSRC2:TGID_X_EN: 1
; COMPUTE_PGM_RSRC2:TGID_Y_EN: 1
; COMPUTE_PGM_RSRC2:TGID_Z_EN: 1
; COMPUTE_PGM_RSRC2:TIDIG_COMP_CNT: 1
	.section	.text._ZN12_GLOBAL__N_127rocblas_gemm_batched_kernelIfLi16ELi16ELi32ELi32ELi8ELi32ELi8ELi8ELi32ELc84ELc67EK16rocblas_bfloat16S2_S1_EEvlllT_PT11_llS5_llS3_PT12_llPT13_lli,"axG",@progbits,_ZN12_GLOBAL__N_127rocblas_gemm_batched_kernelIfLi16ELi16ELi32ELi32ELi8ELi32ELi8ELi8ELi32ELc84ELc67EK16rocblas_bfloat16S2_S1_EEvlllT_PT11_llS5_llS3_PT12_llPT13_lli,comdat
	.globl	_ZN12_GLOBAL__N_127rocblas_gemm_batched_kernelIfLi16ELi16ELi32ELi32ELi8ELi32ELi8ELi8ELi32ELc84ELc67EK16rocblas_bfloat16S2_S1_EEvlllT_PT11_llS5_llS3_PT12_llPT13_lli ; -- Begin function _ZN12_GLOBAL__N_127rocblas_gemm_batched_kernelIfLi16ELi16ELi32ELi32ELi8ELi32ELi8ELi8ELi32ELc84ELc67EK16rocblas_bfloat16S2_S1_EEvlllT_PT11_llS5_llS3_PT12_llPT13_lli
	.p2align	8
	.type	_ZN12_GLOBAL__N_127rocblas_gemm_batched_kernelIfLi16ELi16ELi32ELi32ELi8ELi32ELi8ELi8ELi32ELc84ELc67EK16rocblas_bfloat16S2_S1_EEvlllT_PT11_llS5_llS3_PT12_llPT13_lli,@function
_ZN12_GLOBAL__N_127rocblas_gemm_batched_kernelIfLi16ELi16ELi32ELi32ELi8ELi32ELi8ELi8ELi32ELc84ELc67EK16rocblas_bfloat16S2_S1_EEvlllT_PT11_llS5_llS3_PT12_llPT13_lli: ; @_ZN12_GLOBAL__N_127rocblas_gemm_batched_kernelIfLi16ELi16ELi32ELi32ELi8ELi32ELi8ELi8ELi32ELc84ELc67EK16rocblas_bfloat16S2_S1_EEvlllT_PT11_llS5_llS3_PT12_llPT13_lli
; %bb.0:
	s_load_b32 s3, s[0:1], 0x88
	s_bfe_u32 s2, ttmp6, 0x40014
	s_lshr_b32 s4, ttmp7, 16
	s_add_co_i32 s2, s2, 1
	s_bfe_u32 s6, ttmp6, 0x40008
	s_mul_i32 s5, s4, s2
	s_getreg_b32 s2, hwreg(HW_REG_IB_STS2, 6, 4)
	s_add_co_i32 s6, s6, s5
	s_cmp_eq_u32 s2, 0
	s_mov_b32 s29, 0
	s_cselect_b32 s28, s4, s6
	s_wait_kmcnt 0x0
	s_cmp_ge_i32 s28, s3
	s_cbranch_scc1 .LBB435_58
; %bb.1:
	v_bfe_u32 v4, v0, 10, 10
	v_and_b32_e32 v2, 0x3ff, v0
	s_bfe_u32 s30, ttmp6, 0x4000c
	s_bfe_u32 s33, ttmp6, 0x40010
	s_add_co_i32 s30, s30, 1
	s_and_b32 s34, ttmp7, 0xffff
	s_add_co_i32 s33, s33, 1
	s_clause 0x3
	s_load_b256 s[12:19], s[0:1], 0x20
	s_load_b128 s[24:27], s[0:1], 0x40
	s_load_b128 s[20:23], s[0:1], 0x78
	s_load_b256 s[4:11], s[0:1], 0x58
	s_and_b32 s31, ttmp6, 15
	s_mul_i32 s30, ttmp9, s30
	s_mul_i32 s33, s34, s33
	s_bfe_u32 s35, ttmp6, 0x40004
	v_lshl_add_u32 v3, v4, 4, v2
	s_add_co_i32 s31, s31, s30
	s_add_co_i32 s35, s35, s33
	s_cmp_eq_u32 s2, 0
	s_delay_alu instid0(VALU_DEP_1)
	v_dual_mov_b32 v5, 0 :: v_dual_bitop2_b32 v16, 31, v3 bitop3:0x40
	s_cselect_b32 s30, ttmp9, s31
	s_cselect_b32 s2, s34, s35
	s_ashr_i32 s31, s30, 31
	s_lshl_b32 s36, s2, 5
	s_lshl_b64 s[34:35], s[30:31], 5
	s_mov_b32 s37, s29
	v_dual_mov_b32 v7, s35 :: v_dual_bitop2_b32 v6, s34, v16 bitop3:0x54
	v_add_nc_u64_e32 v[8:9], s[36:37], v[4:5]
	v_dual_lshrrev_b32 v10, 3, v3 :: v_dual_bitop2_b32 v17, 7, v0 bitop3:0x40
	v_mov_b32_e32 v11, v5
	s_wait_kmcnt 0x0
	v_mul_u64_e32 v[6:7], s[14:15], v[6:7]
	s_load_b32 s30, s[0:1], 0x50
	v_lshl_add_u32 v24, v4, 5, 0x400
	v_mul_u64_e32 v[12:13], s[6:7], v[8:9]
	v_mul_u64_e32 v[0:1], s[20:21], v[8:9]
	v_lshlrev_b32_e32 v8, 2, v17
	v_mad_nc_u64_u32 v[14:15], s24, v17, v[10:11]
	s_wait_xcnt 0x0
	s_load_b96 s[0:2], s[0:1], 0x10
	v_dual_lshrrev_b32 v9, 5, v3 :: v_dual_lshlrev_b32 v11, 2, v16
	v_lshl_or_b32 v8, v10, 5, v8
	v_dual_mov_b32 v3, v5 :: v_dual_lshlrev_b32 v25, 2, v2
	s_delay_alu instid0(VALU_DEP_3) | instskip(NEXT) | instid1(VALU_DEP_4)
	v_lshlrev_b32_e32 v4, 1, v9
	v_lshl_or_b32 v22, v9, 7, v11
	s_delay_alu instid0(VALU_DEP_4) | instskip(NEXT) | instid1(VALU_DEP_4)
	v_add_nc_u32_e32 v23, 0x400, v8
	v_add_nc_u64_e32 v[2:3], s[34:35], v[2:3]
	v_mad_u32 v15, s25, v17, v15
	s_wait_kmcnt 0x0
	s_cmp_eq_f32 s30, 0
	s_cselect_b32 s31, -1, 0
	s_lshl_b64 s[14:15], s[20:21], 4
	v_cmp_gt_i64_e64 s20, s[0:1], 0
	s_delay_alu instid0(VALU_DEP_2) | instskip(SKIP_3) | instid1(VALU_DEP_2)
	v_add_nc_u64_e32 v[8:9], s[36:37], v[14:15]
	s_lshl_b64 s[6:7], s[6:7], 4
	s_lshl_b64 s[16:17], s[16:17], 1
	v_lshl_add_u64 v[10:11], v[6:7], 1, v[4:5]
	v_lshl_add_u64 v[6:7], v[8:9], 1, s[18:19]
	;; [unrolled: 1-line block ×3, first 2 shown]
	s_delay_alu instid0(VALU_DEP_3)
	v_add_nc_u64_e32 v[8:9], s[12:13], v[10:11]
	s_lshl_b64 s[4:5], s[26:27], 1
	s_lshl_b64 s[12:13], s[24:25], 4
	s_branch .LBB435_4
.LBB435_2:                              ;   in Loop: Header=BB435_4 Depth=1
	s_or_b32 exec_lo, exec_lo, s18
	global_store_d16_hi_b16 v[14:15], v11, off offset:32
.LBB435_3:                              ;   in Loop: Header=BB435_4 Depth=1
	s_add_co_i32 s28, s28, 0x10000
	s_delay_alu instid0(SALU_CYCLE_1)
	s_cmp_lt_i32 s28, s3
	s_cbranch_scc0 .LBB435_58
.LBB435_4:                              ; =>This Loop Header: Depth=1
                                        ;     Child Loop BB435_6 Depth 2
	v_dual_mov_b32 v13, 0 :: v_dual_mov_b32 v12, 0
	s_wait_xcnt 0x0
	v_dual_mov_b32 v11, 0 :: v_dual_mov_b32 v10, 0
	s_and_not1_b32 vcc_lo, exec_lo, s20
	s_cbranch_vccnz .LBB435_7
; %bb.5:                                ;   in Loop: Header=BB435_4 Depth=1
	v_mad_nc_u64_u32 v[14:15], s4, s28, v[6:7]
	v_mad_nc_u64_u32 v[16:17], s16, s28, v[8:9]
	v_mov_b32_e32 v10, 0
	s_mov_b64 s[18:19], 0
	s_delay_alu instid0(VALU_DEP_1)
	v_dual_mov_b32 v11, v10 :: v_dual_mov_b32 v12, v10
	v_mov_b32_e32 v13, v10
	v_mad_u32 v15, s5, s28, v15
	v_mad_u32 v17, s17, s28, v17
.LBB435_6:                              ;   Parent Loop BB435_4 Depth=1
                                        ; =>  This Inner Loop Header: Depth=2
	global_load_u16 v18, v[16:17], off
	global_load_u16 v19, v[14:15], off
	s_add_nc_u64 s[18:19], s[18:19], 8
	s_wait_xcnt 0x0
	v_add_nc_u64_e32 v[14:15], s[12:13], v[14:15]
	v_cmp_lt_i64_e64 s21, s[18:19], s[0:1]
	v_add_nc_u64_e32 v[16:17], 16, v[16:17]
	s_and_b32 vcc_lo, exec_lo, s21
	s_wait_loadcnt 0x0
	v_dual_lshlrev_b32 v18, 16, v18 :: v_dual_lshlrev_b32 v19, 16, v19
	ds_store_b32 v22, v18
	ds_store_b32 v23, v19
	s_wait_dscnt 0x0
	s_barrier_signal -1
	s_barrier_wait -1
	ds_load_b128 v[18:21], v24
	ds_load_2addr_b32 v[38:39], v25 offset1:16
	ds_load_b128 v[26:29], v24 offset:512
	ds_load_2addr_b32 v[40:41], v25 offset0:32 offset1:48
	ds_load_2addr_b32 v[42:43], v25 offset0:64 offset1:80
	ds_load_b128 v[30:33], v24 offset:16
	ds_load_2addr_b32 v[44:45], v25 offset0:96 offset1:112
	ds_load_2addr_b32 v[46:47], v25 offset0:128 offset1:144
	;; [unrolled: 3-line block ×3, first 2 shown]
	s_wait_dscnt 0x9
	v_pk_fma_f32 v[12:13], v[38:39], v[18:19], v[12:13] op_sel_hi:[1,0,1]
	s_wait_dscnt 0x8
	v_pk_fma_f32 v[10:11], v[38:39], v[26:27], v[10:11] op_sel_hi:[1,0,1]
	v_mov_b32_e32 v38, v21
	s_wait_dscnt 0x7
	v_pk_fma_f32 v[12:13], v[40:41], v[18:19], v[12:13] op_sel:[0,1,0]
	s_delay_alu instid0(VALU_DEP_3) | instskip(SKIP_2) | instid1(VALU_DEP_3)
	v_pk_fma_f32 v[10:11], v[40:41], v[26:27], v[10:11] op_sel:[0,1,0]
	s_wait_dscnt 0x2
	v_dual_mov_b32 v18, v29 :: v_dual_mov_b32 v26, v37
	v_pk_fma_f32 v[12:13], v[42:43], v[20:21], v[12:13] op_sel_hi:[1,0,1]
	s_delay_alu instid0(VALU_DEP_3)
	v_pk_fma_f32 v[10:11], v[42:43], v[28:29], v[10:11] op_sel_hi:[1,0,1]
	ds_load_2addr_b32 v[20:21], v25 offset0:224 offset1:240
	s_wait_dscnt 0x0
	s_barrier_signal -1
	v_pk_fma_f32 v[12:13], v[44:45], v[38:39], v[12:13] op_sel_hi:[1,0,1]
	v_pk_fma_f32 v[10:11], v[44:45], v[18:19], v[10:11] op_sel_hi:[1,0,1]
	v_mov_b32_e32 v18, v33
	s_barrier_wait -1
	s_delay_alu instid0(VALU_DEP_3) | instskip(NEXT) | instid1(VALU_DEP_3)
	v_pk_fma_f32 v[12:13], v[46:47], v[30:31], v[12:13] op_sel_hi:[1,0,1]
	v_pk_fma_f32 v[10:11], v[46:47], v[34:35], v[10:11] op_sel_hi:[1,0,1]
	s_delay_alu instid0(VALU_DEP_2) | instskip(NEXT) | instid1(VALU_DEP_2)
	v_pk_fma_f32 v[12:13], v[48:49], v[30:31], v[12:13] op_sel:[0,1,0]
	v_pk_fma_f32 v[10:11], v[48:49], v[34:35], v[10:11] op_sel:[0,1,0]
	s_delay_alu instid0(VALU_DEP_2) | instskip(NEXT) | instid1(VALU_DEP_2)
	v_pk_fma_f32 v[12:13], v[50:51], v[32:33], v[12:13] op_sel_hi:[1,0,1]
	v_pk_fma_f32 v[10:11], v[50:51], v[36:37], v[10:11] op_sel_hi:[1,0,1]
	s_delay_alu instid0(VALU_DEP_2) | instskip(NEXT) | instid1(VALU_DEP_2)
	v_pk_fma_f32 v[12:13], v[20:21], v[18:19], v[12:13] op_sel_hi:[1,0,1]
	v_pk_fma_f32 v[10:11], v[20:21], v[26:27], v[10:11] op_sel_hi:[1,0,1]
	s_cbranch_vccnz .LBB435_6
.LBB435_7:                              ;   in Loop: Header=BB435_4 Depth=1
	s_mul_u64 s[18:19], s[22:23], s[28:29]
	s_and_not1_b32 vcc_lo, exec_lo, s31
	s_lshl_b64 s[18:19], s[18:19], 1
	s_delay_alu instid0(SALU_CYCLE_1)
	s_add_nc_u64 s[18:19], s[10:11], s[18:19]
	s_cbranch_vccnz .LBB435_25
; %bb.8:                                ;   in Loop: Header=BB435_4 Depth=1
	v_mul_f32_e32 v14, s2, v12
	s_mov_b32 s21, exec_lo
                                        ; implicit-def: $vgpr18
	s_delay_alu instid0(VALU_DEP_1) | instskip(NEXT) | instid1(VALU_DEP_1)
	v_and_b32_e32 v15, 0x7f800000, v14
	v_cmpx_ne_u32_e32 0x7f800000, v15
	s_xor_b32 s21, exec_lo, s21
; %bb.9:                                ;   in Loop: Header=BB435_4 Depth=1
	v_bfe_u32 v15, v14, 16, 1
	s_delay_alu instid0(VALU_DEP_1)
	v_add3_u32 v18, v14, v15, 0x7fff
                                        ; implicit-def: $vgpr14
; %bb.10:                               ;   in Loop: Header=BB435_4 Depth=1
	s_and_not1_saveexec_b32 s21, s21
; %bb.11:                               ;   in Loop: Header=BB435_4 Depth=1
	v_and_b32_e32 v15, 0xffff, v14
	v_or_b32_e32 v16, 0x10000, v14
	s_delay_alu instid0(VALU_DEP_2) | instskip(NEXT) | instid1(VALU_DEP_2)
	v_cmp_eq_u32_e32 vcc_lo, 0, v15
	v_cndmask_b32_e32 v18, v16, v14, vcc_lo
; %bb.12:                               ;   in Loop: Header=BB435_4 Depth=1
	s_or_b32 exec_lo, exec_lo, s21
	v_mul_f32_e32 v19, s2, v13
	v_lshl_add_u64 v[14:15], v[0:1], 1, s[18:19]
	s_delay_alu instid0(VALU_DEP_2) | instskip(NEXT) | instid1(VALU_DEP_2)
	v_and_b32_e32 v20, 0x7f800000, v19
	v_lshl_add_u64 v[16:17], v[2:3], 1, v[14:15]
	s_delay_alu instid0(VALU_DEP_2) | instskip(SKIP_3) | instid1(SALU_CYCLE_1)
	v_cmp_ne_u32_e32 vcc_lo, 0x7f800000, v20
	global_store_d16_hi_b16 v[16:17], v18, off
                                        ; implicit-def: $vgpr20
	s_wait_xcnt 0x0
	s_and_saveexec_b32 s21, vcc_lo
	s_xor_b32 s21, exec_lo, s21
; %bb.13:                               ;   in Loop: Header=BB435_4 Depth=1
	v_bfe_u32 v18, v19, 16, 1
	s_delay_alu instid0(VALU_DEP_1)
	v_add3_u32 v20, v19, v18, 0x7fff
                                        ; implicit-def: $vgpr19
; %bb.14:                               ;   in Loop: Header=BB435_4 Depth=1
	s_and_not1_saveexec_b32 s21, s21
; %bb.15:                               ;   in Loop: Header=BB435_4 Depth=1
	v_and_b32_e32 v18, 0xffff, v19
	v_or_b32_e32 v20, 0x10000, v19
	s_delay_alu instid0(VALU_DEP_2) | instskip(NEXT) | instid1(VALU_DEP_2)
	v_cmp_eq_u32_e32 vcc_lo, 0, v18
	v_cndmask_b32_e32 v20, v20, v19, vcc_lo
; %bb.16:                               ;   in Loop: Header=BB435_4 Depth=1
	s_or_b32 exec_lo, exec_lo, s21
	v_mul_f32_e32 v18, s2, v10
	s_mov_b32 s21, exec_lo
	global_store_d16_hi_b16 v[16:17], v20, off offset:32
                                        ; implicit-def: $vgpr16
	v_and_b32_e32 v19, 0x7f800000, v18
	s_wait_xcnt 0x0
	s_delay_alu instid0(VALU_DEP_1)
	v_cmpx_ne_u32_e32 0x7f800000, v19
	s_xor_b32 s21, exec_lo, s21
; %bb.17:                               ;   in Loop: Header=BB435_4 Depth=1
	v_bfe_u32 v16, v18, 16, 1
	s_delay_alu instid0(VALU_DEP_1)
	v_add3_u32 v16, v18, v16, 0x7fff
                                        ; implicit-def: $vgpr18
; %bb.18:                               ;   in Loop: Header=BB435_4 Depth=1
	s_and_not1_saveexec_b32 s21, s21
; %bb.19:                               ;   in Loop: Header=BB435_4 Depth=1
	v_and_b32_e32 v16, 0xffff, v18
	v_or_b32_e32 v17, 0x10000, v18
	s_delay_alu instid0(VALU_DEP_2) | instskip(NEXT) | instid1(VALU_DEP_2)
	v_cmp_eq_u32_e32 vcc_lo, 0, v16
	v_cndmask_b32_e32 v16, v17, v18, vcc_lo
; %bb.20:                               ;   in Loop: Header=BB435_4 Depth=1
	s_or_b32 exec_lo, exec_lo, s21
	v_mul_f32_e32 v17, s2, v11
	v_lshl_add_u64 v[14:15], s[14:15], 1, v[14:15]
	s_mov_b32 s21, exec_lo
	s_delay_alu instid0(VALU_DEP_2) | instskip(NEXT) | instid1(VALU_DEP_2)
	v_and_b32_e32 v18, 0x7f800000, v17
	v_lshl_add_u64 v[14:15], v[2:3], 1, v[14:15]
	global_store_d16_hi_b16 v[14:15], v16, off
                                        ; implicit-def: $vgpr16
	s_wait_xcnt 0x0
	v_cmpx_ne_u32_e32 0x7f800000, v18
	s_xor_b32 s21, exec_lo, s21
; %bb.21:                               ;   in Loop: Header=BB435_4 Depth=1
	v_bfe_u32 v16, v17, 16, 1
	s_delay_alu instid0(VALU_DEP_1)
	v_add3_u32 v16, v17, v16, 0x7fff
                                        ; implicit-def: $vgpr17
; %bb.22:                               ;   in Loop: Header=BB435_4 Depth=1
	s_and_not1_saveexec_b32 s21, s21
; %bb.23:                               ;   in Loop: Header=BB435_4 Depth=1
	v_and_b32_e32 v16, 0xffff, v17
	v_or_b32_e32 v18, 0x10000, v17
	s_delay_alu instid0(VALU_DEP_2) | instskip(NEXT) | instid1(VALU_DEP_2)
	v_cmp_eq_u32_e32 vcc_lo, 0, v16
	v_cndmask_b32_e32 v16, v18, v17, vcc_lo
; %bb.24:                               ;   in Loop: Header=BB435_4 Depth=1
	s_or_b32 exec_lo, exec_lo, s21
	global_store_d16_hi_b16 v[14:15], v16, off offset:32
	s_branch .LBB435_3
.LBB435_25:                             ;   in Loop: Header=BB435_4 Depth=1
	s_cbranch_execz .LBB435_3
; %bb.26:                               ;   in Loop: Header=BB435_4 Depth=1
	s_mul_u64 s[24:25], s[8:9], s[28:29]
	s_wait_xcnt 0x0
	v_lshl_add_u64 v[14:15], s[24:25], 1, v[4:5]
	s_delay_alu instid0(VALU_DEP_1) | instskip(SKIP_3) | instid1(VALU_DEP_1)
	v_lshl_add_u64 v[18:19], v[2:3], 1, v[14:15]
	global_load_u16 v16, v[18:19], off
	s_wait_loadcnt 0x0
	v_lshlrev_b32_e32 v16, 16, v16
	v_mul_f32_e32 v16, s30, v16
	s_delay_alu instid0(VALU_DEP_1) | instskip(NEXT) | instid1(VALU_DEP_1)
	v_and_b32_e32 v17, 0x7f800000, v16
	v_cmp_ne_u32_e32 vcc_lo, 0x7f800000, v17
                                        ; implicit-def: $vgpr17
	s_wait_xcnt 0x0
	s_and_saveexec_b32 s21, vcc_lo
	s_delay_alu instid0(SALU_CYCLE_1)
	s_xor_b32 s21, exec_lo, s21
; %bb.27:                               ;   in Loop: Header=BB435_4 Depth=1
	v_bfe_u32 v17, v16, 16, 1
	s_delay_alu instid0(VALU_DEP_1)
	v_add3_u32 v17, v16, v17, 0x7fff
                                        ; implicit-def: $vgpr16
; %bb.28:                               ;   in Loop: Header=BB435_4 Depth=1
	s_and_not1_saveexec_b32 s21, s21
; %bb.29:                               ;   in Loop: Header=BB435_4 Depth=1
	v_and_b32_e32 v17, 0xffff, v16
	v_or_b32_e32 v20, 0x10000, v16
	s_delay_alu instid0(VALU_DEP_2) | instskip(NEXT) | instid1(VALU_DEP_2)
	v_cmp_eq_u32_e32 vcc_lo, 0, v17
	v_cndmask_b32_e32 v17, v20, v16, vcc_lo
; %bb.30:                               ;   in Loop: Header=BB435_4 Depth=1
	s_or_b32 exec_lo, exec_lo, s21
	s_delay_alu instid0(VALU_DEP_1) | instskip(SKIP_1) | instid1(VALU_DEP_1)
	v_fma_mix_f32_bf16 v12, s2, v12, v17 op_sel:[0,0,1] op_sel_hi:[0,0,1]
	s_mov_b32 s21, exec_lo
                                        ; implicit-def: $vgpr26
	v_and_b32_e32 v16, 0x7f800000, v12
	s_delay_alu instid0(VALU_DEP_1)
	v_cmpx_ne_u32_e32 0x7f800000, v16
	s_xor_b32 s21, exec_lo, s21
; %bb.31:                               ;   in Loop: Header=BB435_4 Depth=1
	v_bfe_u32 v16, v12, 16, 1
	s_delay_alu instid0(VALU_DEP_1)
	v_add3_u32 v26, v12, v16, 0x7fff
                                        ; implicit-def: $vgpr12
; %bb.32:                               ;   in Loop: Header=BB435_4 Depth=1
	s_and_not1_saveexec_b32 s21, s21
; %bb.33:                               ;   in Loop: Header=BB435_4 Depth=1
	v_and_b32_e32 v16, 0xffff, v12
	v_or_b32_e32 v17, 0x10000, v12
	s_delay_alu instid0(VALU_DEP_2) | instskip(NEXT) | instid1(VALU_DEP_2)
	v_cmp_eq_u32_e32 vcc_lo, 0, v16
	v_cndmask_b32_e32 v26, v17, v12, vcc_lo
; %bb.34:                               ;   in Loop: Header=BB435_4 Depth=1
	s_or_b32 exec_lo, exec_lo, s21
	v_lshl_add_u64 v[16:17], v[0:1], 1, s[18:19]
	s_delay_alu instid0(VALU_DEP_1) | instskip(SKIP_4) | instid1(VALU_DEP_1)
	v_lshl_add_u64 v[20:21], v[2:3], 1, v[16:17]
	global_store_d16_hi_b16 v[20:21], v26, off
	global_load_u16 v12, v[18:19], off offset:32
	s_wait_loadcnt 0x0
	v_lshlrev_b32_e32 v12, 16, v12
	v_mul_f32_e32 v12, s30, v12
	s_wait_xcnt 0x0
	s_delay_alu instid0(VALU_DEP_1) | instskip(NEXT) | instid1(VALU_DEP_1)
	v_and_b32_e32 v18, 0x7f800000, v12
	v_cmp_ne_u32_e32 vcc_lo, 0x7f800000, v18
                                        ; implicit-def: $vgpr18
	s_and_saveexec_b32 s18, vcc_lo
	s_delay_alu instid0(SALU_CYCLE_1)
	s_xor_b32 s18, exec_lo, s18
; %bb.35:                               ;   in Loop: Header=BB435_4 Depth=1
	v_bfe_u32 v18, v12, 16, 1
	s_delay_alu instid0(VALU_DEP_1)
	v_add3_u32 v18, v12, v18, 0x7fff
                                        ; implicit-def: $vgpr12
; %bb.36:                               ;   in Loop: Header=BB435_4 Depth=1
	s_and_not1_saveexec_b32 s18, s18
; %bb.37:                               ;   in Loop: Header=BB435_4 Depth=1
	v_and_b32_e32 v18, 0xffff, v12
	v_or_b32_e32 v19, 0x10000, v12
	s_delay_alu instid0(VALU_DEP_2) | instskip(NEXT) | instid1(VALU_DEP_2)
	v_cmp_eq_u32_e32 vcc_lo, 0, v18
	v_cndmask_b32_e32 v18, v19, v12, vcc_lo
; %bb.38:                               ;   in Loop: Header=BB435_4 Depth=1
	s_or_b32 exec_lo, exec_lo, s18
	s_delay_alu instid0(VALU_DEP_1) | instskip(SKIP_1) | instid1(VALU_DEP_1)
	v_fma_mix_f32_bf16 v12, s2, v13, v18 op_sel:[0,0,1] op_sel_hi:[0,0,1]
	s_mov_b32 s18, exec_lo
                                        ; implicit-def: $vgpr18
	v_and_b32_e32 v13, 0x7f800000, v12
	s_delay_alu instid0(VALU_DEP_1)
	v_cmpx_ne_u32_e32 0x7f800000, v13
	s_xor_b32 s18, exec_lo, s18
; %bb.39:                               ;   in Loop: Header=BB435_4 Depth=1
	v_bfe_u32 v13, v12, 16, 1
	s_delay_alu instid0(VALU_DEP_1)
	v_add3_u32 v18, v12, v13, 0x7fff
                                        ; implicit-def: $vgpr12
; %bb.40:                               ;   in Loop: Header=BB435_4 Depth=1
	s_and_not1_saveexec_b32 s18, s18
; %bb.41:                               ;   in Loop: Header=BB435_4 Depth=1
	v_and_b32_e32 v13, 0xffff, v12
	v_or_b32_e32 v18, 0x10000, v12
	s_delay_alu instid0(VALU_DEP_2) | instskip(NEXT) | instid1(VALU_DEP_2)
	v_cmp_eq_u32_e32 vcc_lo, 0, v13
	v_cndmask_b32_e32 v18, v18, v12, vcc_lo
; %bb.42:                               ;   in Loop: Header=BB435_4 Depth=1
	s_or_b32 exec_lo, exec_lo, s18
	v_lshl_add_u64 v[12:13], s[6:7], 1, v[14:15]
	global_store_d16_hi_b16 v[20:21], v18, off offset:32
	v_lshl_add_u64 v[12:13], v[2:3], 1, v[12:13]
	global_load_u16 v14, v[12:13], off
	s_wait_loadcnt 0x0
	v_lshlrev_b32_e32 v14, 16, v14
	s_delay_alu instid0(VALU_DEP_1) | instskip(NEXT) | instid1(VALU_DEP_1)
	v_mul_f32_e32 v14, s30, v14
	v_and_b32_e32 v15, 0x7f800000, v14
	s_delay_alu instid0(VALU_DEP_1) | instskip(SKIP_2) | instid1(SALU_CYCLE_1)
	v_cmp_ne_u32_e32 vcc_lo, 0x7f800000, v15
                                        ; implicit-def: $vgpr15
	s_wait_xcnt 0x0
	s_and_saveexec_b32 s18, vcc_lo
	s_xor_b32 s18, exec_lo, s18
; %bb.43:                               ;   in Loop: Header=BB435_4 Depth=1
	v_bfe_u32 v15, v14, 16, 1
	s_delay_alu instid0(VALU_DEP_1)
	v_add3_u32 v15, v14, v15, 0x7fff
                                        ; implicit-def: $vgpr14
; %bb.44:                               ;   in Loop: Header=BB435_4 Depth=1
	s_and_not1_saveexec_b32 s18, s18
; %bb.45:                               ;   in Loop: Header=BB435_4 Depth=1
	v_and_b32_e32 v15, 0xffff, v14
	v_or_b32_e32 v18, 0x10000, v14
	s_delay_alu instid0(VALU_DEP_2) | instskip(NEXT) | instid1(VALU_DEP_2)
	v_cmp_eq_u32_e32 vcc_lo, 0, v15
	v_cndmask_b32_e32 v15, v18, v14, vcc_lo
; %bb.46:                               ;   in Loop: Header=BB435_4 Depth=1
	s_or_b32 exec_lo, exec_lo, s18
	s_delay_alu instid0(VALU_DEP_1) | instskip(SKIP_1) | instid1(VALU_DEP_1)
	v_fma_mix_f32_bf16 v10, s2, v10, v15 op_sel:[0,0,1] op_sel_hi:[0,0,1]
	s_mov_b32 s18, exec_lo
                                        ; implicit-def: $vgpr18
	v_and_b32_e32 v14, 0x7f800000, v10
	s_delay_alu instid0(VALU_DEP_1)
	v_cmpx_ne_u32_e32 0x7f800000, v14
	s_xor_b32 s18, exec_lo, s18
; %bb.47:                               ;   in Loop: Header=BB435_4 Depth=1
	v_bfe_u32 v14, v10, 16, 1
	s_delay_alu instid0(VALU_DEP_1)
	v_add3_u32 v18, v10, v14, 0x7fff
                                        ; implicit-def: $vgpr10
; %bb.48:                               ;   in Loop: Header=BB435_4 Depth=1
	s_and_not1_saveexec_b32 s18, s18
; %bb.49:                               ;   in Loop: Header=BB435_4 Depth=1
	v_and_b32_e32 v14, 0xffff, v10
	v_or_b32_e32 v15, 0x10000, v10
	s_delay_alu instid0(VALU_DEP_2) | instskip(NEXT) | instid1(VALU_DEP_2)
	v_cmp_eq_u32_e32 vcc_lo, 0, v14
	v_cndmask_b32_e32 v18, v15, v10, vcc_lo
; %bb.50:                               ;   in Loop: Header=BB435_4 Depth=1
	s_or_b32 exec_lo, exec_lo, s18
	v_lshl_add_u64 v[14:15], s[14:15], 1, v[16:17]
	s_delay_alu instid0(VALU_DEP_1) | instskip(SKIP_4) | instid1(VALU_DEP_1)
	v_lshl_add_u64 v[14:15], v[2:3], 1, v[14:15]
	global_store_d16_hi_b16 v[14:15], v18, off
	global_load_u16 v10, v[12:13], off offset:32
	s_wait_loadcnt 0x0
	v_lshlrev_b32_e32 v10, 16, v10
	v_mul_f32_e32 v10, s30, v10
	s_wait_xcnt 0x0
	s_delay_alu instid0(VALU_DEP_1) | instskip(NEXT) | instid1(VALU_DEP_1)
	v_and_b32_e32 v12, 0x7f800000, v10
	v_cmp_ne_u32_e32 vcc_lo, 0x7f800000, v12
                                        ; implicit-def: $vgpr12
	s_and_saveexec_b32 s18, vcc_lo
	s_delay_alu instid0(SALU_CYCLE_1)
	s_xor_b32 s18, exec_lo, s18
; %bb.51:                               ;   in Loop: Header=BB435_4 Depth=1
	v_bfe_u32 v12, v10, 16, 1
	s_delay_alu instid0(VALU_DEP_1)
	v_add3_u32 v12, v10, v12, 0x7fff
                                        ; implicit-def: $vgpr10
; %bb.52:                               ;   in Loop: Header=BB435_4 Depth=1
	s_and_not1_saveexec_b32 s18, s18
; %bb.53:                               ;   in Loop: Header=BB435_4 Depth=1
	v_and_b32_e32 v12, 0xffff, v10
	v_or_b32_e32 v13, 0x10000, v10
	s_delay_alu instid0(VALU_DEP_2) | instskip(NEXT) | instid1(VALU_DEP_2)
	v_cmp_eq_u32_e32 vcc_lo, 0, v12
	v_cndmask_b32_e32 v12, v13, v10, vcc_lo
; %bb.54:                               ;   in Loop: Header=BB435_4 Depth=1
	s_or_b32 exec_lo, exec_lo, s18
	s_delay_alu instid0(VALU_DEP_1) | instskip(NEXT) | instid1(VALU_DEP_1)
	v_fma_mix_f32_bf16 v10, s2, v11, v12 op_sel:[0,0,1] op_sel_hi:[0,0,1]
	v_and_b32_e32 v11, 0x7f800000, v10
	s_delay_alu instid0(VALU_DEP_1) | instskip(SKIP_1) | instid1(SALU_CYCLE_1)
	v_cmp_ne_u32_e32 vcc_lo, 0x7f800000, v11
                                        ; implicit-def: $vgpr11
	s_and_saveexec_b32 s18, vcc_lo
	s_xor_b32 s18, exec_lo, s18
; %bb.55:                               ;   in Loop: Header=BB435_4 Depth=1
	v_bfe_u32 v11, v10, 16, 1
	s_delay_alu instid0(VALU_DEP_1)
	v_add3_u32 v11, v10, v11, 0x7fff
                                        ; implicit-def: $vgpr10
; %bb.56:                               ;   in Loop: Header=BB435_4 Depth=1
	s_and_not1_saveexec_b32 s18, s18
	s_cbranch_execz .LBB435_2
; %bb.57:                               ;   in Loop: Header=BB435_4 Depth=1
	v_and_b32_e32 v11, 0xffff, v10
	v_or_b32_e32 v12, 0x10000, v10
	s_delay_alu instid0(VALU_DEP_2) | instskip(NEXT) | instid1(VALU_DEP_2)
	v_cmp_eq_u32_e32 vcc_lo, 0, v11
	v_cndmask_b32_e32 v11, v12, v10, vcc_lo
	s_branch .LBB435_2
.LBB435_58:
	s_endpgm
	.section	.rodata,"a",@progbits
	.p2align	6, 0x0
	.amdhsa_kernel _ZN12_GLOBAL__N_127rocblas_gemm_batched_kernelIfLi16ELi16ELi32ELi32ELi8ELi32ELi8ELi8ELi32ELc84ELc67EK16rocblas_bfloat16S2_S1_EEvlllT_PT11_llS5_llS3_PT12_llPT13_lli
		.amdhsa_group_segment_fixed_size 2048
		.amdhsa_private_segment_fixed_size 0
		.amdhsa_kernarg_size 140
		.amdhsa_user_sgpr_count 2
		.amdhsa_user_sgpr_dispatch_ptr 0
		.amdhsa_user_sgpr_queue_ptr 0
		.amdhsa_user_sgpr_kernarg_segment_ptr 1
		.amdhsa_user_sgpr_dispatch_id 0
		.amdhsa_user_sgpr_kernarg_preload_length 0
		.amdhsa_user_sgpr_kernarg_preload_offset 0
		.amdhsa_user_sgpr_private_segment_size 0
		.amdhsa_wavefront_size32 1
		.amdhsa_uses_dynamic_stack 0
		.amdhsa_enable_private_segment 0
		.amdhsa_system_sgpr_workgroup_id_x 1
		.amdhsa_system_sgpr_workgroup_id_y 1
		.amdhsa_system_sgpr_workgroup_id_z 1
		.amdhsa_system_sgpr_workgroup_info 0
		.amdhsa_system_vgpr_workitem_id 1
		.amdhsa_next_free_vgpr 52
		.amdhsa_next_free_sgpr 38
		.amdhsa_named_barrier_count 0
		.amdhsa_reserve_vcc 1
		.amdhsa_float_round_mode_32 0
		.amdhsa_float_round_mode_16_64 0
		.amdhsa_float_denorm_mode_32 3
		.amdhsa_float_denorm_mode_16_64 3
		.amdhsa_fp16_overflow 0
		.amdhsa_memory_ordered 1
		.amdhsa_forward_progress 1
		.amdhsa_inst_pref_size 20
		.amdhsa_round_robin_scheduling 0
		.amdhsa_exception_fp_ieee_invalid_op 0
		.amdhsa_exception_fp_denorm_src 0
		.amdhsa_exception_fp_ieee_div_zero 0
		.amdhsa_exception_fp_ieee_overflow 0
		.amdhsa_exception_fp_ieee_underflow 0
		.amdhsa_exception_fp_ieee_inexact 0
		.amdhsa_exception_int_div_zero 0
	.end_amdhsa_kernel
	.section	.text._ZN12_GLOBAL__N_127rocblas_gemm_batched_kernelIfLi16ELi16ELi32ELi32ELi8ELi32ELi8ELi8ELi32ELc84ELc67EK16rocblas_bfloat16S2_S1_EEvlllT_PT11_llS5_llS3_PT12_llPT13_lli,"axG",@progbits,_ZN12_GLOBAL__N_127rocblas_gemm_batched_kernelIfLi16ELi16ELi32ELi32ELi8ELi32ELi8ELi8ELi32ELc84ELc67EK16rocblas_bfloat16S2_S1_EEvlllT_PT11_llS5_llS3_PT12_llPT13_lli,comdat
.Lfunc_end435:
	.size	_ZN12_GLOBAL__N_127rocblas_gemm_batched_kernelIfLi16ELi16ELi32ELi32ELi8ELi32ELi8ELi8ELi32ELc84ELc67EK16rocblas_bfloat16S2_S1_EEvlllT_PT11_llS5_llS3_PT12_llPT13_lli, .Lfunc_end435-_ZN12_GLOBAL__N_127rocblas_gemm_batched_kernelIfLi16ELi16ELi32ELi32ELi8ELi32ELi8ELi8ELi32ELc84ELc67EK16rocblas_bfloat16S2_S1_EEvlllT_PT11_llS5_llS3_PT12_llPT13_lli
                                        ; -- End function
	.set _ZN12_GLOBAL__N_127rocblas_gemm_batched_kernelIfLi16ELi16ELi32ELi32ELi8ELi32ELi8ELi8ELi32ELc84ELc67EK16rocblas_bfloat16S2_S1_EEvlllT_PT11_llS5_llS3_PT12_llPT13_lli.num_vgpr, 52
	.set _ZN12_GLOBAL__N_127rocblas_gemm_batched_kernelIfLi16ELi16ELi32ELi32ELi8ELi32ELi8ELi8ELi32ELc84ELc67EK16rocblas_bfloat16S2_S1_EEvlllT_PT11_llS5_llS3_PT12_llPT13_lli.num_agpr, 0
	.set _ZN12_GLOBAL__N_127rocblas_gemm_batched_kernelIfLi16ELi16ELi32ELi32ELi8ELi32ELi8ELi8ELi32ELc84ELc67EK16rocblas_bfloat16S2_S1_EEvlllT_PT11_llS5_llS3_PT12_llPT13_lli.numbered_sgpr, 38
	.set _ZN12_GLOBAL__N_127rocblas_gemm_batched_kernelIfLi16ELi16ELi32ELi32ELi8ELi32ELi8ELi8ELi32ELc84ELc67EK16rocblas_bfloat16S2_S1_EEvlllT_PT11_llS5_llS3_PT12_llPT13_lli.num_named_barrier, 0
	.set _ZN12_GLOBAL__N_127rocblas_gemm_batched_kernelIfLi16ELi16ELi32ELi32ELi8ELi32ELi8ELi8ELi32ELc84ELc67EK16rocblas_bfloat16S2_S1_EEvlllT_PT11_llS5_llS3_PT12_llPT13_lli.private_seg_size, 0
	.set _ZN12_GLOBAL__N_127rocblas_gemm_batched_kernelIfLi16ELi16ELi32ELi32ELi8ELi32ELi8ELi8ELi32ELc84ELc67EK16rocblas_bfloat16S2_S1_EEvlllT_PT11_llS5_llS3_PT12_llPT13_lli.uses_vcc, 1
	.set _ZN12_GLOBAL__N_127rocblas_gemm_batched_kernelIfLi16ELi16ELi32ELi32ELi8ELi32ELi8ELi8ELi32ELc84ELc67EK16rocblas_bfloat16S2_S1_EEvlllT_PT11_llS5_llS3_PT12_llPT13_lli.uses_flat_scratch, 0
	.set _ZN12_GLOBAL__N_127rocblas_gemm_batched_kernelIfLi16ELi16ELi32ELi32ELi8ELi32ELi8ELi8ELi32ELc84ELc67EK16rocblas_bfloat16S2_S1_EEvlllT_PT11_llS5_llS3_PT12_llPT13_lli.has_dyn_sized_stack, 0
	.set _ZN12_GLOBAL__N_127rocblas_gemm_batched_kernelIfLi16ELi16ELi32ELi32ELi8ELi32ELi8ELi8ELi32ELc84ELc67EK16rocblas_bfloat16S2_S1_EEvlllT_PT11_llS5_llS3_PT12_llPT13_lli.has_recursion, 0
	.set _ZN12_GLOBAL__N_127rocblas_gemm_batched_kernelIfLi16ELi16ELi32ELi32ELi8ELi32ELi8ELi8ELi32ELc84ELc67EK16rocblas_bfloat16S2_S1_EEvlllT_PT11_llS5_llS3_PT12_llPT13_lli.has_indirect_call, 0
	.section	.AMDGPU.csdata,"",@progbits
; Kernel info:
; codeLenInByte = 2500
; TotalNumSgprs: 40
; NumVgprs: 52
; ScratchSize: 0
; MemoryBound: 0
; FloatMode: 240
; IeeeMode: 1
; LDSByteSize: 2048 bytes/workgroup (compile time only)
; SGPRBlocks: 0
; VGPRBlocks: 3
; NumSGPRsForWavesPerEU: 40
; NumVGPRsForWavesPerEU: 52
; NamedBarCnt: 0
; Occupancy: 16
; WaveLimiterHint : 0
; COMPUTE_PGM_RSRC2:SCRATCH_EN: 0
; COMPUTE_PGM_RSRC2:USER_SGPR: 2
; COMPUTE_PGM_RSRC2:TRAP_HANDLER: 0
; COMPUTE_PGM_RSRC2:TGID_X_EN: 1
; COMPUTE_PGM_RSRC2:TGID_Y_EN: 1
; COMPUTE_PGM_RSRC2:TGID_Z_EN: 1
; COMPUTE_PGM_RSRC2:TIDIG_COMP_CNT: 1
	.section	.text._ZN12_GLOBAL__N_135rocblas_gemm_batched_general_kernelIfLi16ELi16ELi32ELi32ELi8ELi32ELi8ELi8ELi32ELc78ELc78EK16rocblas_bfloat16S2_S1_EEvlllT_PT11_llS5_llS3_PT12_llPT13_lli,"axG",@progbits,_ZN12_GLOBAL__N_135rocblas_gemm_batched_general_kernelIfLi16ELi16ELi32ELi32ELi8ELi32ELi8ELi8ELi32ELc78ELc78EK16rocblas_bfloat16S2_S1_EEvlllT_PT11_llS5_llS3_PT12_llPT13_lli,comdat
	.globl	_ZN12_GLOBAL__N_135rocblas_gemm_batched_general_kernelIfLi16ELi16ELi32ELi32ELi8ELi32ELi8ELi8ELi32ELc78ELc78EK16rocblas_bfloat16S2_S1_EEvlllT_PT11_llS5_llS3_PT12_llPT13_lli ; -- Begin function _ZN12_GLOBAL__N_135rocblas_gemm_batched_general_kernelIfLi16ELi16ELi32ELi32ELi8ELi32ELi8ELi8ELi32ELc78ELc78EK16rocblas_bfloat16S2_S1_EEvlllT_PT11_llS5_llS3_PT12_llPT13_lli
	.p2align	8
	.type	_ZN12_GLOBAL__N_135rocblas_gemm_batched_general_kernelIfLi16ELi16ELi32ELi32ELi8ELi32ELi8ELi8ELi32ELc78ELc78EK16rocblas_bfloat16S2_S1_EEvlllT_PT11_llS5_llS3_PT12_llPT13_lli,@function
_ZN12_GLOBAL__N_135rocblas_gemm_batched_general_kernelIfLi16ELi16ELi32ELi32ELi8ELi32ELi8ELi8ELi32ELc78ELc78EK16rocblas_bfloat16S2_S1_EEvlllT_PT11_llS5_llS3_PT12_llPT13_lli: ; @_ZN12_GLOBAL__N_135rocblas_gemm_batched_general_kernelIfLi16ELi16ELi32ELi32ELi8ELi32ELi8ELi8ELi32ELc78ELc78EK16rocblas_bfloat16S2_S1_EEvlllT_PT11_llS5_llS3_PT12_llPT13_lli
; %bb.0:
	s_load_b32 s33, s[0:1], 0x88
	s_bfe_u32 s2, ttmp6, 0x40014
	s_lshr_b32 s3, ttmp7, 16
	s_add_co_i32 s2, s2, 1
	s_bfe_u32 s5, ttmp6, 0x40008
	s_mul_i32 s4, s3, s2
	s_getreg_b32 s2, hwreg(HW_REG_IB_STS2, 6, 4)
	s_add_co_i32 s5, s5, s4
	s_cmp_eq_u32 s2, 0
	s_mov_b32 s35, 0
	s_cselect_b32 s34, s3, s5
	s_wait_kmcnt 0x0
	s_cmp_ge_i32 s34, s33
	s_cbranch_scc1 .LBB436_74
; %bb.1:
	v_bfe_u32 v8, v0, 10, 10
	v_and_b32_e32 v10, 0x3ff, v0
	s_clause 0x1
	s_load_b256 s[16:23], s[0:1], 0x20
	s_load_b128 s[4:7], s[0:1], 0x40
	s_bfe_u32 s8, ttmp6, 0x4000c
	s_bfe_u32 s9, ttmp6, 0x40010
	s_add_co_i32 s8, s8, 1
	s_and_b32 s10, ttmp7, 0xffff
	s_add_co_i32 s9, s9, 1
	v_lshl_add_u32 v1, v8, 4, v10
	v_mov_b32_e32 v9, 0
	s_and_b32 s3, ttmp6, 15
	s_mul_i32 s8, ttmp9, s8
	s_mul_i32 s9, s10, s9
	s_bfe_u32 s11, ttmp6, 0x40004
	s_add_co_i32 s3, s3, s8
	s_add_co_i32 s11, s11, s9
	s_cmp_eq_u32 s2, 0
	v_dual_mov_b32 v13, v9 :: v_dual_lshrrev_b32 v12, 3, v1
	v_lshrrev_b32_e32 v2, 5, v1
	s_cselect_b32 s8, s10, s11
	s_cselect_b32 s2, ttmp9, s3
	s_lshl_b32 s36, s8, 5
	s_mov_b32 s37, s35
	s_load_b256 s[8:15], s[0:1], 0x58
	v_add_nc_u64_e32 v[14:15], s[36:37], v[12:13]
	v_dual_mov_b32 v3, v9 :: v_dual_bitop2_b32 v26, 31, v1 bitop3:0x40
	s_clause 0x2
	s_load_b128 s[28:31], s[0:1], 0x0
	s_load_b32 s39, s[0:1], 0x50
	s_load_b128 s[24:27], s[0:1], 0x78
	v_add_nc_u64_e32 v[20:21], s[36:37], v[8:9]
	s_ashr_i32 s3, s2, 31
	s_wait_kmcnt 0x0
	v_mul_u64_e32 v[18:19], s[18:19], v[2:3]
	v_mul_u64_e32 v[16:17], s[4:5], v[14:15]
	s_lshl_b64 s[4:5], s[2:3], 5
	s_load_b96 s[36:38], s[0:1], 0x10
	v_dual_mov_b32 v5, s5 :: v_dual_bitop2_b32 v4, s4, v26 bitop3:0x54
	v_dual_lshlrev_b32 v6, 2, v26 :: v_dual_bitop2_b32 v0, 7, v0 bitop3:0x40
	v_dual_mov_b32 v11, v9 :: v_dual_mov_b32 v1, v9
	v_lshl_add_u32 v25, v8, 5, 0x400
	s_delay_alu instid0(VALU_DEP_3) | instskip(NEXT) | instid1(VALU_DEP_4)
	v_lshl_or_b32 v24, v2, 7, v6
	v_dual_lshlrev_b32 v13, 2, v0 :: v_dual_lshlrev_b32 v8, 1, v0
	v_mul_u64_e32 v[22:23], s[10:11], v[20:21]
	s_wait_xcnt 0x0
	v_cmp_gt_i64_e64 s0, s[28:29], v[4:5]
	s_cmp_eq_f32 s39, 0
	v_mul_u64_e32 v[4:5], s[24:25], v[20:21]
	v_add_nc_u64_e32 v[6:7], s[4:5], v[10:11]
	v_cmp_gt_i64_e64 s1, s[30:31], v[14:15]
	s_cselect_b32 s40, -1, 0
	s_lshl_b64 s[2:3], s[2:3], 6
	v_lshl_or_b32 v11, v12, 5, v13
	v_add_nc_u64_e32 v[14:15], 16, v[20:21]
	v_lshlrev_b32_e32 v27, 2, v10
	v_add_nc_u64_e32 v[12:13], 16, v[6:7]
	s_lshl_b64 s[24:25], s[24:25], 4
	s_lshl_b64 s[10:11], s[10:11], 4
	;; [unrolled: 1-line block ×3, first 2 shown]
	s_delay_alu instid0(VALU_DEP_3)
	v_cmp_gt_i64_e64 s5, s[30:31], v[14:15]
	v_lshl_add_u64 v[18:19], v[18:19], 1, s[2:3]
	v_lshl_add_u64 v[16:17], v[16:17], 1, v[8:9]
	v_lshlrev_b32_e32 v8, 1, v26
	v_add_nc_u32_e32 v26, 0x400, v11
	v_cmp_gt_i64_e64 s2, s[30:31], v[20:21]
	v_cmp_gt_i64_e64 s3, s[28:29], v[6:7]
	;; [unrolled: 1-line block ×3, first 2 shown]
	v_add_nc_u64_e32 v[18:19], v[18:19], v[8:9]
	v_add_nc_u64_e32 v[10:11], s[22:23], v[16:17]
	s_wait_kmcnt 0x0
	v_cmp_gt_i64_e64 s22, s[36:37], 0
	s_delay_alu instid0(VALU_DEP_3)
	v_add_nc_u64_e32 v[12:13], s[16:17], v[18:19]
	v_lshl_add_u64 v[8:9], v[22:23], 1, s[8:9]
	s_lshl_b64 s[8:9], s[20:21], 1
	s_lshl_b64 s[16:17], s[18:19], 4
	s_branch .LBB436_5
.LBB436_2:                              ;   in Loop: Header=BB436_5 Depth=1
	s_or_b32 exec_lo, exec_lo, s18
	global_store_d16_hi_b16 v[16:17], v15, off offset:32
.LBB436_3:                              ;   in Loop: Header=BB436_5 Depth=1
	s_wait_xcnt 0x0
	s_or_b32 exec_lo, exec_lo, s20
.LBB436_4:                              ;   in Loop: Header=BB436_5 Depth=1
	s_add_co_i32 s34, s34, 0x10000
	s_delay_alu instid0(SALU_CYCLE_1)
	s_cmp_lt_i32 s34, s33
	s_cbranch_scc0 .LBB436_74
.LBB436_5:                              ; =>This Loop Header: Depth=1
                                        ;     Child Loop BB436_8 Depth 2
	v_dual_mov_b32 v17, 0 :: v_dual_mov_b32 v16, 0
	v_dual_mov_b32 v15, 0 :: v_dual_mov_b32 v14, 0
	s_and_not1_b32 vcc_lo, exec_lo, s22
	s_cbranch_vccnz .LBB436_12
; %bb.6:                                ;   in Loop: Header=BB436_5 Depth=1
	v_mad_nc_u64_u32 v[18:19], s6, s34, v[10:11]
	v_mad_nc_u64_u32 v[20:21], s8, s34, v[12:13]
	v_mov_b32_e32 v16, 0
	s_mov_b64 s[18:19], 0
	s_delay_alu instid0(VALU_DEP_1)
	v_dual_mov_b32 v17, v16 :: v_dual_mov_b32 v14, v16
	v_mov_b32_e32 v15, v16
	v_mad_u32 v19, s7, s34, v19
	v_mad_u32 v21, s9, s34, v21
	s_branch .LBB436_8
.LBB436_7:                              ;   in Loop: Header=BB436_8 Depth=2
	s_wait_xcnt 0x0
	s_or_b32 exec_lo, exec_lo, s20
	ds_store_b32 v26, v23
	s_wait_dscnt 0x0
	s_barrier_signal -1
	s_barrier_wait -1
	ds_load_b128 v[28:31], v25
	ds_load_2addr_b32 v[22:23], v27 offset1:16
	ds_load_b128 v[32:35], v25 offset:512
	ds_load_2addr_b32 v[44:45], v27 offset0:32 offset1:48
	ds_load_2addr_b32 v[46:47], v27 offset0:64 offset1:80
	;; [unrolled: 1-line block ×3, first 2 shown]
	ds_load_b128 v[36:39], v25 offset:16
	ds_load_2addr_b32 v[50:51], v27 offset0:128 offset1:144
	ds_load_b128 v[40:43], v25 offset:528
	s_add_nc_u64 s[18:19], s[18:19], 8
	v_add_nc_u64_e32 v[18:19], 16, v[18:19]
	v_cmp_lt_i64_e64 s20, s[18:19], s[36:37]
	v_add_nc_u64_e32 v[20:21], s[16:17], v[20:21]
	s_and_b32 vcc_lo, exec_lo, s20
	s_wait_dscnt 0x7
	v_pk_fma_f32 v[16:17], v[22:23], v[28:29], v[16:17] op_sel_hi:[1,0,1]
	s_wait_dscnt 0x6
	v_pk_fma_f32 v[14:15], v[22:23], v[32:33], v[14:15] op_sel_hi:[1,0,1]
	ds_load_2addr_b32 v[22:23], v27 offset0:160 offset1:176
	s_wait_dscnt 0x6
	v_pk_fma_f32 v[16:17], v[44:45], v[28:29], v[16:17] op_sel:[0,1,0]
	v_pk_fma_f32 v[14:15], v[44:45], v[32:33], v[14:15] op_sel:[0,1,0]
	ds_load_2addr_b32 v[28:29], v27 offset0:192 offset1:208
	v_dual_mov_b32 v32, v31 :: v_dual_mov_b32 v44, v35
	s_wait_dscnt 0x6
	v_pk_fma_f32 v[16:17], v[46:47], v[30:31], v[16:17] op_sel_hi:[1,0,1]
	v_pk_fma_f32 v[14:15], v[46:47], v[34:35], v[14:15] op_sel_hi:[1,0,1]
	ds_load_2addr_b32 v[30:31], v27 offset0:224 offset1:240
	s_wait_dscnt 0x0
	s_barrier_signal -1
	v_pk_fma_f32 v[16:17], v[48:49], v[32:33], v[16:17] op_sel_hi:[1,0,1]
	v_pk_fma_f32 v[14:15], v[48:49], v[44:45], v[14:15] op_sel_hi:[1,0,1]
	s_barrier_wait -1
	v_mov_b32_e32 v32, v43
	s_delay_alu instid0(VALU_DEP_3) | instskip(NEXT) | instid1(VALU_DEP_3)
	v_pk_fma_f32 v[16:17], v[50:51], v[36:37], v[16:17] op_sel_hi:[1,0,1]
	v_pk_fma_f32 v[14:15], v[50:51], v[40:41], v[14:15] op_sel_hi:[1,0,1]
	s_delay_alu instid0(VALU_DEP_2) | instskip(NEXT) | instid1(VALU_DEP_2)
	v_pk_fma_f32 v[16:17], v[22:23], v[36:37], v[16:17] op_sel:[0,1,0]
	v_pk_fma_f32 v[14:15], v[22:23], v[40:41], v[14:15] op_sel:[0,1,0]
	v_mov_b32_e32 v22, v39
	s_delay_alu instid0(VALU_DEP_3) | instskip(NEXT) | instid1(VALU_DEP_3)
	v_pk_fma_f32 v[16:17], v[28:29], v[38:39], v[16:17] op_sel_hi:[1,0,1]
	v_pk_fma_f32 v[14:15], v[28:29], v[42:43], v[14:15] op_sel_hi:[1,0,1]
	s_delay_alu instid0(VALU_DEP_2) | instskip(NEXT) | instid1(VALU_DEP_2)
	v_pk_fma_f32 v[16:17], v[30:31], v[22:23], v[16:17] op_sel_hi:[1,0,1]
	v_pk_fma_f32 v[14:15], v[30:31], v[32:33], v[14:15] op_sel_hi:[1,0,1]
	s_cbranch_vccz .LBB436_12
.LBB436_8:                              ;   Parent Loop BB436_5 Depth=1
                                        ; =>  This Inner Loop Header: Depth=2
	v_add_nc_u64_e32 v[22:23], s[18:19], v[2:3]
	s_delay_alu instid0(VALU_DEP_1) | instskip(SKIP_2) | instid1(SALU_CYCLE_1)
	v_cmp_gt_i64_e32 vcc_lo, s[36:37], v[22:23]
	v_mov_b32_e32 v22, 0
	s_and_b32 s21, s0, vcc_lo
	s_and_saveexec_b32 s20, s21
	s_cbranch_execz .LBB436_10
; %bb.9:                                ;   in Loop: Header=BB436_8 Depth=2
	global_load_u16 v22, v[20:21], off
	s_wait_loadcnt 0x0
	v_lshlrev_b32_e32 v22, 16, v22
.LBB436_10:                             ;   in Loop: Header=BB436_8 Depth=2
	s_wait_xcnt 0x0
	s_or_b32 exec_lo, exec_lo, s20
	v_add_nc_u64_e32 v[28:29], s[18:19], v[0:1]
	v_mov_b32_e32 v23, 0
	ds_store_b32 v24, v22
	v_cmp_gt_i64_e32 vcc_lo, s[36:37], v[28:29]
	s_and_b32 s21, vcc_lo, s1
	s_delay_alu instid0(SALU_CYCLE_1)
	s_and_saveexec_b32 s20, s21
	s_cbranch_execz .LBB436_7
; %bb.11:                               ;   in Loop: Header=BB436_8 Depth=2
	global_load_u16 v22, v[18:19], off
	s_wait_loadcnt 0x0
	v_lshlrev_b32_e32 v23, 16, v22
	s_branch .LBB436_7
.LBB436_12:                             ;   in Loop: Header=BB436_5 Depth=1
	s_mul_u64 s[18:19], s[26:27], s[34:35]
	s_and_not1_b32 vcc_lo, exec_lo, s40
	s_lshl_b64 s[18:19], s[18:19], 1
	s_delay_alu instid0(SALU_CYCLE_1)
	s_add_nc_u64 s[18:19], s[14:15], s[18:19]
	s_cbranch_vccnz .LBB436_17
; %bb.13:                               ;   in Loop: Header=BB436_5 Depth=1
	s_and_saveexec_b32 s20, s2
	s_cbranch_execz .LBB436_32
; %bb.14:                               ;   in Loop: Header=BB436_5 Depth=1
	v_lshl_add_u64 v[18:19], v[4:5], 1, s[18:19]
	s_and_saveexec_b32 s21, s3
	s_cbranch_execnz .LBB436_18
; %bb.15:                               ;   in Loop: Header=BB436_5 Depth=1
	s_or_b32 exec_lo, exec_lo, s21
	s_and_saveexec_b32 s21, s4
	s_cbranch_execnz .LBB436_23
.LBB436_16:                             ;   in Loop: Header=BB436_5 Depth=1
	s_or_b32 exec_lo, exec_lo, s21
	s_delay_alu instid0(SALU_CYCLE_1)
	s_and_b32 exec_lo, exec_lo, s5
	s_cbranch_execnz .LBB436_28
	s_branch .LBB436_32
.LBB436_17:                             ;   in Loop: Header=BB436_5 Depth=1
	s_branch .LBB436_33
.LBB436_18:                             ;   in Loop: Header=BB436_5 Depth=1
	v_mul_f32_e32 v20, s38, v16
	s_delay_alu instid0(VALU_DEP_1) | instskip(NEXT) | instid1(VALU_DEP_1)
	v_and_b32_e32 v21, 0x7f800000, v20
	v_cmp_ne_u32_e32 vcc_lo, 0x7f800000, v21
                                        ; implicit-def: $vgpr21
	s_and_saveexec_b32 s23, vcc_lo
	s_delay_alu instid0(SALU_CYCLE_1)
	s_xor_b32 s23, exec_lo, s23
; %bb.19:                               ;   in Loop: Header=BB436_5 Depth=1
	v_bfe_u32 v21, v20, 16, 1
	s_delay_alu instid0(VALU_DEP_1)
	v_add3_u32 v21, v20, v21, 0x7fff
                                        ; implicit-def: $vgpr20
; %bb.20:                               ;   in Loop: Header=BB436_5 Depth=1
	s_and_not1_saveexec_b32 s23, s23
; %bb.21:                               ;   in Loop: Header=BB436_5 Depth=1
	v_and_b32_e32 v21, 0xffff, v20
	v_or_b32_e32 v22, 0x10000, v20
	s_delay_alu instid0(VALU_DEP_2) | instskip(NEXT) | instid1(VALU_DEP_2)
	v_cmp_eq_u32_e32 vcc_lo, 0, v21
	v_cndmask_b32_e32 v21, v22, v20, vcc_lo
; %bb.22:                               ;   in Loop: Header=BB436_5 Depth=1
	s_or_b32 exec_lo, exec_lo, s23
	v_lshl_add_u64 v[22:23], v[6:7], 1, v[18:19]
	global_store_d16_hi_b16 v[22:23], v21, off
	s_wait_xcnt 0x0
	s_or_b32 exec_lo, exec_lo, s21
	s_and_saveexec_b32 s21, s4
	s_cbranch_execz .LBB436_16
.LBB436_23:                             ;   in Loop: Header=BB436_5 Depth=1
	v_mul_f32_e32 v20, s38, v17
	s_delay_alu instid0(VALU_DEP_1) | instskip(NEXT) | instid1(VALU_DEP_1)
	v_and_b32_e32 v21, 0x7f800000, v20
	v_cmp_ne_u32_e32 vcc_lo, 0x7f800000, v21
                                        ; implicit-def: $vgpr21
	s_and_saveexec_b32 s23, vcc_lo
	s_delay_alu instid0(SALU_CYCLE_1)
	s_xor_b32 s23, exec_lo, s23
; %bb.24:                               ;   in Loop: Header=BB436_5 Depth=1
	v_bfe_u32 v21, v20, 16, 1
	s_delay_alu instid0(VALU_DEP_1)
	v_add3_u32 v21, v20, v21, 0x7fff
                                        ; implicit-def: $vgpr20
; %bb.25:                               ;   in Loop: Header=BB436_5 Depth=1
	s_and_not1_saveexec_b32 s23, s23
; %bb.26:                               ;   in Loop: Header=BB436_5 Depth=1
	v_and_b32_e32 v21, 0xffff, v20
	v_or_b32_e32 v22, 0x10000, v20
	s_delay_alu instid0(VALU_DEP_2) | instskip(NEXT) | instid1(VALU_DEP_2)
	v_cmp_eq_u32_e32 vcc_lo, 0, v21
	v_cndmask_b32_e32 v21, v22, v20, vcc_lo
; %bb.27:                               ;   in Loop: Header=BB436_5 Depth=1
	s_or_b32 exec_lo, exec_lo, s23
	v_lshl_add_u64 v[22:23], v[6:7], 1, v[18:19]
	global_store_d16_hi_b16 v[22:23], v21, off offset:32
	s_wait_xcnt 0x0
	s_or_b32 exec_lo, exec_lo, s21
	s_delay_alu instid0(SALU_CYCLE_1)
	s_and_b32 exec_lo, exec_lo, s5
	s_cbranch_execz .LBB436_32
.LBB436_28:                             ;   in Loop: Header=BB436_5 Depth=1
	v_lshl_add_u64 v[18:19], s[24:25], 1, v[18:19]
	s_delay_alu instid0(VALU_DEP_1)
	v_lshl_add_u64 v[18:19], v[6:7], 1, v[18:19]
	s_and_saveexec_b32 s21, s3
	s_cbranch_execz .LBB436_30
; %bb.29:                               ;   in Loop: Header=BB436_5 Depth=1
	v_mul_f32_e32 v20, s38, v14
	s_delay_alu instid0(VALU_DEP_1) | instskip(SKIP_3) | instid1(VALU_DEP_4)
	v_and_b32_e32 v22, 0xffff, v20
	v_bfe_u32 v21, v20, 16, 1
	v_or_b32_e32 v23, 0x10000, v20
	v_and_b32_e32 v28, 0x7f800000, v20
	v_cmp_eq_u32_e32 vcc_lo, 0, v22
	s_delay_alu instid0(VALU_DEP_4) | instskip(NEXT) | instid1(VALU_DEP_4)
	v_add3_u32 v21, v20, v21, 0x7fff
	v_cndmask_b32_e32 v20, v23, v20, vcc_lo
	s_delay_alu instid0(VALU_DEP_4) | instskip(NEXT) | instid1(VALU_DEP_2)
	v_cmp_eq_u32_e32 vcc_lo, 0x7f800000, v28
	v_cndmask_b32_e32 v20, v21, v20, vcc_lo
	global_store_d16_hi_b16 v[18:19], v20, off
.LBB436_30:                             ;   in Loop: Header=BB436_5 Depth=1
	s_wait_xcnt 0x0
	s_or_b32 exec_lo, exec_lo, s21
	s_delay_alu instid0(SALU_CYCLE_1)
	s_and_b32 exec_lo, exec_lo, s4
	s_cbranch_execz .LBB436_32
; %bb.31:                               ;   in Loop: Header=BB436_5 Depth=1
	v_mul_f32_e32 v20, s38, v15
	s_delay_alu instid0(VALU_DEP_1) | instskip(SKIP_3) | instid1(VALU_DEP_4)
	v_and_b32_e32 v22, 0xffff, v20
	v_bfe_u32 v21, v20, 16, 1
	v_or_b32_e32 v23, 0x10000, v20
	v_and_b32_e32 v28, 0x7f800000, v20
	v_cmp_eq_u32_e32 vcc_lo, 0, v22
	s_delay_alu instid0(VALU_DEP_4) | instskip(NEXT) | instid1(VALU_DEP_4)
	v_add3_u32 v21, v20, v21, 0x7fff
	v_cndmask_b32_e32 v20, v23, v20, vcc_lo
	s_delay_alu instid0(VALU_DEP_4) | instskip(NEXT) | instid1(VALU_DEP_2)
	v_cmp_eq_u32_e32 vcc_lo, 0x7f800000, v28
	v_cndmask_b32_e32 v20, v21, v20, vcc_lo
	global_store_d16_hi_b16 v[18:19], v20, off offset:32
.LBB436_32:                             ;   in Loop: Header=BB436_5 Depth=1
	s_wait_xcnt 0x0
	s_or_b32 exec_lo, exec_lo, s20
	s_cbranch_execnz .LBB436_4
.LBB436_33:                             ;   in Loop: Header=BB436_5 Depth=1
	s_and_saveexec_b32 s20, s2
	s_cbranch_execz .LBB436_3
; %bb.34:                               ;   in Loop: Header=BB436_5 Depth=1
	s_mul_u64 s[28:29], s[12:13], s[34:35]
	v_lshl_add_u64 v[20:21], v[4:5], 1, s[18:19]
	v_lshl_add_u64 v[18:19], s[28:29], 1, v[8:9]
	s_delay_alu instid0(VALU_DEP_1)
	v_lshl_add_u64 v[22:23], v[6:7], 1, v[18:19]
	s_and_saveexec_b32 s18, s3
	s_cbranch_execnz .LBB436_37
; %bb.35:                               ;   in Loop: Header=BB436_5 Depth=1
	s_or_b32 exec_lo, exec_lo, s18
	s_and_saveexec_b32 s18, s4
	s_cbranch_execnz .LBB436_46
.LBB436_36:                             ;   in Loop: Header=BB436_5 Depth=1
	s_or_b32 exec_lo, exec_lo, s18
	s_delay_alu instid0(SALU_CYCLE_1)
	s_and_b32 exec_lo, exec_lo, s5
	s_cbranch_execz .LBB436_3
	s_branch .LBB436_55
.LBB436_37:                             ;   in Loop: Header=BB436_5 Depth=1
	global_load_u16 v28, v[22:23], off
	s_wait_loadcnt 0x0
	v_lshlrev_b32_e32 v28, 16, v28
	s_delay_alu instid0(VALU_DEP_1) | instskip(NEXT) | instid1(VALU_DEP_1)
	v_mul_f32_e32 v28, s39, v28
	v_and_b32_e32 v29, 0x7f800000, v28
	s_delay_alu instid0(VALU_DEP_1) | instskip(SKIP_2) | instid1(SALU_CYCLE_1)
	v_cmp_ne_u32_e32 vcc_lo, 0x7f800000, v29
                                        ; implicit-def: $vgpr29
	s_wait_xcnt 0x0
	s_and_saveexec_b32 s19, vcc_lo
	s_xor_b32 s19, exec_lo, s19
; %bb.38:                               ;   in Loop: Header=BB436_5 Depth=1
	v_bfe_u32 v29, v28, 16, 1
	s_delay_alu instid0(VALU_DEP_1)
	v_add3_u32 v29, v28, v29, 0x7fff
                                        ; implicit-def: $vgpr28
; %bb.39:                               ;   in Loop: Header=BB436_5 Depth=1
	s_and_not1_saveexec_b32 s19, s19
; %bb.40:                               ;   in Loop: Header=BB436_5 Depth=1
	v_and_b32_e32 v29, 0xffff, v28
	v_or_b32_e32 v30, 0x10000, v28
	s_delay_alu instid0(VALU_DEP_2) | instskip(NEXT) | instid1(VALU_DEP_2)
	v_cmp_eq_u32_e32 vcc_lo, 0, v29
	v_cndmask_b32_e32 v29, v30, v28, vcc_lo
; %bb.41:                               ;   in Loop: Header=BB436_5 Depth=1
	s_or_b32 exec_lo, exec_lo, s19
	s_delay_alu instid0(VALU_DEP_1) | instskip(NEXT) | instid1(VALU_DEP_1)
	v_fma_mix_f32_bf16 v16, s38, v16, v29 op_sel:[0,0,1] op_sel_hi:[0,0,1]
	v_and_b32_e32 v28, 0x7f800000, v16
	s_delay_alu instid0(VALU_DEP_1) | instskip(SKIP_1) | instid1(SALU_CYCLE_1)
	v_cmp_ne_u32_e32 vcc_lo, 0x7f800000, v28
                                        ; implicit-def: $vgpr28
	s_and_saveexec_b32 s19, vcc_lo
	s_xor_b32 s19, exec_lo, s19
; %bb.42:                               ;   in Loop: Header=BB436_5 Depth=1
	v_bfe_u32 v28, v16, 16, 1
	s_delay_alu instid0(VALU_DEP_1)
	v_add3_u32 v28, v16, v28, 0x7fff
                                        ; implicit-def: $vgpr16
; %bb.43:                               ;   in Loop: Header=BB436_5 Depth=1
	s_and_not1_saveexec_b32 s19, s19
; %bb.44:                               ;   in Loop: Header=BB436_5 Depth=1
	v_and_b32_e32 v28, 0xffff, v16
	v_or_b32_e32 v29, 0x10000, v16
	s_delay_alu instid0(VALU_DEP_2) | instskip(NEXT) | instid1(VALU_DEP_2)
	v_cmp_eq_u32_e32 vcc_lo, 0, v28
	v_cndmask_b32_e32 v28, v29, v16, vcc_lo
; %bb.45:                               ;   in Loop: Header=BB436_5 Depth=1
	s_or_b32 exec_lo, exec_lo, s19
	v_lshl_add_u64 v[30:31], v[6:7], 1, v[20:21]
	global_store_d16_hi_b16 v[30:31], v28, off
	s_wait_xcnt 0x0
	s_or_b32 exec_lo, exec_lo, s18
	s_and_saveexec_b32 s18, s4
	s_cbranch_execz .LBB436_36
.LBB436_46:                             ;   in Loop: Header=BB436_5 Depth=1
	global_load_u16 v16, v[22:23], off offset:32
	s_wait_loadcnt 0x0
	v_lshlrev_b32_e32 v16, 16, v16
	s_delay_alu instid0(VALU_DEP_1) | instskip(SKIP_1) | instid1(VALU_DEP_1)
	v_mul_f32_e32 v16, s39, v16
	s_wait_xcnt 0x0
	v_and_b32_e32 v22, 0x7f800000, v16
	s_delay_alu instid0(VALU_DEP_1) | instskip(SKIP_1) | instid1(SALU_CYCLE_1)
	v_cmp_ne_u32_e32 vcc_lo, 0x7f800000, v22
                                        ; implicit-def: $vgpr22
	s_and_saveexec_b32 s19, vcc_lo
	s_xor_b32 s19, exec_lo, s19
; %bb.47:                               ;   in Loop: Header=BB436_5 Depth=1
	v_bfe_u32 v22, v16, 16, 1
	s_delay_alu instid0(VALU_DEP_1)
	v_add3_u32 v22, v16, v22, 0x7fff
                                        ; implicit-def: $vgpr16
; %bb.48:                               ;   in Loop: Header=BB436_5 Depth=1
	s_and_not1_saveexec_b32 s19, s19
; %bb.49:                               ;   in Loop: Header=BB436_5 Depth=1
	v_and_b32_e32 v22, 0xffff, v16
	v_or_b32_e32 v23, 0x10000, v16
	s_delay_alu instid0(VALU_DEP_2) | instskip(NEXT) | instid1(VALU_DEP_2)
	v_cmp_eq_u32_e32 vcc_lo, 0, v22
	v_cndmask_b32_e32 v22, v23, v16, vcc_lo
; %bb.50:                               ;   in Loop: Header=BB436_5 Depth=1
	s_or_b32 exec_lo, exec_lo, s19
	s_delay_alu instid0(VALU_DEP_1) | instskip(NEXT) | instid1(VALU_DEP_1)
	v_fma_mix_f32_bf16 v16, s38, v17, v22 op_sel:[0,0,1] op_sel_hi:[0,0,1]
	v_and_b32_e32 v17, 0x7f800000, v16
	s_delay_alu instid0(VALU_DEP_1) | instskip(SKIP_1) | instid1(SALU_CYCLE_1)
	v_cmp_ne_u32_e32 vcc_lo, 0x7f800000, v17
                                        ; implicit-def: $vgpr17
	s_and_saveexec_b32 s19, vcc_lo
	s_xor_b32 s19, exec_lo, s19
; %bb.51:                               ;   in Loop: Header=BB436_5 Depth=1
	v_bfe_u32 v17, v16, 16, 1
	s_delay_alu instid0(VALU_DEP_1)
	v_add3_u32 v17, v16, v17, 0x7fff
                                        ; implicit-def: $vgpr16
; %bb.52:                               ;   in Loop: Header=BB436_5 Depth=1
	s_and_not1_saveexec_b32 s19, s19
; %bb.53:                               ;   in Loop: Header=BB436_5 Depth=1
	v_and_b32_e32 v17, 0xffff, v16
	v_or_b32_e32 v22, 0x10000, v16
	s_delay_alu instid0(VALU_DEP_2) | instskip(NEXT) | instid1(VALU_DEP_2)
	v_cmp_eq_u32_e32 vcc_lo, 0, v17
	v_cndmask_b32_e32 v17, v22, v16, vcc_lo
; %bb.54:                               ;   in Loop: Header=BB436_5 Depth=1
	s_or_b32 exec_lo, exec_lo, s19
	v_lshl_add_u64 v[22:23], v[6:7], 1, v[20:21]
	global_store_d16_hi_b16 v[22:23], v17, off offset:32
	s_wait_xcnt 0x0
	s_or_b32 exec_lo, exec_lo, s18
	s_delay_alu instid0(SALU_CYCLE_1)
	s_and_b32 exec_lo, exec_lo, s5
	s_cbranch_execz .LBB436_3
.LBB436_55:                             ;   in Loop: Header=BB436_5 Depth=1
	v_lshlrev_b64_e32 v[16:17], 1, v[6:7]
	v_lshl_add_u64 v[18:19], s[10:11], 1, v[18:19]
	v_lshl_add_u64 v[20:21], s[24:25], 1, v[20:21]
	s_delay_alu instid0(VALU_DEP_2) | instskip(NEXT) | instid1(VALU_DEP_2)
	v_add_nc_u64_e32 v[18:19], v[18:19], v[16:17]
	v_add_nc_u64_e32 v[16:17], v[20:21], v[16:17]
	s_and_saveexec_b32 s18, s3
	s_cbranch_execz .LBB436_65
; %bb.56:                               ;   in Loop: Header=BB436_5 Depth=1
	global_load_u16 v20, v[18:19], off
	s_wait_loadcnt 0x0
	v_lshlrev_b32_e32 v20, 16, v20
	s_delay_alu instid0(VALU_DEP_1) | instskip(NEXT) | instid1(VALU_DEP_1)
	v_mul_f32_e32 v20, s39, v20
	v_and_b32_e32 v21, 0x7f800000, v20
	s_delay_alu instid0(VALU_DEP_1) | instskip(SKIP_2) | instid1(SALU_CYCLE_1)
	v_cmp_ne_u32_e32 vcc_lo, 0x7f800000, v21
                                        ; implicit-def: $vgpr21
	s_wait_xcnt 0x0
	s_and_saveexec_b32 s19, vcc_lo
	s_xor_b32 s19, exec_lo, s19
; %bb.57:                               ;   in Loop: Header=BB436_5 Depth=1
	v_bfe_u32 v21, v20, 16, 1
	s_delay_alu instid0(VALU_DEP_1)
	v_add3_u32 v21, v20, v21, 0x7fff
                                        ; implicit-def: $vgpr20
; %bb.58:                               ;   in Loop: Header=BB436_5 Depth=1
	s_and_not1_saveexec_b32 s19, s19
; %bb.59:                               ;   in Loop: Header=BB436_5 Depth=1
	v_and_b32_e32 v21, 0xffff, v20
	v_or_b32_e32 v22, 0x10000, v20
	s_delay_alu instid0(VALU_DEP_2) | instskip(NEXT) | instid1(VALU_DEP_2)
	v_cmp_eq_u32_e32 vcc_lo, 0, v21
	v_cndmask_b32_e32 v21, v22, v20, vcc_lo
; %bb.60:                               ;   in Loop: Header=BB436_5 Depth=1
	s_or_b32 exec_lo, exec_lo, s19
	s_delay_alu instid0(VALU_DEP_1) | instskip(NEXT) | instid1(VALU_DEP_1)
	v_fma_mix_f32_bf16 v14, s38, v14, v21 op_sel:[0,0,1] op_sel_hi:[0,0,1]
	v_and_b32_e32 v20, 0x7f800000, v14
	s_delay_alu instid0(VALU_DEP_1) | instskip(SKIP_1) | instid1(SALU_CYCLE_1)
	v_cmp_ne_u32_e32 vcc_lo, 0x7f800000, v20
                                        ; implicit-def: $vgpr20
	s_and_saveexec_b32 s19, vcc_lo
	s_xor_b32 s19, exec_lo, s19
; %bb.61:                               ;   in Loop: Header=BB436_5 Depth=1
	v_bfe_u32 v20, v14, 16, 1
	s_delay_alu instid0(VALU_DEP_1)
	v_add3_u32 v20, v14, v20, 0x7fff
                                        ; implicit-def: $vgpr14
; %bb.62:                               ;   in Loop: Header=BB436_5 Depth=1
	s_and_not1_saveexec_b32 s19, s19
; %bb.63:                               ;   in Loop: Header=BB436_5 Depth=1
	v_and_b32_e32 v20, 0xffff, v14
	v_or_b32_e32 v21, 0x10000, v14
	s_delay_alu instid0(VALU_DEP_2) | instskip(NEXT) | instid1(VALU_DEP_2)
	v_cmp_eq_u32_e32 vcc_lo, 0, v20
	v_cndmask_b32_e32 v20, v21, v14, vcc_lo
; %bb.64:                               ;   in Loop: Header=BB436_5 Depth=1
	s_or_b32 exec_lo, exec_lo, s19
	global_store_d16_hi_b16 v[16:17], v20, off
.LBB436_65:                             ;   in Loop: Header=BB436_5 Depth=1
	s_wait_xcnt 0x0
	s_or_b32 exec_lo, exec_lo, s18
	s_delay_alu instid0(SALU_CYCLE_1)
	s_and_b32 exec_lo, exec_lo, s4
	s_cbranch_execz .LBB436_3
; %bb.66:                               ;   in Loop: Header=BB436_5 Depth=1
	global_load_u16 v14, v[18:19], off offset:32
	s_wait_loadcnt 0x0
	v_lshlrev_b32_e32 v14, 16, v14
	s_delay_alu instid0(VALU_DEP_1) | instskip(SKIP_1) | instid1(VALU_DEP_1)
	v_mul_f32_e32 v14, s39, v14
	s_wait_xcnt 0x0
	v_and_b32_e32 v18, 0x7f800000, v14
	s_delay_alu instid0(VALU_DEP_1) | instskip(SKIP_1) | instid1(SALU_CYCLE_1)
	v_cmp_ne_u32_e32 vcc_lo, 0x7f800000, v18
                                        ; implicit-def: $vgpr18
	s_and_saveexec_b32 s18, vcc_lo
	s_xor_b32 s18, exec_lo, s18
; %bb.67:                               ;   in Loop: Header=BB436_5 Depth=1
	v_bfe_u32 v18, v14, 16, 1
	s_delay_alu instid0(VALU_DEP_1)
	v_add3_u32 v18, v14, v18, 0x7fff
                                        ; implicit-def: $vgpr14
; %bb.68:                               ;   in Loop: Header=BB436_5 Depth=1
	s_and_not1_saveexec_b32 s18, s18
; %bb.69:                               ;   in Loop: Header=BB436_5 Depth=1
	v_and_b32_e32 v18, 0xffff, v14
	v_or_b32_e32 v19, 0x10000, v14
	s_delay_alu instid0(VALU_DEP_2) | instskip(NEXT) | instid1(VALU_DEP_2)
	v_cmp_eq_u32_e32 vcc_lo, 0, v18
	v_cndmask_b32_e32 v18, v19, v14, vcc_lo
; %bb.70:                               ;   in Loop: Header=BB436_5 Depth=1
	s_or_b32 exec_lo, exec_lo, s18
	s_delay_alu instid0(VALU_DEP_1) | instskip(NEXT) | instid1(VALU_DEP_1)
	v_fma_mix_f32_bf16 v14, s38, v15, v18 op_sel:[0,0,1] op_sel_hi:[0,0,1]
	v_and_b32_e32 v15, 0x7f800000, v14
	s_delay_alu instid0(VALU_DEP_1) | instskip(SKIP_1) | instid1(SALU_CYCLE_1)
	v_cmp_ne_u32_e32 vcc_lo, 0x7f800000, v15
                                        ; implicit-def: $vgpr15
	s_and_saveexec_b32 s18, vcc_lo
	s_xor_b32 s18, exec_lo, s18
; %bb.71:                               ;   in Loop: Header=BB436_5 Depth=1
	v_bfe_u32 v15, v14, 16, 1
	s_delay_alu instid0(VALU_DEP_1)
	v_add3_u32 v15, v14, v15, 0x7fff
                                        ; implicit-def: $vgpr14
; %bb.72:                               ;   in Loop: Header=BB436_5 Depth=1
	s_and_not1_saveexec_b32 s18, s18
	s_cbranch_execz .LBB436_2
; %bb.73:                               ;   in Loop: Header=BB436_5 Depth=1
	v_and_b32_e32 v15, 0xffff, v14
	v_or_b32_e32 v18, 0x10000, v14
	s_delay_alu instid0(VALU_DEP_2) | instskip(NEXT) | instid1(VALU_DEP_2)
	v_cmp_eq_u32_e32 vcc_lo, 0, v15
	v_cndmask_b32_e32 v15, v18, v14, vcc_lo
	s_branch .LBB436_2
.LBB436_74:
	s_endpgm
	.section	.rodata,"a",@progbits
	.p2align	6, 0x0
	.amdhsa_kernel _ZN12_GLOBAL__N_135rocblas_gemm_batched_general_kernelIfLi16ELi16ELi32ELi32ELi8ELi32ELi8ELi8ELi32ELc78ELc78EK16rocblas_bfloat16S2_S1_EEvlllT_PT11_llS5_llS3_PT12_llPT13_lli
		.amdhsa_group_segment_fixed_size 2048
		.amdhsa_private_segment_fixed_size 0
		.amdhsa_kernarg_size 140
		.amdhsa_user_sgpr_count 2
		.amdhsa_user_sgpr_dispatch_ptr 0
		.amdhsa_user_sgpr_queue_ptr 0
		.amdhsa_user_sgpr_kernarg_segment_ptr 1
		.amdhsa_user_sgpr_dispatch_id 0
		.amdhsa_user_sgpr_kernarg_preload_length 0
		.amdhsa_user_sgpr_kernarg_preload_offset 0
		.amdhsa_user_sgpr_private_segment_size 0
		.amdhsa_wavefront_size32 1
		.amdhsa_uses_dynamic_stack 0
		.amdhsa_enable_private_segment 0
		.amdhsa_system_sgpr_workgroup_id_x 1
		.amdhsa_system_sgpr_workgroup_id_y 1
		.amdhsa_system_sgpr_workgroup_id_z 1
		.amdhsa_system_sgpr_workgroup_info 0
		.amdhsa_system_vgpr_workitem_id 1
		.amdhsa_next_free_vgpr 52
		.amdhsa_next_free_sgpr 41
		.amdhsa_named_barrier_count 0
		.amdhsa_reserve_vcc 1
		.amdhsa_float_round_mode_32 0
		.amdhsa_float_round_mode_16_64 0
		.amdhsa_float_denorm_mode_32 3
		.amdhsa_float_denorm_mode_16_64 3
		.amdhsa_fp16_overflow 0
		.amdhsa_memory_ordered 1
		.amdhsa_forward_progress 1
		.amdhsa_inst_pref_size 23
		.amdhsa_round_robin_scheduling 0
		.amdhsa_exception_fp_ieee_invalid_op 0
		.amdhsa_exception_fp_denorm_src 0
		.amdhsa_exception_fp_ieee_div_zero 0
		.amdhsa_exception_fp_ieee_overflow 0
		.amdhsa_exception_fp_ieee_underflow 0
		.amdhsa_exception_fp_ieee_inexact 0
		.amdhsa_exception_int_div_zero 0
	.end_amdhsa_kernel
	.section	.text._ZN12_GLOBAL__N_135rocblas_gemm_batched_general_kernelIfLi16ELi16ELi32ELi32ELi8ELi32ELi8ELi8ELi32ELc78ELc78EK16rocblas_bfloat16S2_S1_EEvlllT_PT11_llS5_llS3_PT12_llPT13_lli,"axG",@progbits,_ZN12_GLOBAL__N_135rocblas_gemm_batched_general_kernelIfLi16ELi16ELi32ELi32ELi8ELi32ELi8ELi8ELi32ELc78ELc78EK16rocblas_bfloat16S2_S1_EEvlllT_PT11_llS5_llS3_PT12_llPT13_lli,comdat
.Lfunc_end436:
	.size	_ZN12_GLOBAL__N_135rocblas_gemm_batched_general_kernelIfLi16ELi16ELi32ELi32ELi8ELi32ELi8ELi8ELi32ELc78ELc78EK16rocblas_bfloat16S2_S1_EEvlllT_PT11_llS5_llS3_PT12_llPT13_lli, .Lfunc_end436-_ZN12_GLOBAL__N_135rocblas_gemm_batched_general_kernelIfLi16ELi16ELi32ELi32ELi8ELi32ELi8ELi8ELi32ELc78ELc78EK16rocblas_bfloat16S2_S1_EEvlllT_PT11_llS5_llS3_PT12_llPT13_lli
                                        ; -- End function
	.set _ZN12_GLOBAL__N_135rocblas_gemm_batched_general_kernelIfLi16ELi16ELi32ELi32ELi8ELi32ELi8ELi8ELi32ELc78ELc78EK16rocblas_bfloat16S2_S1_EEvlllT_PT11_llS5_llS3_PT12_llPT13_lli.num_vgpr, 52
	.set _ZN12_GLOBAL__N_135rocblas_gemm_batched_general_kernelIfLi16ELi16ELi32ELi32ELi8ELi32ELi8ELi8ELi32ELc78ELc78EK16rocblas_bfloat16S2_S1_EEvlllT_PT11_llS5_llS3_PT12_llPT13_lli.num_agpr, 0
	.set _ZN12_GLOBAL__N_135rocblas_gemm_batched_general_kernelIfLi16ELi16ELi32ELi32ELi8ELi32ELi8ELi8ELi32ELc78ELc78EK16rocblas_bfloat16S2_S1_EEvlllT_PT11_llS5_llS3_PT12_llPT13_lli.numbered_sgpr, 41
	.set _ZN12_GLOBAL__N_135rocblas_gemm_batched_general_kernelIfLi16ELi16ELi32ELi32ELi8ELi32ELi8ELi8ELi32ELc78ELc78EK16rocblas_bfloat16S2_S1_EEvlllT_PT11_llS5_llS3_PT12_llPT13_lli.num_named_barrier, 0
	.set _ZN12_GLOBAL__N_135rocblas_gemm_batched_general_kernelIfLi16ELi16ELi32ELi32ELi8ELi32ELi8ELi8ELi32ELc78ELc78EK16rocblas_bfloat16S2_S1_EEvlllT_PT11_llS5_llS3_PT12_llPT13_lli.private_seg_size, 0
	.set _ZN12_GLOBAL__N_135rocblas_gemm_batched_general_kernelIfLi16ELi16ELi32ELi32ELi8ELi32ELi8ELi8ELi32ELc78ELc78EK16rocblas_bfloat16S2_S1_EEvlllT_PT11_llS5_llS3_PT12_llPT13_lli.uses_vcc, 1
	.set _ZN12_GLOBAL__N_135rocblas_gemm_batched_general_kernelIfLi16ELi16ELi32ELi32ELi8ELi32ELi8ELi8ELi32ELc78ELc78EK16rocblas_bfloat16S2_S1_EEvlllT_PT11_llS5_llS3_PT12_llPT13_lli.uses_flat_scratch, 0
	.set _ZN12_GLOBAL__N_135rocblas_gemm_batched_general_kernelIfLi16ELi16ELi32ELi32ELi8ELi32ELi8ELi8ELi32ELc78ELc78EK16rocblas_bfloat16S2_S1_EEvlllT_PT11_llS5_llS3_PT12_llPT13_lli.has_dyn_sized_stack, 0
	.set _ZN12_GLOBAL__N_135rocblas_gemm_batched_general_kernelIfLi16ELi16ELi32ELi32ELi8ELi32ELi8ELi8ELi32ELc78ELc78EK16rocblas_bfloat16S2_S1_EEvlllT_PT11_llS5_llS3_PT12_llPT13_lli.has_recursion, 0
	.set _ZN12_GLOBAL__N_135rocblas_gemm_batched_general_kernelIfLi16ELi16ELi32ELi32ELi8ELi32ELi8ELi8ELi32ELc78ELc78EK16rocblas_bfloat16S2_S1_EEvlllT_PT11_llS5_llS3_PT12_llPT13_lli.has_indirect_call, 0
	.section	.AMDGPU.csdata,"",@progbits
; Kernel info:
; codeLenInByte = 2852
; TotalNumSgprs: 43
; NumVgprs: 52
; ScratchSize: 0
; MemoryBound: 0
; FloatMode: 240
; IeeeMode: 1
; LDSByteSize: 2048 bytes/workgroup (compile time only)
; SGPRBlocks: 0
; VGPRBlocks: 3
; NumSGPRsForWavesPerEU: 43
; NumVGPRsForWavesPerEU: 52
; NamedBarCnt: 0
; Occupancy: 16
; WaveLimiterHint : 0
; COMPUTE_PGM_RSRC2:SCRATCH_EN: 0
; COMPUTE_PGM_RSRC2:USER_SGPR: 2
; COMPUTE_PGM_RSRC2:TRAP_HANDLER: 0
; COMPUTE_PGM_RSRC2:TGID_X_EN: 1
; COMPUTE_PGM_RSRC2:TGID_Y_EN: 1
; COMPUTE_PGM_RSRC2:TGID_Z_EN: 1
; COMPUTE_PGM_RSRC2:TIDIG_COMP_CNT: 1
	.section	.text._ZN12_GLOBAL__N_135rocblas_gemm_batched_general_kernelIfLi16ELi16ELi32ELi32ELi8ELi32ELi8ELi8ELi32ELc84ELc78EK16rocblas_bfloat16S2_S1_EEvlllT_PT11_llS5_llS3_PT12_llPT13_lli,"axG",@progbits,_ZN12_GLOBAL__N_135rocblas_gemm_batched_general_kernelIfLi16ELi16ELi32ELi32ELi8ELi32ELi8ELi8ELi32ELc84ELc78EK16rocblas_bfloat16S2_S1_EEvlllT_PT11_llS5_llS3_PT12_llPT13_lli,comdat
	.globl	_ZN12_GLOBAL__N_135rocblas_gemm_batched_general_kernelIfLi16ELi16ELi32ELi32ELi8ELi32ELi8ELi8ELi32ELc84ELc78EK16rocblas_bfloat16S2_S1_EEvlllT_PT11_llS5_llS3_PT12_llPT13_lli ; -- Begin function _ZN12_GLOBAL__N_135rocblas_gemm_batched_general_kernelIfLi16ELi16ELi32ELi32ELi8ELi32ELi8ELi8ELi32ELc84ELc78EK16rocblas_bfloat16S2_S1_EEvlllT_PT11_llS5_llS3_PT12_llPT13_lli
	.p2align	8
	.type	_ZN12_GLOBAL__N_135rocblas_gemm_batched_general_kernelIfLi16ELi16ELi32ELi32ELi8ELi32ELi8ELi8ELi32ELc84ELc78EK16rocblas_bfloat16S2_S1_EEvlllT_PT11_llS5_llS3_PT12_llPT13_lli,@function
_ZN12_GLOBAL__N_135rocblas_gemm_batched_general_kernelIfLi16ELi16ELi32ELi32ELi8ELi32ELi8ELi8ELi32ELc84ELc78EK16rocblas_bfloat16S2_S1_EEvlllT_PT11_llS5_llS3_PT12_llPT13_lli: ; @_ZN12_GLOBAL__N_135rocblas_gemm_batched_general_kernelIfLi16ELi16ELi32ELi32ELi8ELi32ELi8ELi8ELi32ELc84ELc78EK16rocblas_bfloat16S2_S1_EEvlllT_PT11_llS5_llS3_PT12_llPT13_lli
; %bb.0:
	s_load_b32 s33, s[0:1], 0x88
	s_bfe_u32 s2, ttmp6, 0x40014
	s_lshr_b32 s3, ttmp7, 16
	s_add_co_i32 s2, s2, 1
	s_bfe_u32 s5, ttmp6, 0x40008
	s_mul_i32 s4, s3, s2
	s_getreg_b32 s2, hwreg(HW_REG_IB_STS2, 6, 4)
	s_add_co_i32 s5, s5, s4
	s_cmp_eq_u32 s2, 0
	s_mov_b32 s35, 0
	s_cselect_b32 s34, s3, s5
	s_wait_kmcnt 0x0
	s_cmp_ge_i32 s34, s33
	s_cbranch_scc1 .LBB437_74
; %bb.1:
	v_bfe_u32 v8, v0, 10, 10
	v_and_b32_e32 v10, 0x3ff, v0
	s_bfe_u32 s3, ttmp6, 0x4000c
	s_bfe_u32 s25, ttmp6, 0x40010
	s_clause 0x2
	s_load_b256 s[16:23], s[0:1], 0x20
	s_load_b128 s[4:7], s[0:1], 0x40
	s_load_b256 s[8:15], s[0:1], 0x58
	s_add_co_i32 s3, s3, 1
	s_and_b32 s26, ttmp7, 0xffff
	s_add_co_i32 s25, s25, 1
	v_lshl_add_u32 v1, v8, 4, v10
	v_mov_b32_e32 v9, 0
	s_and_b32 s24, ttmp6, 15
	s_mul_i32 s3, ttmp9, s3
	s_mul_i32 s25, s26, s25
	s_bfe_u32 s27, ttmp6, 0x40004
	s_add_co_i32 s24, s24, s3
	s_add_co_i32 s27, s27, s25
	s_cmp_eq_u32 s2, 0
	v_dual_mov_b32 v7, v9 :: v_dual_lshrrev_b32 v6, 3, v1
	v_and_b32_e32 v4, 31, v1
	s_cselect_b32 s3, s26, s27
	s_cselect_b32 s2, ttmp9, s24
	s_lshl_b32 s36, s3, 5
	s_mov_b32 s37, s35
	s_ashr_i32 s3, s2, 31
	v_add_nc_u64_e32 v[12:13], s[36:37], v[6:7]
	s_clause 0x1
	s_load_b32 s39, s[0:1], 0x50
	s_load_b128 s[24:27], s[0:1], 0x78
	s_lshl_b64 s[2:3], s[2:3], 5
	v_add_nc_u64_e32 v[18:19], s[36:37], v[8:9]
	v_dual_mov_b32 v15, s3 :: v_dual_bitop2_b32 v14, s2, v4 bitop3:0x54
	s_wait_kmcnt 0x0
	v_mul_u64_e32 v[16:17], s[4:5], v[12:13]
	s_clause 0x1
	s_load_b128 s[28:31], s[0:1], 0x0
	s_load_b96 s[36:38], s[0:1], 0x10
	v_dual_mov_b32 v3, v9 :: v_dual_lshlrev_b32 v24, 2, v4
	v_mul_u64_e32 v[20:21], s[18:19], v[14:15]
	v_mul_u64_e32 v[22:23], s[10:11], v[18:19]
	v_dual_mov_b32 v11, v9 :: v_dual_bitop2_b32 v0, 7, v0 bitop3:0x40
	v_dual_mov_b32 v1, v9 :: v_dual_lshrrev_b32 v2, 5, v1
	v_lshl_add_u32 v26, v8, 5, 0x400
	s_delay_alu instid0(VALU_DEP_3) | instskip(SKIP_3) | instid1(VALU_DEP_3)
	v_dual_lshlrev_b32 v7, 2, v0 :: v_dual_lshlrev_b32 v8, 1, v0
	v_lshlrev_b32_e32 v27, 2, v10
	v_mul_u64_e32 v[4:5], s[24:25], v[18:19]
	s_cmp_eq_f32 s39, 0
	v_lshl_or_b32 v25, v6, 5, v7
	v_add_nc_u64_e32 v[6:7], s[2:3], v[10:11]
	v_lshl_or_b32 v24, v2, 7, v24
	s_cselect_b32 s40, -1, 0
	s_wait_kmcnt 0x0
	v_cmp_gt_i64_e64 s0, s[28:29], v[14:15]
	v_cmp_gt_i64_e64 s1, s[30:31], v[12:13]
	v_add_nc_u64_e32 v[12:13], 16, v[18:19]
	v_cmp_gt_i64_e64 s2, s[30:31], v[18:19]
	v_add_nc_u64_e32 v[10:11], 16, v[6:7]
	v_cmp_gt_i64_e64 s3, s[28:29], v[6:7]
	v_add_nc_u32_e32 v25, 0x400, v25
	s_lshl_b64 s[18:19], s[24:25], 4
	s_lshl_b64 s[6:7], s[6:7], 1
	v_cmp_gt_i64_e64 s5, s[30:31], v[12:13]
	v_lshl_add_u64 v[14:15], v[16:17], 1, v[8:9]
	v_lshlrev_b32_e32 v8, 1, v2
	v_cmp_gt_i64_e64 s4, s[28:29], v[10:11]
	s_delay_alu instid0(VALU_DEP_3) | instskip(NEXT) | instid1(VALU_DEP_3)
	v_add_nc_u64_e32 v[10:11], s[22:23], v[14:15]
	v_lshl_add_u64 v[16:17], v[20:21], 1, v[8:9]
	v_cmp_gt_i64_e64 s22, s[36:37], 0
	v_lshl_add_u64 v[8:9], v[22:23], 1, s[8:9]
	s_lshl_b64 s[8:9], s[10:11], 4
	s_lshl_b64 s[10:11], s[20:21], 1
	v_add_nc_u64_e32 v[12:13], s[16:17], v[16:17]
	s_branch .LBB437_5
.LBB437_2:                              ;   in Loop: Header=BB437_5 Depth=1
	s_or_b32 exec_lo, exec_lo, s16
	global_store_d16_hi_b16 v[16:17], v15, off offset:32
.LBB437_3:                              ;   in Loop: Header=BB437_5 Depth=1
	s_wait_xcnt 0x0
	s_or_b32 exec_lo, exec_lo, s20
.LBB437_4:                              ;   in Loop: Header=BB437_5 Depth=1
	s_add_co_i32 s34, s34, 0x10000
	s_delay_alu instid0(SALU_CYCLE_1)
	s_cmp_lt_i32 s34, s33
	s_cbranch_scc0 .LBB437_74
.LBB437_5:                              ; =>This Loop Header: Depth=1
                                        ;     Child Loop BB437_8 Depth 2
	v_dual_mov_b32 v17, 0 :: v_dual_mov_b32 v16, 0
	v_dual_mov_b32 v15, 0 :: v_dual_mov_b32 v14, 0
	s_and_not1_b32 vcc_lo, exec_lo, s22
	s_cbranch_vccnz .LBB437_12
; %bb.6:                                ;   in Loop: Header=BB437_5 Depth=1
	v_mad_nc_u64_u32 v[18:19], s6, s34, v[10:11]
	v_mad_nc_u64_u32 v[20:21], s10, s34, v[12:13]
	v_mov_b32_e32 v16, 0
	s_mov_b64 s[16:17], 0
	s_delay_alu instid0(VALU_DEP_1)
	v_dual_mov_b32 v17, v16 :: v_dual_mov_b32 v14, v16
	v_mov_b32_e32 v15, v16
	v_mad_u32 v19, s7, s34, v19
	v_mad_u32 v21, s11, s34, v21
	s_branch .LBB437_8
.LBB437_7:                              ;   in Loop: Header=BB437_8 Depth=2
	s_wait_xcnt 0x0
	s_or_b32 exec_lo, exec_lo, s20
	ds_store_b32 v25, v23
	s_wait_dscnt 0x0
	s_barrier_signal -1
	s_barrier_wait -1
	ds_load_b128 v[28:31], v26
	ds_load_2addr_b32 v[22:23], v27 offset1:16
	ds_load_b128 v[32:35], v26 offset:512
	ds_load_2addr_b32 v[44:45], v27 offset0:32 offset1:48
	ds_load_2addr_b32 v[46:47], v27 offset0:64 offset1:80
	;; [unrolled: 1-line block ×3, first 2 shown]
	ds_load_b128 v[36:39], v26 offset:16
	ds_load_2addr_b32 v[50:51], v27 offset0:128 offset1:144
	ds_load_b128 v[40:43], v26 offset:528
	s_add_nc_u64 s[16:17], s[16:17], 8
	v_add_nc_u64_e32 v[18:19], 16, v[18:19]
	v_cmp_lt_i64_e64 s20, s[16:17], s[36:37]
	v_add_nc_u64_e32 v[20:21], 16, v[20:21]
	s_and_b32 vcc_lo, exec_lo, s20
	s_wait_dscnt 0x7
	v_pk_fma_f32 v[16:17], v[22:23], v[28:29], v[16:17] op_sel_hi:[1,0,1]
	s_wait_dscnt 0x6
	v_pk_fma_f32 v[14:15], v[22:23], v[32:33], v[14:15] op_sel_hi:[1,0,1]
	ds_load_2addr_b32 v[22:23], v27 offset0:160 offset1:176
	s_wait_dscnt 0x6
	v_pk_fma_f32 v[16:17], v[44:45], v[28:29], v[16:17] op_sel:[0,1,0]
	v_pk_fma_f32 v[14:15], v[44:45], v[32:33], v[14:15] op_sel:[0,1,0]
	ds_load_2addr_b32 v[28:29], v27 offset0:192 offset1:208
	v_dual_mov_b32 v32, v31 :: v_dual_mov_b32 v44, v35
	s_wait_dscnt 0x6
	v_pk_fma_f32 v[16:17], v[46:47], v[30:31], v[16:17] op_sel_hi:[1,0,1]
	v_pk_fma_f32 v[14:15], v[46:47], v[34:35], v[14:15] op_sel_hi:[1,0,1]
	ds_load_2addr_b32 v[30:31], v27 offset0:224 offset1:240
	s_wait_dscnt 0x0
	s_barrier_signal -1
	v_pk_fma_f32 v[16:17], v[48:49], v[32:33], v[16:17] op_sel_hi:[1,0,1]
	v_pk_fma_f32 v[14:15], v[48:49], v[44:45], v[14:15] op_sel_hi:[1,0,1]
	s_barrier_wait -1
	v_mov_b32_e32 v32, v43
	s_delay_alu instid0(VALU_DEP_3) | instskip(NEXT) | instid1(VALU_DEP_3)
	v_pk_fma_f32 v[16:17], v[50:51], v[36:37], v[16:17] op_sel_hi:[1,0,1]
	v_pk_fma_f32 v[14:15], v[50:51], v[40:41], v[14:15] op_sel_hi:[1,0,1]
	s_delay_alu instid0(VALU_DEP_2) | instskip(NEXT) | instid1(VALU_DEP_2)
	v_pk_fma_f32 v[16:17], v[22:23], v[36:37], v[16:17] op_sel:[0,1,0]
	v_pk_fma_f32 v[14:15], v[22:23], v[40:41], v[14:15] op_sel:[0,1,0]
	v_mov_b32_e32 v22, v39
	s_delay_alu instid0(VALU_DEP_3) | instskip(NEXT) | instid1(VALU_DEP_3)
	v_pk_fma_f32 v[16:17], v[28:29], v[38:39], v[16:17] op_sel_hi:[1,0,1]
	v_pk_fma_f32 v[14:15], v[28:29], v[42:43], v[14:15] op_sel_hi:[1,0,1]
	s_delay_alu instid0(VALU_DEP_2) | instskip(NEXT) | instid1(VALU_DEP_2)
	v_pk_fma_f32 v[16:17], v[30:31], v[22:23], v[16:17] op_sel_hi:[1,0,1]
	v_pk_fma_f32 v[14:15], v[30:31], v[32:33], v[14:15] op_sel_hi:[1,0,1]
	s_cbranch_vccz .LBB437_12
.LBB437_8:                              ;   Parent Loop BB437_5 Depth=1
                                        ; =>  This Inner Loop Header: Depth=2
	v_add_nc_u64_e32 v[22:23], s[16:17], v[2:3]
	s_delay_alu instid0(VALU_DEP_1) | instskip(SKIP_2) | instid1(SALU_CYCLE_1)
	v_cmp_gt_i64_e32 vcc_lo, s[36:37], v[22:23]
	v_mov_b32_e32 v22, 0
	s_and_b32 s21, s0, vcc_lo
	s_and_saveexec_b32 s20, s21
	s_cbranch_execz .LBB437_10
; %bb.9:                                ;   in Loop: Header=BB437_8 Depth=2
	global_load_u16 v22, v[20:21], off
	s_wait_loadcnt 0x0
	v_lshlrev_b32_e32 v22, 16, v22
.LBB437_10:                             ;   in Loop: Header=BB437_8 Depth=2
	s_wait_xcnt 0x0
	s_or_b32 exec_lo, exec_lo, s20
	v_add_nc_u64_e32 v[28:29], s[16:17], v[0:1]
	v_mov_b32_e32 v23, 0
	ds_store_b32 v24, v22
	v_cmp_gt_i64_e32 vcc_lo, s[36:37], v[28:29]
	s_and_b32 s21, vcc_lo, s1
	s_delay_alu instid0(SALU_CYCLE_1)
	s_and_saveexec_b32 s20, s21
	s_cbranch_execz .LBB437_7
; %bb.11:                               ;   in Loop: Header=BB437_8 Depth=2
	global_load_u16 v22, v[18:19], off
	s_wait_loadcnt 0x0
	v_lshlrev_b32_e32 v23, 16, v22
	s_branch .LBB437_7
.LBB437_12:                             ;   in Loop: Header=BB437_5 Depth=1
	s_mul_u64 s[16:17], s[26:27], s[34:35]
	s_and_not1_b32 vcc_lo, exec_lo, s40
	s_lshl_b64 s[16:17], s[16:17], 1
	s_delay_alu instid0(SALU_CYCLE_1)
	s_add_nc_u64 s[16:17], s[14:15], s[16:17]
	s_cbranch_vccnz .LBB437_17
; %bb.13:                               ;   in Loop: Header=BB437_5 Depth=1
	s_and_saveexec_b32 s20, s2
	s_cbranch_execz .LBB437_32
; %bb.14:                               ;   in Loop: Header=BB437_5 Depth=1
	v_lshl_add_u64 v[18:19], v[4:5], 1, s[16:17]
	s_and_saveexec_b32 s21, s3
	s_cbranch_execnz .LBB437_18
; %bb.15:                               ;   in Loop: Header=BB437_5 Depth=1
	s_or_b32 exec_lo, exec_lo, s21
	s_and_saveexec_b32 s21, s4
	s_cbranch_execnz .LBB437_23
.LBB437_16:                             ;   in Loop: Header=BB437_5 Depth=1
	s_or_b32 exec_lo, exec_lo, s21
	s_delay_alu instid0(SALU_CYCLE_1)
	s_and_b32 exec_lo, exec_lo, s5
	s_cbranch_execnz .LBB437_28
	s_branch .LBB437_32
.LBB437_17:                             ;   in Loop: Header=BB437_5 Depth=1
	s_branch .LBB437_33
.LBB437_18:                             ;   in Loop: Header=BB437_5 Depth=1
	v_mul_f32_e32 v20, s38, v16
	s_delay_alu instid0(VALU_DEP_1) | instskip(NEXT) | instid1(VALU_DEP_1)
	v_and_b32_e32 v21, 0x7f800000, v20
	v_cmp_ne_u32_e32 vcc_lo, 0x7f800000, v21
                                        ; implicit-def: $vgpr21
	s_and_saveexec_b32 s23, vcc_lo
	s_delay_alu instid0(SALU_CYCLE_1)
	s_xor_b32 s23, exec_lo, s23
; %bb.19:                               ;   in Loop: Header=BB437_5 Depth=1
	v_bfe_u32 v21, v20, 16, 1
	s_delay_alu instid0(VALU_DEP_1)
	v_add3_u32 v21, v20, v21, 0x7fff
                                        ; implicit-def: $vgpr20
; %bb.20:                               ;   in Loop: Header=BB437_5 Depth=1
	s_and_not1_saveexec_b32 s23, s23
; %bb.21:                               ;   in Loop: Header=BB437_5 Depth=1
	v_and_b32_e32 v21, 0xffff, v20
	v_or_b32_e32 v22, 0x10000, v20
	s_delay_alu instid0(VALU_DEP_2) | instskip(NEXT) | instid1(VALU_DEP_2)
	v_cmp_eq_u32_e32 vcc_lo, 0, v21
	v_cndmask_b32_e32 v21, v22, v20, vcc_lo
; %bb.22:                               ;   in Loop: Header=BB437_5 Depth=1
	s_or_b32 exec_lo, exec_lo, s23
	v_lshl_add_u64 v[22:23], v[6:7], 1, v[18:19]
	global_store_d16_hi_b16 v[22:23], v21, off
	s_wait_xcnt 0x0
	s_or_b32 exec_lo, exec_lo, s21
	s_and_saveexec_b32 s21, s4
	s_cbranch_execz .LBB437_16
.LBB437_23:                             ;   in Loop: Header=BB437_5 Depth=1
	v_mul_f32_e32 v20, s38, v17
	s_delay_alu instid0(VALU_DEP_1) | instskip(NEXT) | instid1(VALU_DEP_1)
	v_and_b32_e32 v21, 0x7f800000, v20
	v_cmp_ne_u32_e32 vcc_lo, 0x7f800000, v21
                                        ; implicit-def: $vgpr21
	s_and_saveexec_b32 s23, vcc_lo
	s_delay_alu instid0(SALU_CYCLE_1)
	s_xor_b32 s23, exec_lo, s23
; %bb.24:                               ;   in Loop: Header=BB437_5 Depth=1
	v_bfe_u32 v21, v20, 16, 1
	s_delay_alu instid0(VALU_DEP_1)
	v_add3_u32 v21, v20, v21, 0x7fff
                                        ; implicit-def: $vgpr20
; %bb.25:                               ;   in Loop: Header=BB437_5 Depth=1
	s_and_not1_saveexec_b32 s23, s23
; %bb.26:                               ;   in Loop: Header=BB437_5 Depth=1
	v_and_b32_e32 v21, 0xffff, v20
	v_or_b32_e32 v22, 0x10000, v20
	s_delay_alu instid0(VALU_DEP_2) | instskip(NEXT) | instid1(VALU_DEP_2)
	v_cmp_eq_u32_e32 vcc_lo, 0, v21
	v_cndmask_b32_e32 v21, v22, v20, vcc_lo
; %bb.27:                               ;   in Loop: Header=BB437_5 Depth=1
	s_or_b32 exec_lo, exec_lo, s23
	v_lshl_add_u64 v[22:23], v[6:7], 1, v[18:19]
	global_store_d16_hi_b16 v[22:23], v21, off offset:32
	s_wait_xcnt 0x0
	s_or_b32 exec_lo, exec_lo, s21
	s_delay_alu instid0(SALU_CYCLE_1)
	s_and_b32 exec_lo, exec_lo, s5
	s_cbranch_execz .LBB437_32
.LBB437_28:                             ;   in Loop: Header=BB437_5 Depth=1
	v_lshl_add_u64 v[18:19], s[18:19], 1, v[18:19]
	s_delay_alu instid0(VALU_DEP_1)
	v_lshl_add_u64 v[18:19], v[6:7], 1, v[18:19]
	s_and_saveexec_b32 s21, s3
	s_cbranch_execz .LBB437_30
; %bb.29:                               ;   in Loop: Header=BB437_5 Depth=1
	v_mul_f32_e32 v20, s38, v14
	s_delay_alu instid0(VALU_DEP_1) | instskip(SKIP_3) | instid1(VALU_DEP_4)
	v_and_b32_e32 v22, 0xffff, v20
	v_bfe_u32 v21, v20, 16, 1
	v_or_b32_e32 v23, 0x10000, v20
	v_and_b32_e32 v28, 0x7f800000, v20
	v_cmp_eq_u32_e32 vcc_lo, 0, v22
	s_delay_alu instid0(VALU_DEP_4) | instskip(NEXT) | instid1(VALU_DEP_4)
	v_add3_u32 v21, v20, v21, 0x7fff
	v_cndmask_b32_e32 v20, v23, v20, vcc_lo
	s_delay_alu instid0(VALU_DEP_4) | instskip(NEXT) | instid1(VALU_DEP_2)
	v_cmp_eq_u32_e32 vcc_lo, 0x7f800000, v28
	v_cndmask_b32_e32 v20, v21, v20, vcc_lo
	global_store_d16_hi_b16 v[18:19], v20, off
.LBB437_30:                             ;   in Loop: Header=BB437_5 Depth=1
	s_wait_xcnt 0x0
	s_or_b32 exec_lo, exec_lo, s21
	s_delay_alu instid0(SALU_CYCLE_1)
	s_and_b32 exec_lo, exec_lo, s4
	s_cbranch_execz .LBB437_32
; %bb.31:                               ;   in Loop: Header=BB437_5 Depth=1
	v_mul_f32_e32 v20, s38, v15
	s_delay_alu instid0(VALU_DEP_1) | instskip(SKIP_3) | instid1(VALU_DEP_4)
	v_and_b32_e32 v22, 0xffff, v20
	v_bfe_u32 v21, v20, 16, 1
	v_or_b32_e32 v23, 0x10000, v20
	v_and_b32_e32 v28, 0x7f800000, v20
	v_cmp_eq_u32_e32 vcc_lo, 0, v22
	s_delay_alu instid0(VALU_DEP_4) | instskip(NEXT) | instid1(VALU_DEP_4)
	v_add3_u32 v21, v20, v21, 0x7fff
	v_cndmask_b32_e32 v20, v23, v20, vcc_lo
	s_delay_alu instid0(VALU_DEP_4) | instskip(NEXT) | instid1(VALU_DEP_2)
	v_cmp_eq_u32_e32 vcc_lo, 0x7f800000, v28
	v_cndmask_b32_e32 v20, v21, v20, vcc_lo
	global_store_d16_hi_b16 v[18:19], v20, off offset:32
.LBB437_32:                             ;   in Loop: Header=BB437_5 Depth=1
	s_wait_xcnt 0x0
	s_or_b32 exec_lo, exec_lo, s20
	s_cbranch_execnz .LBB437_4
.LBB437_33:                             ;   in Loop: Header=BB437_5 Depth=1
	s_and_saveexec_b32 s20, s2
	s_cbranch_execz .LBB437_3
; %bb.34:                               ;   in Loop: Header=BB437_5 Depth=1
	s_mul_u64 s[24:25], s[12:13], s[34:35]
	v_lshl_add_u64 v[20:21], v[4:5], 1, s[16:17]
	v_lshl_add_u64 v[18:19], s[24:25], 1, v[8:9]
	s_delay_alu instid0(VALU_DEP_1)
	v_lshl_add_u64 v[22:23], v[6:7], 1, v[18:19]
	s_and_saveexec_b32 s16, s3
	s_cbranch_execnz .LBB437_37
; %bb.35:                               ;   in Loop: Header=BB437_5 Depth=1
	s_or_b32 exec_lo, exec_lo, s16
	s_and_saveexec_b32 s16, s4
	s_cbranch_execnz .LBB437_46
.LBB437_36:                             ;   in Loop: Header=BB437_5 Depth=1
	s_or_b32 exec_lo, exec_lo, s16
	s_delay_alu instid0(SALU_CYCLE_1)
	s_and_b32 exec_lo, exec_lo, s5
	s_cbranch_execz .LBB437_3
	s_branch .LBB437_55
.LBB437_37:                             ;   in Loop: Header=BB437_5 Depth=1
	global_load_u16 v28, v[22:23], off
	s_wait_loadcnt 0x0
	v_lshlrev_b32_e32 v28, 16, v28
	s_delay_alu instid0(VALU_DEP_1) | instskip(NEXT) | instid1(VALU_DEP_1)
	v_mul_f32_e32 v28, s39, v28
	v_and_b32_e32 v29, 0x7f800000, v28
	s_delay_alu instid0(VALU_DEP_1) | instskip(SKIP_2) | instid1(SALU_CYCLE_1)
	v_cmp_ne_u32_e32 vcc_lo, 0x7f800000, v29
                                        ; implicit-def: $vgpr29
	s_wait_xcnt 0x0
	s_and_saveexec_b32 s17, vcc_lo
	s_xor_b32 s17, exec_lo, s17
; %bb.38:                               ;   in Loop: Header=BB437_5 Depth=1
	v_bfe_u32 v29, v28, 16, 1
	s_delay_alu instid0(VALU_DEP_1)
	v_add3_u32 v29, v28, v29, 0x7fff
                                        ; implicit-def: $vgpr28
; %bb.39:                               ;   in Loop: Header=BB437_5 Depth=1
	s_and_not1_saveexec_b32 s17, s17
; %bb.40:                               ;   in Loop: Header=BB437_5 Depth=1
	v_and_b32_e32 v29, 0xffff, v28
	v_or_b32_e32 v30, 0x10000, v28
	s_delay_alu instid0(VALU_DEP_2) | instskip(NEXT) | instid1(VALU_DEP_2)
	v_cmp_eq_u32_e32 vcc_lo, 0, v29
	v_cndmask_b32_e32 v29, v30, v28, vcc_lo
; %bb.41:                               ;   in Loop: Header=BB437_5 Depth=1
	s_or_b32 exec_lo, exec_lo, s17
	s_delay_alu instid0(VALU_DEP_1) | instskip(NEXT) | instid1(VALU_DEP_1)
	v_fma_mix_f32_bf16 v16, s38, v16, v29 op_sel:[0,0,1] op_sel_hi:[0,0,1]
	v_and_b32_e32 v28, 0x7f800000, v16
	s_delay_alu instid0(VALU_DEP_1) | instskip(SKIP_1) | instid1(SALU_CYCLE_1)
	v_cmp_ne_u32_e32 vcc_lo, 0x7f800000, v28
                                        ; implicit-def: $vgpr28
	s_and_saveexec_b32 s17, vcc_lo
	s_xor_b32 s17, exec_lo, s17
; %bb.42:                               ;   in Loop: Header=BB437_5 Depth=1
	v_bfe_u32 v28, v16, 16, 1
	s_delay_alu instid0(VALU_DEP_1)
	v_add3_u32 v28, v16, v28, 0x7fff
                                        ; implicit-def: $vgpr16
; %bb.43:                               ;   in Loop: Header=BB437_5 Depth=1
	s_and_not1_saveexec_b32 s17, s17
; %bb.44:                               ;   in Loop: Header=BB437_5 Depth=1
	v_and_b32_e32 v28, 0xffff, v16
	v_or_b32_e32 v29, 0x10000, v16
	s_delay_alu instid0(VALU_DEP_2) | instskip(NEXT) | instid1(VALU_DEP_2)
	v_cmp_eq_u32_e32 vcc_lo, 0, v28
	v_cndmask_b32_e32 v28, v29, v16, vcc_lo
; %bb.45:                               ;   in Loop: Header=BB437_5 Depth=1
	s_or_b32 exec_lo, exec_lo, s17
	v_lshl_add_u64 v[30:31], v[6:7], 1, v[20:21]
	global_store_d16_hi_b16 v[30:31], v28, off
	s_wait_xcnt 0x0
	s_or_b32 exec_lo, exec_lo, s16
	s_and_saveexec_b32 s16, s4
	s_cbranch_execz .LBB437_36
.LBB437_46:                             ;   in Loop: Header=BB437_5 Depth=1
	global_load_u16 v16, v[22:23], off offset:32
	s_wait_loadcnt 0x0
	v_lshlrev_b32_e32 v16, 16, v16
	s_delay_alu instid0(VALU_DEP_1) | instskip(SKIP_1) | instid1(VALU_DEP_1)
	v_mul_f32_e32 v16, s39, v16
	s_wait_xcnt 0x0
	v_and_b32_e32 v22, 0x7f800000, v16
	s_delay_alu instid0(VALU_DEP_1) | instskip(SKIP_1) | instid1(SALU_CYCLE_1)
	v_cmp_ne_u32_e32 vcc_lo, 0x7f800000, v22
                                        ; implicit-def: $vgpr22
	s_and_saveexec_b32 s17, vcc_lo
	s_xor_b32 s17, exec_lo, s17
; %bb.47:                               ;   in Loop: Header=BB437_5 Depth=1
	v_bfe_u32 v22, v16, 16, 1
	s_delay_alu instid0(VALU_DEP_1)
	v_add3_u32 v22, v16, v22, 0x7fff
                                        ; implicit-def: $vgpr16
; %bb.48:                               ;   in Loop: Header=BB437_5 Depth=1
	s_and_not1_saveexec_b32 s17, s17
; %bb.49:                               ;   in Loop: Header=BB437_5 Depth=1
	v_and_b32_e32 v22, 0xffff, v16
	v_or_b32_e32 v23, 0x10000, v16
	s_delay_alu instid0(VALU_DEP_2) | instskip(NEXT) | instid1(VALU_DEP_2)
	v_cmp_eq_u32_e32 vcc_lo, 0, v22
	v_cndmask_b32_e32 v22, v23, v16, vcc_lo
; %bb.50:                               ;   in Loop: Header=BB437_5 Depth=1
	s_or_b32 exec_lo, exec_lo, s17
	s_delay_alu instid0(VALU_DEP_1) | instskip(NEXT) | instid1(VALU_DEP_1)
	v_fma_mix_f32_bf16 v16, s38, v17, v22 op_sel:[0,0,1] op_sel_hi:[0,0,1]
	v_and_b32_e32 v17, 0x7f800000, v16
	s_delay_alu instid0(VALU_DEP_1) | instskip(SKIP_1) | instid1(SALU_CYCLE_1)
	v_cmp_ne_u32_e32 vcc_lo, 0x7f800000, v17
                                        ; implicit-def: $vgpr17
	s_and_saveexec_b32 s17, vcc_lo
	s_xor_b32 s17, exec_lo, s17
; %bb.51:                               ;   in Loop: Header=BB437_5 Depth=1
	v_bfe_u32 v17, v16, 16, 1
	s_delay_alu instid0(VALU_DEP_1)
	v_add3_u32 v17, v16, v17, 0x7fff
                                        ; implicit-def: $vgpr16
; %bb.52:                               ;   in Loop: Header=BB437_5 Depth=1
	s_and_not1_saveexec_b32 s17, s17
; %bb.53:                               ;   in Loop: Header=BB437_5 Depth=1
	v_and_b32_e32 v17, 0xffff, v16
	v_or_b32_e32 v22, 0x10000, v16
	s_delay_alu instid0(VALU_DEP_2) | instskip(NEXT) | instid1(VALU_DEP_2)
	v_cmp_eq_u32_e32 vcc_lo, 0, v17
	v_cndmask_b32_e32 v17, v22, v16, vcc_lo
; %bb.54:                               ;   in Loop: Header=BB437_5 Depth=1
	s_or_b32 exec_lo, exec_lo, s17
	v_lshl_add_u64 v[22:23], v[6:7], 1, v[20:21]
	global_store_d16_hi_b16 v[22:23], v17, off offset:32
	s_wait_xcnt 0x0
	s_or_b32 exec_lo, exec_lo, s16
	s_delay_alu instid0(SALU_CYCLE_1)
	s_and_b32 exec_lo, exec_lo, s5
	s_cbranch_execz .LBB437_3
.LBB437_55:                             ;   in Loop: Header=BB437_5 Depth=1
	v_lshlrev_b64_e32 v[16:17], 1, v[6:7]
	v_lshl_add_u64 v[18:19], s[8:9], 1, v[18:19]
	v_lshl_add_u64 v[20:21], s[18:19], 1, v[20:21]
	s_delay_alu instid0(VALU_DEP_2) | instskip(NEXT) | instid1(VALU_DEP_2)
	v_add_nc_u64_e32 v[18:19], v[18:19], v[16:17]
	v_add_nc_u64_e32 v[16:17], v[20:21], v[16:17]
	s_and_saveexec_b32 s16, s3
	s_cbranch_execz .LBB437_65
; %bb.56:                               ;   in Loop: Header=BB437_5 Depth=1
	global_load_u16 v20, v[18:19], off
	s_wait_loadcnt 0x0
	v_lshlrev_b32_e32 v20, 16, v20
	s_delay_alu instid0(VALU_DEP_1) | instskip(NEXT) | instid1(VALU_DEP_1)
	v_mul_f32_e32 v20, s39, v20
	v_and_b32_e32 v21, 0x7f800000, v20
	s_delay_alu instid0(VALU_DEP_1) | instskip(SKIP_2) | instid1(SALU_CYCLE_1)
	v_cmp_ne_u32_e32 vcc_lo, 0x7f800000, v21
                                        ; implicit-def: $vgpr21
	s_wait_xcnt 0x0
	s_and_saveexec_b32 s17, vcc_lo
	s_xor_b32 s17, exec_lo, s17
; %bb.57:                               ;   in Loop: Header=BB437_5 Depth=1
	v_bfe_u32 v21, v20, 16, 1
	s_delay_alu instid0(VALU_DEP_1)
	v_add3_u32 v21, v20, v21, 0x7fff
                                        ; implicit-def: $vgpr20
; %bb.58:                               ;   in Loop: Header=BB437_5 Depth=1
	s_and_not1_saveexec_b32 s17, s17
; %bb.59:                               ;   in Loop: Header=BB437_5 Depth=1
	v_and_b32_e32 v21, 0xffff, v20
	v_or_b32_e32 v22, 0x10000, v20
	s_delay_alu instid0(VALU_DEP_2) | instskip(NEXT) | instid1(VALU_DEP_2)
	v_cmp_eq_u32_e32 vcc_lo, 0, v21
	v_cndmask_b32_e32 v21, v22, v20, vcc_lo
; %bb.60:                               ;   in Loop: Header=BB437_5 Depth=1
	s_or_b32 exec_lo, exec_lo, s17
	s_delay_alu instid0(VALU_DEP_1) | instskip(NEXT) | instid1(VALU_DEP_1)
	v_fma_mix_f32_bf16 v14, s38, v14, v21 op_sel:[0,0,1] op_sel_hi:[0,0,1]
	v_and_b32_e32 v20, 0x7f800000, v14
	s_delay_alu instid0(VALU_DEP_1) | instskip(SKIP_1) | instid1(SALU_CYCLE_1)
	v_cmp_ne_u32_e32 vcc_lo, 0x7f800000, v20
                                        ; implicit-def: $vgpr20
	s_and_saveexec_b32 s17, vcc_lo
	s_xor_b32 s17, exec_lo, s17
; %bb.61:                               ;   in Loop: Header=BB437_5 Depth=1
	v_bfe_u32 v20, v14, 16, 1
	s_delay_alu instid0(VALU_DEP_1)
	v_add3_u32 v20, v14, v20, 0x7fff
                                        ; implicit-def: $vgpr14
; %bb.62:                               ;   in Loop: Header=BB437_5 Depth=1
	s_and_not1_saveexec_b32 s17, s17
; %bb.63:                               ;   in Loop: Header=BB437_5 Depth=1
	v_and_b32_e32 v20, 0xffff, v14
	v_or_b32_e32 v21, 0x10000, v14
	s_delay_alu instid0(VALU_DEP_2) | instskip(NEXT) | instid1(VALU_DEP_2)
	v_cmp_eq_u32_e32 vcc_lo, 0, v20
	v_cndmask_b32_e32 v20, v21, v14, vcc_lo
; %bb.64:                               ;   in Loop: Header=BB437_5 Depth=1
	s_or_b32 exec_lo, exec_lo, s17
	global_store_d16_hi_b16 v[16:17], v20, off
.LBB437_65:                             ;   in Loop: Header=BB437_5 Depth=1
	s_wait_xcnt 0x0
	s_or_b32 exec_lo, exec_lo, s16
	s_delay_alu instid0(SALU_CYCLE_1)
	s_and_b32 exec_lo, exec_lo, s4
	s_cbranch_execz .LBB437_3
; %bb.66:                               ;   in Loop: Header=BB437_5 Depth=1
	global_load_u16 v14, v[18:19], off offset:32
	s_wait_loadcnt 0x0
	v_lshlrev_b32_e32 v14, 16, v14
	s_delay_alu instid0(VALU_DEP_1) | instskip(SKIP_1) | instid1(VALU_DEP_1)
	v_mul_f32_e32 v14, s39, v14
	s_wait_xcnt 0x0
	v_and_b32_e32 v18, 0x7f800000, v14
	s_delay_alu instid0(VALU_DEP_1) | instskip(SKIP_1) | instid1(SALU_CYCLE_1)
	v_cmp_ne_u32_e32 vcc_lo, 0x7f800000, v18
                                        ; implicit-def: $vgpr18
	s_and_saveexec_b32 s16, vcc_lo
	s_xor_b32 s16, exec_lo, s16
; %bb.67:                               ;   in Loop: Header=BB437_5 Depth=1
	v_bfe_u32 v18, v14, 16, 1
	s_delay_alu instid0(VALU_DEP_1)
	v_add3_u32 v18, v14, v18, 0x7fff
                                        ; implicit-def: $vgpr14
; %bb.68:                               ;   in Loop: Header=BB437_5 Depth=1
	s_and_not1_saveexec_b32 s16, s16
; %bb.69:                               ;   in Loop: Header=BB437_5 Depth=1
	v_and_b32_e32 v18, 0xffff, v14
	v_or_b32_e32 v19, 0x10000, v14
	s_delay_alu instid0(VALU_DEP_2) | instskip(NEXT) | instid1(VALU_DEP_2)
	v_cmp_eq_u32_e32 vcc_lo, 0, v18
	v_cndmask_b32_e32 v18, v19, v14, vcc_lo
; %bb.70:                               ;   in Loop: Header=BB437_5 Depth=1
	s_or_b32 exec_lo, exec_lo, s16
	s_delay_alu instid0(VALU_DEP_1) | instskip(NEXT) | instid1(VALU_DEP_1)
	v_fma_mix_f32_bf16 v14, s38, v15, v18 op_sel:[0,0,1] op_sel_hi:[0,0,1]
	v_and_b32_e32 v15, 0x7f800000, v14
	s_delay_alu instid0(VALU_DEP_1) | instskip(SKIP_1) | instid1(SALU_CYCLE_1)
	v_cmp_ne_u32_e32 vcc_lo, 0x7f800000, v15
                                        ; implicit-def: $vgpr15
	s_and_saveexec_b32 s16, vcc_lo
	s_xor_b32 s16, exec_lo, s16
; %bb.71:                               ;   in Loop: Header=BB437_5 Depth=1
	v_bfe_u32 v15, v14, 16, 1
	s_delay_alu instid0(VALU_DEP_1)
	v_add3_u32 v15, v14, v15, 0x7fff
                                        ; implicit-def: $vgpr14
; %bb.72:                               ;   in Loop: Header=BB437_5 Depth=1
	s_and_not1_saveexec_b32 s16, s16
	s_cbranch_execz .LBB437_2
; %bb.73:                               ;   in Loop: Header=BB437_5 Depth=1
	v_and_b32_e32 v15, 0xffff, v14
	v_or_b32_e32 v18, 0x10000, v14
	s_delay_alu instid0(VALU_DEP_2) | instskip(NEXT) | instid1(VALU_DEP_2)
	v_cmp_eq_u32_e32 vcc_lo, 0, v15
	v_cndmask_b32_e32 v15, v18, v14, vcc_lo
	s_branch .LBB437_2
.LBB437_74:
	s_endpgm
	.section	.rodata,"a",@progbits
	.p2align	6, 0x0
	.amdhsa_kernel _ZN12_GLOBAL__N_135rocblas_gemm_batched_general_kernelIfLi16ELi16ELi32ELi32ELi8ELi32ELi8ELi8ELi32ELc84ELc78EK16rocblas_bfloat16S2_S1_EEvlllT_PT11_llS5_llS3_PT12_llPT13_lli
		.amdhsa_group_segment_fixed_size 2048
		.amdhsa_private_segment_fixed_size 0
		.amdhsa_kernarg_size 140
		.amdhsa_user_sgpr_count 2
		.amdhsa_user_sgpr_dispatch_ptr 0
		.amdhsa_user_sgpr_queue_ptr 0
		.amdhsa_user_sgpr_kernarg_segment_ptr 1
		.amdhsa_user_sgpr_dispatch_id 0
		.amdhsa_user_sgpr_kernarg_preload_length 0
		.amdhsa_user_sgpr_kernarg_preload_offset 0
		.amdhsa_user_sgpr_private_segment_size 0
		.amdhsa_wavefront_size32 1
		.amdhsa_uses_dynamic_stack 0
		.amdhsa_enable_private_segment 0
		.amdhsa_system_sgpr_workgroup_id_x 1
		.amdhsa_system_sgpr_workgroup_id_y 1
		.amdhsa_system_sgpr_workgroup_id_z 1
		.amdhsa_system_sgpr_workgroup_info 0
		.amdhsa_system_vgpr_workitem_id 1
		.amdhsa_next_free_vgpr 52
		.amdhsa_next_free_sgpr 41
		.amdhsa_named_barrier_count 0
		.amdhsa_reserve_vcc 1
		.amdhsa_float_round_mode_32 0
		.amdhsa_float_round_mode_16_64 0
		.amdhsa_float_denorm_mode_32 3
		.amdhsa_float_denorm_mode_16_64 3
		.amdhsa_fp16_overflow 0
		.amdhsa_memory_ordered 1
		.amdhsa_forward_progress 1
		.amdhsa_inst_pref_size 23
		.amdhsa_round_robin_scheduling 0
		.amdhsa_exception_fp_ieee_invalid_op 0
		.amdhsa_exception_fp_denorm_src 0
		.amdhsa_exception_fp_ieee_div_zero 0
		.amdhsa_exception_fp_ieee_overflow 0
		.amdhsa_exception_fp_ieee_underflow 0
		.amdhsa_exception_fp_ieee_inexact 0
		.amdhsa_exception_int_div_zero 0
	.end_amdhsa_kernel
	.section	.text._ZN12_GLOBAL__N_135rocblas_gemm_batched_general_kernelIfLi16ELi16ELi32ELi32ELi8ELi32ELi8ELi8ELi32ELc84ELc78EK16rocblas_bfloat16S2_S1_EEvlllT_PT11_llS5_llS3_PT12_llPT13_lli,"axG",@progbits,_ZN12_GLOBAL__N_135rocblas_gemm_batched_general_kernelIfLi16ELi16ELi32ELi32ELi8ELi32ELi8ELi8ELi32ELc84ELc78EK16rocblas_bfloat16S2_S1_EEvlllT_PT11_llS5_llS3_PT12_llPT13_lli,comdat
.Lfunc_end437:
	.size	_ZN12_GLOBAL__N_135rocblas_gemm_batched_general_kernelIfLi16ELi16ELi32ELi32ELi8ELi32ELi8ELi8ELi32ELc84ELc78EK16rocblas_bfloat16S2_S1_EEvlllT_PT11_llS5_llS3_PT12_llPT13_lli, .Lfunc_end437-_ZN12_GLOBAL__N_135rocblas_gemm_batched_general_kernelIfLi16ELi16ELi32ELi32ELi8ELi32ELi8ELi8ELi32ELc84ELc78EK16rocblas_bfloat16S2_S1_EEvlllT_PT11_llS5_llS3_PT12_llPT13_lli
                                        ; -- End function
	.set _ZN12_GLOBAL__N_135rocblas_gemm_batched_general_kernelIfLi16ELi16ELi32ELi32ELi8ELi32ELi8ELi8ELi32ELc84ELc78EK16rocblas_bfloat16S2_S1_EEvlllT_PT11_llS5_llS3_PT12_llPT13_lli.num_vgpr, 52
	.set _ZN12_GLOBAL__N_135rocblas_gemm_batched_general_kernelIfLi16ELi16ELi32ELi32ELi8ELi32ELi8ELi8ELi32ELc84ELc78EK16rocblas_bfloat16S2_S1_EEvlllT_PT11_llS5_llS3_PT12_llPT13_lli.num_agpr, 0
	.set _ZN12_GLOBAL__N_135rocblas_gemm_batched_general_kernelIfLi16ELi16ELi32ELi32ELi8ELi32ELi8ELi8ELi32ELc84ELc78EK16rocblas_bfloat16S2_S1_EEvlllT_PT11_llS5_llS3_PT12_llPT13_lli.numbered_sgpr, 41
	.set _ZN12_GLOBAL__N_135rocblas_gemm_batched_general_kernelIfLi16ELi16ELi32ELi32ELi8ELi32ELi8ELi8ELi32ELc84ELc78EK16rocblas_bfloat16S2_S1_EEvlllT_PT11_llS5_llS3_PT12_llPT13_lli.num_named_barrier, 0
	.set _ZN12_GLOBAL__N_135rocblas_gemm_batched_general_kernelIfLi16ELi16ELi32ELi32ELi8ELi32ELi8ELi8ELi32ELc84ELc78EK16rocblas_bfloat16S2_S1_EEvlllT_PT11_llS5_llS3_PT12_llPT13_lli.private_seg_size, 0
	.set _ZN12_GLOBAL__N_135rocblas_gemm_batched_general_kernelIfLi16ELi16ELi32ELi32ELi8ELi32ELi8ELi8ELi32ELc84ELc78EK16rocblas_bfloat16S2_S1_EEvlllT_PT11_llS5_llS3_PT12_llPT13_lli.uses_vcc, 1
	.set _ZN12_GLOBAL__N_135rocblas_gemm_batched_general_kernelIfLi16ELi16ELi32ELi32ELi8ELi32ELi8ELi8ELi32ELc84ELc78EK16rocblas_bfloat16S2_S1_EEvlllT_PT11_llS5_llS3_PT12_llPT13_lli.uses_flat_scratch, 0
	.set _ZN12_GLOBAL__N_135rocblas_gemm_batched_general_kernelIfLi16ELi16ELi32ELi32ELi8ELi32ELi8ELi8ELi32ELc84ELc78EK16rocblas_bfloat16S2_S1_EEvlllT_PT11_llS5_llS3_PT12_llPT13_lli.has_dyn_sized_stack, 0
	.set _ZN12_GLOBAL__N_135rocblas_gemm_batched_general_kernelIfLi16ELi16ELi32ELi32ELi8ELi32ELi8ELi8ELi32ELc84ELc78EK16rocblas_bfloat16S2_S1_EEvlllT_PT11_llS5_llS3_PT12_llPT13_lli.has_recursion, 0
	.set _ZN12_GLOBAL__N_135rocblas_gemm_batched_general_kernelIfLi16ELi16ELi32ELi32ELi8ELi32ELi8ELi8ELi32ELc84ELc78EK16rocblas_bfloat16S2_S1_EEvlllT_PT11_llS5_llS3_PT12_llPT13_lli.has_indirect_call, 0
	.section	.AMDGPU.csdata,"",@progbits
; Kernel info:
; codeLenInByte = 2828
; TotalNumSgprs: 43
; NumVgprs: 52
; ScratchSize: 0
; MemoryBound: 0
; FloatMode: 240
; IeeeMode: 1
; LDSByteSize: 2048 bytes/workgroup (compile time only)
; SGPRBlocks: 0
; VGPRBlocks: 3
; NumSGPRsForWavesPerEU: 43
; NumVGPRsForWavesPerEU: 52
; NamedBarCnt: 0
; Occupancy: 16
; WaveLimiterHint : 0
; COMPUTE_PGM_RSRC2:SCRATCH_EN: 0
; COMPUTE_PGM_RSRC2:USER_SGPR: 2
; COMPUTE_PGM_RSRC2:TRAP_HANDLER: 0
; COMPUTE_PGM_RSRC2:TGID_X_EN: 1
; COMPUTE_PGM_RSRC2:TGID_Y_EN: 1
; COMPUTE_PGM_RSRC2:TGID_Z_EN: 1
; COMPUTE_PGM_RSRC2:TIDIG_COMP_CNT: 1
	.section	.text._ZN12_GLOBAL__N_135rocblas_gemm_batched_general_kernelIfLi16ELi16ELi32ELi32ELi8ELi32ELi8ELi8ELi32ELc78ELc84EK16rocblas_bfloat16S2_S1_EEvlllT_PT11_llS5_llS3_PT12_llPT13_lli,"axG",@progbits,_ZN12_GLOBAL__N_135rocblas_gemm_batched_general_kernelIfLi16ELi16ELi32ELi32ELi8ELi32ELi8ELi8ELi32ELc78ELc84EK16rocblas_bfloat16S2_S1_EEvlllT_PT11_llS5_llS3_PT12_llPT13_lli,comdat
	.globl	_ZN12_GLOBAL__N_135rocblas_gemm_batched_general_kernelIfLi16ELi16ELi32ELi32ELi8ELi32ELi8ELi8ELi32ELc78ELc84EK16rocblas_bfloat16S2_S1_EEvlllT_PT11_llS5_llS3_PT12_llPT13_lli ; -- Begin function _ZN12_GLOBAL__N_135rocblas_gemm_batched_general_kernelIfLi16ELi16ELi32ELi32ELi8ELi32ELi8ELi8ELi32ELc78ELc84EK16rocblas_bfloat16S2_S1_EEvlllT_PT11_llS5_llS3_PT12_llPT13_lli
	.p2align	8
	.type	_ZN12_GLOBAL__N_135rocblas_gemm_batched_general_kernelIfLi16ELi16ELi32ELi32ELi8ELi32ELi8ELi8ELi32ELc78ELc84EK16rocblas_bfloat16S2_S1_EEvlllT_PT11_llS5_llS3_PT12_llPT13_lli,@function
_ZN12_GLOBAL__N_135rocblas_gemm_batched_general_kernelIfLi16ELi16ELi32ELi32ELi8ELi32ELi8ELi8ELi32ELc78ELc84EK16rocblas_bfloat16S2_S1_EEvlllT_PT11_llS5_llS3_PT12_llPT13_lli: ; @_ZN12_GLOBAL__N_135rocblas_gemm_batched_general_kernelIfLi16ELi16ELi32ELi32ELi8ELi32ELi8ELi8ELi32ELc78ELc84EK16rocblas_bfloat16S2_S1_EEvlllT_PT11_llS5_llS3_PT12_llPT13_lli
; %bb.0:
	s_load_b32 s33, s[0:1], 0x88
	s_bfe_u32 s2, ttmp6, 0x40014
	s_lshr_b32 s3, ttmp7, 16
	s_add_co_i32 s2, s2, 1
	s_bfe_u32 s5, ttmp6, 0x40008
	s_mul_i32 s4, s3, s2
	s_getreg_b32 s2, hwreg(HW_REG_IB_STS2, 6, 4)
	s_add_co_i32 s5, s5, s4
	s_cmp_eq_u32 s2, 0
	s_mov_b32 s35, 0
	s_cselect_b32 s34, s3, s5
	s_wait_kmcnt 0x0
	s_cmp_ge_i32 s34, s33
	s_cbranch_scc1 .LBB438_74
; %bb.1:
	s_clause 0x3
	s_load_b128 s[4:7], s[0:1], 0x0
	s_load_b256 s[16:23], s[0:1], 0x20
	s_load_b128 s[28:31], s[0:1], 0x40
	s_load_b32 s39, s[0:1], 0x50
	v_bfe_u32 v8, v0, 10, 10
	v_and_b32_e32 v10, 0x3ff, v0
	s_bfe_u32 s3, ttmp6, 0x4000c
	s_clause 0x1
	s_load_b128 s[24:27], s[0:1], 0x78
	s_load_b256 s[8:15], s[0:1], 0x58
	s_add_co_i32 s3, s3, 1
	s_bfe_u32 s38, ttmp6, 0x40010
	v_lshl_add_u32 v4, v8, 4, v10
	v_mov_b32_e32 v9, 0
	s_and_b32 s36, ttmp6, 15
	s_mul_i32 s3, ttmp9, s3
	s_and_b32 s37, ttmp7, 0xffff
	v_and_b32_e32 v27, 31, v4
	v_dual_mov_b32 v1, v9 :: v_dual_bitop2_b32 v0, 7, v0 bitop3:0x40
	v_dual_mov_b32 v3, v9 :: v_dual_lshrrev_b32 v2, 5, v4
	s_add_co_i32 s38, s38, 1
	s_add_co_i32 s36, s36, s3
	s_wait_kmcnt 0x0
	v_mul_u64_e32 v[12:13], s[28:29], v[0:1]
	s_mul_i32 s3, s37, s38
	s_bfe_u32 s38, ttmp6, 0x40004
	v_mul_u64_e32 v[16:17], s[18:19], v[2:3]
	s_add_co_i32 s38, s38, s3
	s_cmp_eq_u32 s2, 0
	s_mov_b32 s41, s35
	s_cselect_b32 s44, s37, s38
	s_cselect_b32 s2, ttmp9, s36
	s_lshl_b32 s40, s44, 5
	s_ashr_i32 s3, s2, 31
	v_add_nc_u64_e32 v[18:19], s[40:41], v[8:9]
	v_dual_mov_b32 v15, v9 :: v_dual_lshrrev_b32 v14, 3, v4
	s_lshl_b64 s[42:43], s[2:3], 5
	s_delay_alu instid0(SALU_CYCLE_1) | instskip(SKIP_1) | instid1(VALU_DEP_4)
	v_dual_mov_b32 v11, v9 :: v_dual_bitop2_b32 v4, s42, v27 bitop3:0x54
	v_mov_b32_e32 v5, s43
	v_mul_u64_e32 v[20:21], s[10:11], v[18:19]
	v_add_nc_u64_e32 v[6:7], s[40:41], v[14:15]
	v_lshlrev_b32_e32 v15, 2, v27
	s_load_b96 s[36:38], s[0:1], 0x10
	s_wait_xcnt 0x0
	v_cmp_gt_i64_e64 s0, s[4:5], v[4:5]
	v_mul_u64_e32 v[4:5], s[24:25], v[18:19]
	v_lshlrev_b32_e32 v22, 2, v0
	s_cmp_eq_f32 s39, 0
	v_cmp_gt_i64_e64 s1, s[6:7], v[6:7]
	v_add_nc_u64_e32 v[6:7], s[42:43], v[10:11]
	v_lshl_or_b32 v24, v2, 7, v15
	s_cselect_b32 s40, -1, 0
	s_lshl_b32 s42, s44, 6
	s_mov_b32 s43, s35
	v_lshl_add_u32 v25, v8, 5, 0x400
	v_lshlrev_b32_e32 v8, 1, v14
	v_lshl_or_b32 v15, v14, 5, v22
	v_lshl_add_u64 v[12:13], v[12:13], 1, s[42:43]
	s_lshl_b64 s[2:3], s[2:3], 6
	v_add_nc_u64_e32 v[22:23], 16, v[18:19]
	v_lshl_add_u64 v[16:17], v[16:17], 1, s[2:3]
	v_add_nc_u32_e32 v26, 0x400, v15
	v_add_nc_u64_e32 v[14:15], 16, v[6:7]
	v_add_nc_u64_e32 v[12:13], v[12:13], v[8:9]
	v_dual_lshlrev_b32 v8, 1, v27 :: v_dual_lshlrev_b32 v27, 2, v10
	v_cmp_gt_i64_e64 s3, s[4:5], v[6:7]
	v_cmp_gt_i64_e64 s2, s[6:7], v[18:19]
	s_lshl_b64 s[10:11], s[10:11], 4
	v_cmp_gt_i64_e64 s4, s[4:5], v[14:15]
	v_add_nc_u64_e32 v[14:15], v[16:17], v[8:9]
	v_cmp_gt_i64_e64 s5, s[6:7], v[22:23]
	s_lshl_b64 s[6:7], s[24:25], 4
	v_add_nc_u64_e32 v[10:11], s[22:23], v[12:13]
	s_wait_kmcnt 0x0
	v_cmp_gt_i64_e64 s24, s[36:37], 0
	v_lshl_add_u64 v[8:9], v[20:21], 1, s[8:9]
	s_lshl_b64 s[8:9], s[30:31], 1
	v_add_nc_u64_e32 v[12:13], s[16:17], v[14:15]
	s_lshl_b64 s[16:17], s[28:29], 4
	s_lshl_b64 s[20:21], s[20:21], 1
	;; [unrolled: 1-line block ×3, first 2 shown]
	s_branch .LBB438_5
.LBB438_2:                              ;   in Loop: Header=BB438_5 Depth=1
	s_or_b32 exec_lo, exec_lo, s22
	global_store_d16_hi_b16 v[16:17], v15, off offset:32
.LBB438_3:                              ;   in Loop: Header=BB438_5 Depth=1
	s_wait_xcnt 0x0
	s_or_b32 exec_lo, exec_lo, s25
.LBB438_4:                              ;   in Loop: Header=BB438_5 Depth=1
	s_add_co_i32 s34, s34, 0x10000
	s_delay_alu instid0(SALU_CYCLE_1)
	s_cmp_lt_i32 s34, s33
	s_cbranch_scc0 .LBB438_74
.LBB438_5:                              ; =>This Loop Header: Depth=1
                                        ;     Child Loop BB438_8 Depth 2
	v_dual_mov_b32 v17, 0 :: v_dual_mov_b32 v16, 0
	v_dual_mov_b32 v15, 0 :: v_dual_mov_b32 v14, 0
	s_and_not1_b32 vcc_lo, exec_lo, s24
	s_cbranch_vccnz .LBB438_12
; %bb.6:                                ;   in Loop: Header=BB438_5 Depth=1
	v_mad_nc_u64_u32 v[18:19], s8, s34, v[10:11]
	v_mad_nc_u64_u32 v[20:21], s20, s34, v[12:13]
	v_mov_b32_e32 v16, 0
	s_mov_b64 s[22:23], 0
	s_delay_alu instid0(VALU_DEP_1)
	v_dual_mov_b32 v17, v16 :: v_dual_mov_b32 v14, v16
	v_mov_b32_e32 v15, v16
	v_mad_u32 v19, s9, s34, v19
	v_mad_u32 v21, s21, s34, v21
	s_branch .LBB438_8
.LBB438_7:                              ;   in Loop: Header=BB438_8 Depth=2
	s_wait_xcnt 0x0
	s_or_b32 exec_lo, exec_lo, s25
	ds_store_b32 v26, v23
	s_wait_dscnt 0x0
	s_barrier_signal -1
	s_barrier_wait -1
	ds_load_b128 v[28:31], v25
	ds_load_2addr_b32 v[22:23], v27 offset1:16
	ds_load_b128 v[32:35], v25 offset:512
	ds_load_2addr_b32 v[44:45], v27 offset0:32 offset1:48
	ds_load_2addr_b32 v[46:47], v27 offset0:64 offset1:80
	;; [unrolled: 1-line block ×3, first 2 shown]
	ds_load_b128 v[36:39], v25 offset:16
	ds_load_2addr_b32 v[50:51], v27 offset0:128 offset1:144
	ds_load_b128 v[40:43], v25 offset:528
	s_add_nc_u64 s[22:23], s[22:23], 8
	v_add_nc_u64_e32 v[18:19], s[16:17], v[18:19]
	v_cmp_lt_i64_e64 s25, s[22:23], s[36:37]
	v_add_nc_u64_e32 v[20:21], s[18:19], v[20:21]
	s_and_b32 vcc_lo, exec_lo, s25
	s_wait_dscnt 0x7
	v_pk_fma_f32 v[16:17], v[22:23], v[28:29], v[16:17] op_sel_hi:[1,0,1]
	s_wait_dscnt 0x6
	v_pk_fma_f32 v[14:15], v[22:23], v[32:33], v[14:15] op_sel_hi:[1,0,1]
	ds_load_2addr_b32 v[22:23], v27 offset0:160 offset1:176
	s_wait_dscnt 0x6
	v_pk_fma_f32 v[16:17], v[44:45], v[28:29], v[16:17] op_sel:[0,1,0]
	v_pk_fma_f32 v[14:15], v[44:45], v[32:33], v[14:15] op_sel:[0,1,0]
	ds_load_2addr_b32 v[28:29], v27 offset0:192 offset1:208
	v_dual_mov_b32 v32, v31 :: v_dual_mov_b32 v44, v35
	s_wait_dscnt 0x6
	v_pk_fma_f32 v[16:17], v[46:47], v[30:31], v[16:17] op_sel_hi:[1,0,1]
	v_pk_fma_f32 v[14:15], v[46:47], v[34:35], v[14:15] op_sel_hi:[1,0,1]
	ds_load_2addr_b32 v[30:31], v27 offset0:224 offset1:240
	s_wait_dscnt 0x0
	s_barrier_signal -1
	v_pk_fma_f32 v[16:17], v[48:49], v[32:33], v[16:17] op_sel_hi:[1,0,1]
	v_pk_fma_f32 v[14:15], v[48:49], v[44:45], v[14:15] op_sel_hi:[1,0,1]
	s_barrier_wait -1
	v_mov_b32_e32 v32, v43
	s_delay_alu instid0(VALU_DEP_3) | instskip(NEXT) | instid1(VALU_DEP_3)
	v_pk_fma_f32 v[16:17], v[50:51], v[36:37], v[16:17] op_sel_hi:[1,0,1]
	v_pk_fma_f32 v[14:15], v[50:51], v[40:41], v[14:15] op_sel_hi:[1,0,1]
	s_delay_alu instid0(VALU_DEP_2) | instskip(NEXT) | instid1(VALU_DEP_2)
	v_pk_fma_f32 v[16:17], v[22:23], v[36:37], v[16:17] op_sel:[0,1,0]
	v_pk_fma_f32 v[14:15], v[22:23], v[40:41], v[14:15] op_sel:[0,1,0]
	v_mov_b32_e32 v22, v39
	s_delay_alu instid0(VALU_DEP_3) | instskip(NEXT) | instid1(VALU_DEP_3)
	v_pk_fma_f32 v[16:17], v[28:29], v[38:39], v[16:17] op_sel_hi:[1,0,1]
	v_pk_fma_f32 v[14:15], v[28:29], v[42:43], v[14:15] op_sel_hi:[1,0,1]
	s_delay_alu instid0(VALU_DEP_2) | instskip(NEXT) | instid1(VALU_DEP_2)
	v_pk_fma_f32 v[16:17], v[30:31], v[22:23], v[16:17] op_sel_hi:[1,0,1]
	v_pk_fma_f32 v[14:15], v[30:31], v[32:33], v[14:15] op_sel_hi:[1,0,1]
	s_cbranch_vccz .LBB438_12
.LBB438_8:                              ;   Parent Loop BB438_5 Depth=1
                                        ; =>  This Inner Loop Header: Depth=2
	v_add_nc_u64_e32 v[22:23], s[22:23], v[2:3]
	s_delay_alu instid0(VALU_DEP_1) | instskip(SKIP_2) | instid1(SALU_CYCLE_1)
	v_cmp_gt_i64_e32 vcc_lo, s[36:37], v[22:23]
	v_mov_b32_e32 v22, 0
	s_and_b32 s28, s0, vcc_lo
	s_and_saveexec_b32 s25, s28
	s_cbranch_execz .LBB438_10
; %bb.9:                                ;   in Loop: Header=BB438_8 Depth=2
	global_load_u16 v22, v[20:21], off
	s_wait_loadcnt 0x0
	v_lshlrev_b32_e32 v22, 16, v22
.LBB438_10:                             ;   in Loop: Header=BB438_8 Depth=2
	s_wait_xcnt 0x0
	s_or_b32 exec_lo, exec_lo, s25
	v_add_nc_u64_e32 v[28:29], s[22:23], v[0:1]
	v_mov_b32_e32 v23, 0
	ds_store_b32 v24, v22
	v_cmp_gt_i64_e32 vcc_lo, s[36:37], v[28:29]
	s_and_b32 s28, vcc_lo, s1
	s_delay_alu instid0(SALU_CYCLE_1)
	s_and_saveexec_b32 s25, s28
	s_cbranch_execz .LBB438_7
; %bb.11:                               ;   in Loop: Header=BB438_8 Depth=2
	global_load_u16 v22, v[18:19], off
	s_wait_loadcnt 0x0
	v_lshlrev_b32_e32 v23, 16, v22
	s_branch .LBB438_7
.LBB438_12:                             ;   in Loop: Header=BB438_5 Depth=1
	s_mul_u64 s[22:23], s[26:27], s[34:35]
	s_and_not1_b32 vcc_lo, exec_lo, s40
	s_lshl_b64 s[22:23], s[22:23], 1
	s_delay_alu instid0(SALU_CYCLE_1)
	s_add_nc_u64 s[22:23], s[14:15], s[22:23]
	s_cbranch_vccnz .LBB438_17
; %bb.13:                               ;   in Loop: Header=BB438_5 Depth=1
	s_and_saveexec_b32 s25, s2
	s_cbranch_execz .LBB438_32
; %bb.14:                               ;   in Loop: Header=BB438_5 Depth=1
	v_lshl_add_u64 v[18:19], v[4:5], 1, s[22:23]
	s_and_saveexec_b32 s28, s3
	s_cbranch_execnz .LBB438_18
; %bb.15:                               ;   in Loop: Header=BB438_5 Depth=1
	s_or_b32 exec_lo, exec_lo, s28
	s_and_saveexec_b32 s28, s4
	s_cbranch_execnz .LBB438_23
.LBB438_16:                             ;   in Loop: Header=BB438_5 Depth=1
	s_or_b32 exec_lo, exec_lo, s28
	s_delay_alu instid0(SALU_CYCLE_1)
	s_and_b32 exec_lo, exec_lo, s5
	s_cbranch_execnz .LBB438_28
	s_branch .LBB438_32
.LBB438_17:                             ;   in Loop: Header=BB438_5 Depth=1
	s_branch .LBB438_33
.LBB438_18:                             ;   in Loop: Header=BB438_5 Depth=1
	v_mul_f32_e32 v20, s38, v16
	s_delay_alu instid0(VALU_DEP_1) | instskip(NEXT) | instid1(VALU_DEP_1)
	v_and_b32_e32 v21, 0x7f800000, v20
	v_cmp_ne_u32_e32 vcc_lo, 0x7f800000, v21
                                        ; implicit-def: $vgpr21
	s_and_saveexec_b32 s29, vcc_lo
	s_delay_alu instid0(SALU_CYCLE_1)
	s_xor_b32 s29, exec_lo, s29
; %bb.19:                               ;   in Loop: Header=BB438_5 Depth=1
	v_bfe_u32 v21, v20, 16, 1
	s_delay_alu instid0(VALU_DEP_1)
	v_add3_u32 v21, v20, v21, 0x7fff
                                        ; implicit-def: $vgpr20
; %bb.20:                               ;   in Loop: Header=BB438_5 Depth=1
	s_and_not1_saveexec_b32 s29, s29
; %bb.21:                               ;   in Loop: Header=BB438_5 Depth=1
	v_and_b32_e32 v21, 0xffff, v20
	v_or_b32_e32 v22, 0x10000, v20
	s_delay_alu instid0(VALU_DEP_2) | instskip(NEXT) | instid1(VALU_DEP_2)
	v_cmp_eq_u32_e32 vcc_lo, 0, v21
	v_cndmask_b32_e32 v21, v22, v20, vcc_lo
; %bb.22:                               ;   in Loop: Header=BB438_5 Depth=1
	s_or_b32 exec_lo, exec_lo, s29
	v_lshl_add_u64 v[22:23], v[6:7], 1, v[18:19]
	global_store_d16_hi_b16 v[22:23], v21, off
	s_wait_xcnt 0x0
	s_or_b32 exec_lo, exec_lo, s28
	s_and_saveexec_b32 s28, s4
	s_cbranch_execz .LBB438_16
.LBB438_23:                             ;   in Loop: Header=BB438_5 Depth=1
	v_mul_f32_e32 v20, s38, v17
	s_delay_alu instid0(VALU_DEP_1) | instskip(NEXT) | instid1(VALU_DEP_1)
	v_and_b32_e32 v21, 0x7f800000, v20
	v_cmp_ne_u32_e32 vcc_lo, 0x7f800000, v21
                                        ; implicit-def: $vgpr21
	s_and_saveexec_b32 s29, vcc_lo
	s_delay_alu instid0(SALU_CYCLE_1)
	s_xor_b32 s29, exec_lo, s29
; %bb.24:                               ;   in Loop: Header=BB438_5 Depth=1
	v_bfe_u32 v21, v20, 16, 1
	s_delay_alu instid0(VALU_DEP_1)
	v_add3_u32 v21, v20, v21, 0x7fff
                                        ; implicit-def: $vgpr20
; %bb.25:                               ;   in Loop: Header=BB438_5 Depth=1
	s_and_not1_saveexec_b32 s29, s29
; %bb.26:                               ;   in Loop: Header=BB438_5 Depth=1
	v_and_b32_e32 v21, 0xffff, v20
	v_or_b32_e32 v22, 0x10000, v20
	s_delay_alu instid0(VALU_DEP_2) | instskip(NEXT) | instid1(VALU_DEP_2)
	v_cmp_eq_u32_e32 vcc_lo, 0, v21
	v_cndmask_b32_e32 v21, v22, v20, vcc_lo
; %bb.27:                               ;   in Loop: Header=BB438_5 Depth=1
	s_or_b32 exec_lo, exec_lo, s29
	v_lshl_add_u64 v[22:23], v[6:7], 1, v[18:19]
	global_store_d16_hi_b16 v[22:23], v21, off offset:32
	s_wait_xcnt 0x0
	s_or_b32 exec_lo, exec_lo, s28
	s_delay_alu instid0(SALU_CYCLE_1)
	s_and_b32 exec_lo, exec_lo, s5
	s_cbranch_execz .LBB438_32
.LBB438_28:                             ;   in Loop: Header=BB438_5 Depth=1
	v_lshl_add_u64 v[18:19], s[6:7], 1, v[18:19]
	s_delay_alu instid0(VALU_DEP_1)
	v_lshl_add_u64 v[18:19], v[6:7], 1, v[18:19]
	s_and_saveexec_b32 s28, s3
	s_cbranch_execz .LBB438_30
; %bb.29:                               ;   in Loop: Header=BB438_5 Depth=1
	v_mul_f32_e32 v20, s38, v14
	s_delay_alu instid0(VALU_DEP_1) | instskip(SKIP_3) | instid1(VALU_DEP_4)
	v_and_b32_e32 v22, 0xffff, v20
	v_bfe_u32 v21, v20, 16, 1
	v_or_b32_e32 v23, 0x10000, v20
	v_and_b32_e32 v28, 0x7f800000, v20
	v_cmp_eq_u32_e32 vcc_lo, 0, v22
	s_delay_alu instid0(VALU_DEP_4) | instskip(NEXT) | instid1(VALU_DEP_4)
	v_add3_u32 v21, v20, v21, 0x7fff
	v_cndmask_b32_e32 v20, v23, v20, vcc_lo
	s_delay_alu instid0(VALU_DEP_4) | instskip(NEXT) | instid1(VALU_DEP_2)
	v_cmp_eq_u32_e32 vcc_lo, 0x7f800000, v28
	v_cndmask_b32_e32 v20, v21, v20, vcc_lo
	global_store_d16_hi_b16 v[18:19], v20, off
.LBB438_30:                             ;   in Loop: Header=BB438_5 Depth=1
	s_wait_xcnt 0x0
	s_or_b32 exec_lo, exec_lo, s28
	s_delay_alu instid0(SALU_CYCLE_1)
	s_and_b32 exec_lo, exec_lo, s4
	s_cbranch_execz .LBB438_32
; %bb.31:                               ;   in Loop: Header=BB438_5 Depth=1
	v_mul_f32_e32 v20, s38, v15
	s_delay_alu instid0(VALU_DEP_1) | instskip(SKIP_3) | instid1(VALU_DEP_4)
	v_and_b32_e32 v22, 0xffff, v20
	v_bfe_u32 v21, v20, 16, 1
	v_or_b32_e32 v23, 0x10000, v20
	v_and_b32_e32 v28, 0x7f800000, v20
	v_cmp_eq_u32_e32 vcc_lo, 0, v22
	s_delay_alu instid0(VALU_DEP_4) | instskip(NEXT) | instid1(VALU_DEP_4)
	v_add3_u32 v21, v20, v21, 0x7fff
	v_cndmask_b32_e32 v20, v23, v20, vcc_lo
	s_delay_alu instid0(VALU_DEP_4) | instskip(NEXT) | instid1(VALU_DEP_2)
	v_cmp_eq_u32_e32 vcc_lo, 0x7f800000, v28
	v_cndmask_b32_e32 v20, v21, v20, vcc_lo
	global_store_d16_hi_b16 v[18:19], v20, off offset:32
.LBB438_32:                             ;   in Loop: Header=BB438_5 Depth=1
	s_wait_xcnt 0x0
	s_or_b32 exec_lo, exec_lo, s25
	s_cbranch_execnz .LBB438_4
.LBB438_33:                             ;   in Loop: Header=BB438_5 Depth=1
	s_and_saveexec_b32 s25, s2
	s_cbranch_execz .LBB438_3
; %bb.34:                               ;   in Loop: Header=BB438_5 Depth=1
	s_mul_u64 s[28:29], s[12:13], s[34:35]
	v_lshl_add_u64 v[20:21], v[4:5], 1, s[22:23]
	v_lshl_add_u64 v[18:19], s[28:29], 1, v[8:9]
	s_delay_alu instid0(VALU_DEP_1)
	v_lshl_add_u64 v[22:23], v[6:7], 1, v[18:19]
	s_and_saveexec_b32 s22, s3
	s_cbranch_execnz .LBB438_37
; %bb.35:                               ;   in Loop: Header=BB438_5 Depth=1
	s_or_b32 exec_lo, exec_lo, s22
	s_and_saveexec_b32 s22, s4
	s_cbranch_execnz .LBB438_46
.LBB438_36:                             ;   in Loop: Header=BB438_5 Depth=1
	s_or_b32 exec_lo, exec_lo, s22
	s_delay_alu instid0(SALU_CYCLE_1)
	s_and_b32 exec_lo, exec_lo, s5
	s_cbranch_execz .LBB438_3
	s_branch .LBB438_55
.LBB438_37:                             ;   in Loop: Header=BB438_5 Depth=1
	global_load_u16 v28, v[22:23], off
	s_wait_loadcnt 0x0
	v_lshlrev_b32_e32 v28, 16, v28
	s_delay_alu instid0(VALU_DEP_1) | instskip(NEXT) | instid1(VALU_DEP_1)
	v_mul_f32_e32 v28, s39, v28
	v_and_b32_e32 v29, 0x7f800000, v28
	s_delay_alu instid0(VALU_DEP_1) | instskip(SKIP_2) | instid1(SALU_CYCLE_1)
	v_cmp_ne_u32_e32 vcc_lo, 0x7f800000, v29
                                        ; implicit-def: $vgpr29
	s_wait_xcnt 0x0
	s_and_saveexec_b32 s23, vcc_lo
	s_xor_b32 s23, exec_lo, s23
; %bb.38:                               ;   in Loop: Header=BB438_5 Depth=1
	v_bfe_u32 v29, v28, 16, 1
	s_delay_alu instid0(VALU_DEP_1)
	v_add3_u32 v29, v28, v29, 0x7fff
                                        ; implicit-def: $vgpr28
; %bb.39:                               ;   in Loop: Header=BB438_5 Depth=1
	s_and_not1_saveexec_b32 s23, s23
; %bb.40:                               ;   in Loop: Header=BB438_5 Depth=1
	v_and_b32_e32 v29, 0xffff, v28
	v_or_b32_e32 v30, 0x10000, v28
	s_delay_alu instid0(VALU_DEP_2) | instskip(NEXT) | instid1(VALU_DEP_2)
	v_cmp_eq_u32_e32 vcc_lo, 0, v29
	v_cndmask_b32_e32 v29, v30, v28, vcc_lo
; %bb.41:                               ;   in Loop: Header=BB438_5 Depth=1
	s_or_b32 exec_lo, exec_lo, s23
	s_delay_alu instid0(VALU_DEP_1) | instskip(NEXT) | instid1(VALU_DEP_1)
	v_fma_mix_f32_bf16 v16, s38, v16, v29 op_sel:[0,0,1] op_sel_hi:[0,0,1]
	v_and_b32_e32 v28, 0x7f800000, v16
	s_delay_alu instid0(VALU_DEP_1) | instskip(SKIP_1) | instid1(SALU_CYCLE_1)
	v_cmp_ne_u32_e32 vcc_lo, 0x7f800000, v28
                                        ; implicit-def: $vgpr28
	s_and_saveexec_b32 s23, vcc_lo
	s_xor_b32 s23, exec_lo, s23
; %bb.42:                               ;   in Loop: Header=BB438_5 Depth=1
	v_bfe_u32 v28, v16, 16, 1
	s_delay_alu instid0(VALU_DEP_1)
	v_add3_u32 v28, v16, v28, 0x7fff
                                        ; implicit-def: $vgpr16
; %bb.43:                               ;   in Loop: Header=BB438_5 Depth=1
	s_and_not1_saveexec_b32 s23, s23
; %bb.44:                               ;   in Loop: Header=BB438_5 Depth=1
	v_and_b32_e32 v28, 0xffff, v16
	v_or_b32_e32 v29, 0x10000, v16
	s_delay_alu instid0(VALU_DEP_2) | instskip(NEXT) | instid1(VALU_DEP_2)
	v_cmp_eq_u32_e32 vcc_lo, 0, v28
	v_cndmask_b32_e32 v28, v29, v16, vcc_lo
; %bb.45:                               ;   in Loop: Header=BB438_5 Depth=1
	s_or_b32 exec_lo, exec_lo, s23
	v_lshl_add_u64 v[30:31], v[6:7], 1, v[20:21]
	global_store_d16_hi_b16 v[30:31], v28, off
	s_wait_xcnt 0x0
	s_or_b32 exec_lo, exec_lo, s22
	s_and_saveexec_b32 s22, s4
	s_cbranch_execz .LBB438_36
.LBB438_46:                             ;   in Loop: Header=BB438_5 Depth=1
	global_load_u16 v16, v[22:23], off offset:32
	s_wait_loadcnt 0x0
	v_lshlrev_b32_e32 v16, 16, v16
	s_delay_alu instid0(VALU_DEP_1) | instskip(SKIP_1) | instid1(VALU_DEP_1)
	v_mul_f32_e32 v16, s39, v16
	s_wait_xcnt 0x0
	v_and_b32_e32 v22, 0x7f800000, v16
	s_delay_alu instid0(VALU_DEP_1) | instskip(SKIP_1) | instid1(SALU_CYCLE_1)
	v_cmp_ne_u32_e32 vcc_lo, 0x7f800000, v22
                                        ; implicit-def: $vgpr22
	s_and_saveexec_b32 s23, vcc_lo
	s_xor_b32 s23, exec_lo, s23
; %bb.47:                               ;   in Loop: Header=BB438_5 Depth=1
	v_bfe_u32 v22, v16, 16, 1
	s_delay_alu instid0(VALU_DEP_1)
	v_add3_u32 v22, v16, v22, 0x7fff
                                        ; implicit-def: $vgpr16
; %bb.48:                               ;   in Loop: Header=BB438_5 Depth=1
	s_and_not1_saveexec_b32 s23, s23
; %bb.49:                               ;   in Loop: Header=BB438_5 Depth=1
	v_and_b32_e32 v22, 0xffff, v16
	v_or_b32_e32 v23, 0x10000, v16
	s_delay_alu instid0(VALU_DEP_2) | instskip(NEXT) | instid1(VALU_DEP_2)
	v_cmp_eq_u32_e32 vcc_lo, 0, v22
	v_cndmask_b32_e32 v22, v23, v16, vcc_lo
; %bb.50:                               ;   in Loop: Header=BB438_5 Depth=1
	s_or_b32 exec_lo, exec_lo, s23
	s_delay_alu instid0(VALU_DEP_1) | instskip(NEXT) | instid1(VALU_DEP_1)
	v_fma_mix_f32_bf16 v16, s38, v17, v22 op_sel:[0,0,1] op_sel_hi:[0,0,1]
	v_and_b32_e32 v17, 0x7f800000, v16
	s_delay_alu instid0(VALU_DEP_1) | instskip(SKIP_1) | instid1(SALU_CYCLE_1)
	v_cmp_ne_u32_e32 vcc_lo, 0x7f800000, v17
                                        ; implicit-def: $vgpr17
	s_and_saveexec_b32 s23, vcc_lo
	s_xor_b32 s23, exec_lo, s23
; %bb.51:                               ;   in Loop: Header=BB438_5 Depth=1
	v_bfe_u32 v17, v16, 16, 1
	s_delay_alu instid0(VALU_DEP_1)
	v_add3_u32 v17, v16, v17, 0x7fff
                                        ; implicit-def: $vgpr16
; %bb.52:                               ;   in Loop: Header=BB438_5 Depth=1
	s_and_not1_saveexec_b32 s23, s23
; %bb.53:                               ;   in Loop: Header=BB438_5 Depth=1
	v_and_b32_e32 v17, 0xffff, v16
	v_or_b32_e32 v22, 0x10000, v16
	s_delay_alu instid0(VALU_DEP_2) | instskip(NEXT) | instid1(VALU_DEP_2)
	v_cmp_eq_u32_e32 vcc_lo, 0, v17
	v_cndmask_b32_e32 v17, v22, v16, vcc_lo
; %bb.54:                               ;   in Loop: Header=BB438_5 Depth=1
	s_or_b32 exec_lo, exec_lo, s23
	v_lshl_add_u64 v[22:23], v[6:7], 1, v[20:21]
	global_store_d16_hi_b16 v[22:23], v17, off offset:32
	s_wait_xcnt 0x0
	s_or_b32 exec_lo, exec_lo, s22
	s_delay_alu instid0(SALU_CYCLE_1)
	s_and_b32 exec_lo, exec_lo, s5
	s_cbranch_execz .LBB438_3
.LBB438_55:                             ;   in Loop: Header=BB438_5 Depth=1
	v_lshlrev_b64_e32 v[16:17], 1, v[6:7]
	v_lshl_add_u64 v[18:19], s[10:11], 1, v[18:19]
	v_lshl_add_u64 v[20:21], s[6:7], 1, v[20:21]
	s_delay_alu instid0(VALU_DEP_2) | instskip(NEXT) | instid1(VALU_DEP_2)
	v_add_nc_u64_e32 v[18:19], v[18:19], v[16:17]
	v_add_nc_u64_e32 v[16:17], v[20:21], v[16:17]
	s_and_saveexec_b32 s22, s3
	s_cbranch_execz .LBB438_65
; %bb.56:                               ;   in Loop: Header=BB438_5 Depth=1
	global_load_u16 v20, v[18:19], off
	s_wait_loadcnt 0x0
	v_lshlrev_b32_e32 v20, 16, v20
	s_delay_alu instid0(VALU_DEP_1) | instskip(NEXT) | instid1(VALU_DEP_1)
	v_mul_f32_e32 v20, s39, v20
	v_and_b32_e32 v21, 0x7f800000, v20
	s_delay_alu instid0(VALU_DEP_1) | instskip(SKIP_2) | instid1(SALU_CYCLE_1)
	v_cmp_ne_u32_e32 vcc_lo, 0x7f800000, v21
                                        ; implicit-def: $vgpr21
	s_wait_xcnt 0x0
	s_and_saveexec_b32 s23, vcc_lo
	s_xor_b32 s23, exec_lo, s23
; %bb.57:                               ;   in Loop: Header=BB438_5 Depth=1
	v_bfe_u32 v21, v20, 16, 1
	s_delay_alu instid0(VALU_DEP_1)
	v_add3_u32 v21, v20, v21, 0x7fff
                                        ; implicit-def: $vgpr20
; %bb.58:                               ;   in Loop: Header=BB438_5 Depth=1
	s_and_not1_saveexec_b32 s23, s23
; %bb.59:                               ;   in Loop: Header=BB438_5 Depth=1
	v_and_b32_e32 v21, 0xffff, v20
	v_or_b32_e32 v22, 0x10000, v20
	s_delay_alu instid0(VALU_DEP_2) | instskip(NEXT) | instid1(VALU_DEP_2)
	v_cmp_eq_u32_e32 vcc_lo, 0, v21
	v_cndmask_b32_e32 v21, v22, v20, vcc_lo
; %bb.60:                               ;   in Loop: Header=BB438_5 Depth=1
	s_or_b32 exec_lo, exec_lo, s23
	s_delay_alu instid0(VALU_DEP_1) | instskip(NEXT) | instid1(VALU_DEP_1)
	v_fma_mix_f32_bf16 v14, s38, v14, v21 op_sel:[0,0,1] op_sel_hi:[0,0,1]
	v_and_b32_e32 v20, 0x7f800000, v14
	s_delay_alu instid0(VALU_DEP_1) | instskip(SKIP_1) | instid1(SALU_CYCLE_1)
	v_cmp_ne_u32_e32 vcc_lo, 0x7f800000, v20
                                        ; implicit-def: $vgpr20
	s_and_saveexec_b32 s23, vcc_lo
	s_xor_b32 s23, exec_lo, s23
; %bb.61:                               ;   in Loop: Header=BB438_5 Depth=1
	v_bfe_u32 v20, v14, 16, 1
	s_delay_alu instid0(VALU_DEP_1)
	v_add3_u32 v20, v14, v20, 0x7fff
                                        ; implicit-def: $vgpr14
; %bb.62:                               ;   in Loop: Header=BB438_5 Depth=1
	s_and_not1_saveexec_b32 s23, s23
; %bb.63:                               ;   in Loop: Header=BB438_5 Depth=1
	v_and_b32_e32 v20, 0xffff, v14
	v_or_b32_e32 v21, 0x10000, v14
	s_delay_alu instid0(VALU_DEP_2) | instskip(NEXT) | instid1(VALU_DEP_2)
	v_cmp_eq_u32_e32 vcc_lo, 0, v20
	v_cndmask_b32_e32 v20, v21, v14, vcc_lo
; %bb.64:                               ;   in Loop: Header=BB438_5 Depth=1
	s_or_b32 exec_lo, exec_lo, s23
	global_store_d16_hi_b16 v[16:17], v20, off
.LBB438_65:                             ;   in Loop: Header=BB438_5 Depth=1
	s_wait_xcnt 0x0
	s_or_b32 exec_lo, exec_lo, s22
	s_delay_alu instid0(SALU_CYCLE_1)
	s_and_b32 exec_lo, exec_lo, s4
	s_cbranch_execz .LBB438_3
; %bb.66:                               ;   in Loop: Header=BB438_5 Depth=1
	global_load_u16 v14, v[18:19], off offset:32
	s_wait_loadcnt 0x0
	v_lshlrev_b32_e32 v14, 16, v14
	s_delay_alu instid0(VALU_DEP_1) | instskip(SKIP_1) | instid1(VALU_DEP_1)
	v_mul_f32_e32 v14, s39, v14
	s_wait_xcnt 0x0
	v_and_b32_e32 v18, 0x7f800000, v14
	s_delay_alu instid0(VALU_DEP_1) | instskip(SKIP_1) | instid1(SALU_CYCLE_1)
	v_cmp_ne_u32_e32 vcc_lo, 0x7f800000, v18
                                        ; implicit-def: $vgpr18
	s_and_saveexec_b32 s22, vcc_lo
	s_xor_b32 s22, exec_lo, s22
; %bb.67:                               ;   in Loop: Header=BB438_5 Depth=1
	v_bfe_u32 v18, v14, 16, 1
	s_delay_alu instid0(VALU_DEP_1)
	v_add3_u32 v18, v14, v18, 0x7fff
                                        ; implicit-def: $vgpr14
; %bb.68:                               ;   in Loop: Header=BB438_5 Depth=1
	s_and_not1_saveexec_b32 s22, s22
; %bb.69:                               ;   in Loop: Header=BB438_5 Depth=1
	v_and_b32_e32 v18, 0xffff, v14
	v_or_b32_e32 v19, 0x10000, v14
	s_delay_alu instid0(VALU_DEP_2) | instskip(NEXT) | instid1(VALU_DEP_2)
	v_cmp_eq_u32_e32 vcc_lo, 0, v18
	v_cndmask_b32_e32 v18, v19, v14, vcc_lo
; %bb.70:                               ;   in Loop: Header=BB438_5 Depth=1
	s_or_b32 exec_lo, exec_lo, s22
	s_delay_alu instid0(VALU_DEP_1) | instskip(NEXT) | instid1(VALU_DEP_1)
	v_fma_mix_f32_bf16 v14, s38, v15, v18 op_sel:[0,0,1] op_sel_hi:[0,0,1]
	v_and_b32_e32 v15, 0x7f800000, v14
	s_delay_alu instid0(VALU_DEP_1) | instskip(SKIP_1) | instid1(SALU_CYCLE_1)
	v_cmp_ne_u32_e32 vcc_lo, 0x7f800000, v15
                                        ; implicit-def: $vgpr15
	s_and_saveexec_b32 s22, vcc_lo
	s_xor_b32 s22, exec_lo, s22
; %bb.71:                               ;   in Loop: Header=BB438_5 Depth=1
	v_bfe_u32 v15, v14, 16, 1
	s_delay_alu instid0(VALU_DEP_1)
	v_add3_u32 v15, v14, v15, 0x7fff
                                        ; implicit-def: $vgpr14
; %bb.72:                               ;   in Loop: Header=BB438_5 Depth=1
	s_and_not1_saveexec_b32 s22, s22
	s_cbranch_execz .LBB438_2
; %bb.73:                               ;   in Loop: Header=BB438_5 Depth=1
	v_and_b32_e32 v15, 0xffff, v14
	v_or_b32_e32 v18, 0x10000, v14
	s_delay_alu instid0(VALU_DEP_2) | instskip(NEXT) | instid1(VALU_DEP_2)
	v_cmp_eq_u32_e32 vcc_lo, 0, v15
	v_cndmask_b32_e32 v15, v18, v14, vcc_lo
	s_branch .LBB438_2
.LBB438_74:
	s_endpgm
	.section	.rodata,"a",@progbits
	.p2align	6, 0x0
	.amdhsa_kernel _ZN12_GLOBAL__N_135rocblas_gemm_batched_general_kernelIfLi16ELi16ELi32ELi32ELi8ELi32ELi8ELi8ELi32ELc78ELc84EK16rocblas_bfloat16S2_S1_EEvlllT_PT11_llS5_llS3_PT12_llPT13_lli
		.amdhsa_group_segment_fixed_size 2048
		.amdhsa_private_segment_fixed_size 0
		.amdhsa_kernarg_size 140
		.amdhsa_user_sgpr_count 2
		.amdhsa_user_sgpr_dispatch_ptr 0
		.amdhsa_user_sgpr_queue_ptr 0
		.amdhsa_user_sgpr_kernarg_segment_ptr 1
		.amdhsa_user_sgpr_dispatch_id 0
		.amdhsa_user_sgpr_kernarg_preload_length 0
		.amdhsa_user_sgpr_kernarg_preload_offset 0
		.amdhsa_user_sgpr_private_segment_size 0
		.amdhsa_wavefront_size32 1
		.amdhsa_uses_dynamic_stack 0
		.amdhsa_enable_private_segment 0
		.amdhsa_system_sgpr_workgroup_id_x 1
		.amdhsa_system_sgpr_workgroup_id_y 1
		.amdhsa_system_sgpr_workgroup_id_z 1
		.amdhsa_system_sgpr_workgroup_info 0
		.amdhsa_system_vgpr_workitem_id 1
		.amdhsa_next_free_vgpr 52
		.amdhsa_next_free_sgpr 45
		.amdhsa_named_barrier_count 0
		.amdhsa_reserve_vcc 1
		.amdhsa_float_round_mode_32 0
		.amdhsa_float_round_mode_16_64 0
		.amdhsa_float_denorm_mode_32 3
		.amdhsa_float_denorm_mode_16_64 3
		.amdhsa_fp16_overflow 0
		.amdhsa_memory_ordered 1
		.amdhsa_forward_progress 1
		.amdhsa_inst_pref_size 23
		.amdhsa_round_robin_scheduling 0
		.amdhsa_exception_fp_ieee_invalid_op 0
		.amdhsa_exception_fp_denorm_src 0
		.amdhsa_exception_fp_ieee_div_zero 0
		.amdhsa_exception_fp_ieee_overflow 0
		.amdhsa_exception_fp_ieee_underflow 0
		.amdhsa_exception_fp_ieee_inexact 0
		.amdhsa_exception_int_div_zero 0
	.end_amdhsa_kernel
	.section	.text._ZN12_GLOBAL__N_135rocblas_gemm_batched_general_kernelIfLi16ELi16ELi32ELi32ELi8ELi32ELi8ELi8ELi32ELc78ELc84EK16rocblas_bfloat16S2_S1_EEvlllT_PT11_llS5_llS3_PT12_llPT13_lli,"axG",@progbits,_ZN12_GLOBAL__N_135rocblas_gemm_batched_general_kernelIfLi16ELi16ELi32ELi32ELi8ELi32ELi8ELi8ELi32ELc78ELc84EK16rocblas_bfloat16S2_S1_EEvlllT_PT11_llS5_llS3_PT12_llPT13_lli,comdat
.Lfunc_end438:
	.size	_ZN12_GLOBAL__N_135rocblas_gemm_batched_general_kernelIfLi16ELi16ELi32ELi32ELi8ELi32ELi8ELi8ELi32ELc78ELc84EK16rocblas_bfloat16S2_S1_EEvlllT_PT11_llS5_llS3_PT12_llPT13_lli, .Lfunc_end438-_ZN12_GLOBAL__N_135rocblas_gemm_batched_general_kernelIfLi16ELi16ELi32ELi32ELi8ELi32ELi8ELi8ELi32ELc78ELc84EK16rocblas_bfloat16S2_S1_EEvlllT_PT11_llS5_llS3_PT12_llPT13_lli
                                        ; -- End function
	.set _ZN12_GLOBAL__N_135rocblas_gemm_batched_general_kernelIfLi16ELi16ELi32ELi32ELi8ELi32ELi8ELi8ELi32ELc78ELc84EK16rocblas_bfloat16S2_S1_EEvlllT_PT11_llS5_llS3_PT12_llPT13_lli.num_vgpr, 52
	.set _ZN12_GLOBAL__N_135rocblas_gemm_batched_general_kernelIfLi16ELi16ELi32ELi32ELi8ELi32ELi8ELi8ELi32ELc78ELc84EK16rocblas_bfloat16S2_S1_EEvlllT_PT11_llS5_llS3_PT12_llPT13_lli.num_agpr, 0
	.set _ZN12_GLOBAL__N_135rocblas_gemm_batched_general_kernelIfLi16ELi16ELi32ELi32ELi8ELi32ELi8ELi8ELi32ELc78ELc84EK16rocblas_bfloat16S2_S1_EEvlllT_PT11_llS5_llS3_PT12_llPT13_lli.numbered_sgpr, 45
	.set _ZN12_GLOBAL__N_135rocblas_gemm_batched_general_kernelIfLi16ELi16ELi32ELi32ELi8ELi32ELi8ELi8ELi32ELc78ELc84EK16rocblas_bfloat16S2_S1_EEvlllT_PT11_llS5_llS3_PT12_llPT13_lli.num_named_barrier, 0
	.set _ZN12_GLOBAL__N_135rocblas_gemm_batched_general_kernelIfLi16ELi16ELi32ELi32ELi8ELi32ELi8ELi8ELi32ELc78ELc84EK16rocblas_bfloat16S2_S1_EEvlllT_PT11_llS5_llS3_PT12_llPT13_lli.private_seg_size, 0
	.set _ZN12_GLOBAL__N_135rocblas_gemm_batched_general_kernelIfLi16ELi16ELi32ELi32ELi8ELi32ELi8ELi8ELi32ELc78ELc84EK16rocblas_bfloat16S2_S1_EEvlllT_PT11_llS5_llS3_PT12_llPT13_lli.uses_vcc, 1
	.set _ZN12_GLOBAL__N_135rocblas_gemm_batched_general_kernelIfLi16ELi16ELi32ELi32ELi8ELi32ELi8ELi8ELi32ELc78ELc84EK16rocblas_bfloat16S2_S1_EEvlllT_PT11_llS5_llS3_PT12_llPT13_lli.uses_flat_scratch, 0
	.set _ZN12_GLOBAL__N_135rocblas_gemm_batched_general_kernelIfLi16ELi16ELi32ELi32ELi8ELi32ELi8ELi8ELi32ELc78ELc84EK16rocblas_bfloat16S2_S1_EEvlllT_PT11_llS5_llS3_PT12_llPT13_lli.has_dyn_sized_stack, 0
	.set _ZN12_GLOBAL__N_135rocblas_gemm_batched_general_kernelIfLi16ELi16ELi32ELi32ELi8ELi32ELi8ELi8ELi32ELc78ELc84EK16rocblas_bfloat16S2_S1_EEvlllT_PT11_llS5_llS3_PT12_llPT13_lli.has_recursion, 0
	.set _ZN12_GLOBAL__N_135rocblas_gemm_batched_general_kernelIfLi16ELi16ELi32ELi32ELi8ELi32ELi8ELi8ELi32ELc78ELc84EK16rocblas_bfloat16S2_S1_EEvlllT_PT11_llS5_llS3_PT12_llPT13_lli.has_indirect_call, 0
	.section	.AMDGPU.csdata,"",@progbits
; Kernel info:
; codeLenInByte = 2852
; TotalNumSgprs: 47
; NumVgprs: 52
; ScratchSize: 0
; MemoryBound: 0
; FloatMode: 240
; IeeeMode: 1
; LDSByteSize: 2048 bytes/workgroup (compile time only)
; SGPRBlocks: 0
; VGPRBlocks: 3
; NumSGPRsForWavesPerEU: 47
; NumVGPRsForWavesPerEU: 52
; NamedBarCnt: 0
; Occupancy: 16
; WaveLimiterHint : 0
; COMPUTE_PGM_RSRC2:SCRATCH_EN: 0
; COMPUTE_PGM_RSRC2:USER_SGPR: 2
; COMPUTE_PGM_RSRC2:TRAP_HANDLER: 0
; COMPUTE_PGM_RSRC2:TGID_X_EN: 1
; COMPUTE_PGM_RSRC2:TGID_Y_EN: 1
; COMPUTE_PGM_RSRC2:TGID_Z_EN: 1
; COMPUTE_PGM_RSRC2:TIDIG_COMP_CNT: 1
	.section	.text._ZN12_GLOBAL__N_135rocblas_gemm_batched_general_kernelIfLi16ELi16ELi32ELi32ELi8ELi32ELi8ELi8ELi32ELc84ELc84EK16rocblas_bfloat16S2_S1_EEvlllT_PT11_llS5_llS3_PT12_llPT13_lli,"axG",@progbits,_ZN12_GLOBAL__N_135rocblas_gemm_batched_general_kernelIfLi16ELi16ELi32ELi32ELi8ELi32ELi8ELi8ELi32ELc84ELc84EK16rocblas_bfloat16S2_S1_EEvlllT_PT11_llS5_llS3_PT12_llPT13_lli,comdat
	.globl	_ZN12_GLOBAL__N_135rocblas_gemm_batched_general_kernelIfLi16ELi16ELi32ELi32ELi8ELi32ELi8ELi8ELi32ELc84ELc84EK16rocblas_bfloat16S2_S1_EEvlllT_PT11_llS5_llS3_PT12_llPT13_lli ; -- Begin function _ZN12_GLOBAL__N_135rocblas_gemm_batched_general_kernelIfLi16ELi16ELi32ELi32ELi8ELi32ELi8ELi8ELi32ELc84ELc84EK16rocblas_bfloat16S2_S1_EEvlllT_PT11_llS5_llS3_PT12_llPT13_lli
	.p2align	8
	.type	_ZN12_GLOBAL__N_135rocblas_gemm_batched_general_kernelIfLi16ELi16ELi32ELi32ELi8ELi32ELi8ELi8ELi32ELc84ELc84EK16rocblas_bfloat16S2_S1_EEvlllT_PT11_llS5_llS3_PT12_llPT13_lli,@function
_ZN12_GLOBAL__N_135rocblas_gemm_batched_general_kernelIfLi16ELi16ELi32ELi32ELi8ELi32ELi8ELi8ELi32ELc84ELc84EK16rocblas_bfloat16S2_S1_EEvlllT_PT11_llS5_llS3_PT12_llPT13_lli: ; @_ZN12_GLOBAL__N_135rocblas_gemm_batched_general_kernelIfLi16ELi16ELi32ELi32ELi8ELi32ELi8ELi8ELi32ELc84ELc84EK16rocblas_bfloat16S2_S1_EEvlllT_PT11_llS5_llS3_PT12_llPT13_lli
; %bb.0:
	s_load_b32 s33, s[0:1], 0x88
	s_bfe_u32 s2, ttmp6, 0x40014
	s_lshr_b32 s3, ttmp7, 16
	s_add_co_i32 s2, s2, 1
	s_bfe_u32 s5, ttmp6, 0x40008
	s_mul_i32 s4, s3, s2
	s_getreg_b32 s2, hwreg(HW_REG_IB_STS2, 6, 4)
	s_add_co_i32 s5, s5, s4
	s_cmp_eq_u32 s2, 0
	s_mov_b32 s35, 0
	s_cselect_b32 s34, s3, s5
	s_wait_kmcnt 0x0
	s_cmp_ge_i32 s34, s33
	s_cbranch_scc1 .LBB439_74
; %bb.1:
	s_clause 0x4
	s_load_b128 s[4:7], s[0:1], 0x0
	s_load_b256 s[16:23], s[0:1], 0x20
	s_load_b128 s[28:31], s[0:1], 0x40
	s_load_b32 s39, s[0:1], 0x50
	s_load_b256 s[8:15], s[0:1], 0x58
	v_bfe_u32 v8, v0, 10, 10
	v_and_b32_e32 v10, 0x3ff, v0
	v_dual_mov_b32 v9, 0 :: v_dual_bitop2_b32 v0, 7, v0 bitop3:0x40
	s_bfe_u32 s3, ttmp6, 0x4000c
	s_bfe_u32 s25, ttmp6, 0x40010
	s_add_co_i32 s3, s3, 1
	s_and_b32 s26, ttmp7, 0xffff
	s_add_co_i32 s25, s25, 1
	s_and_b32 s24, ttmp6, 15
	s_mul_i32 s3, ttmp9, s3
	s_mul_i32 s25, s26, s25
	s_bfe_u32 s27, ttmp6, 0x40004
	v_lshl_add_u32 v2, v8, 4, v10
	v_mov_b32_e32 v1, v9
	s_add_co_i32 s24, s24, s3
	s_add_co_i32 s27, s27, s25
	s_cmp_eq_u32 s2, 0
	v_and_b32_e32 v3, 31, v2
	s_cselect_b32 s2, ttmp9, s24
	s_wait_kmcnt 0x0
	v_mul_u64_e32 v[12:13], s[28:29], v[0:1]
	s_cselect_b32 s42, s26, s27
	s_ashr_i32 s3, s2, 31
	s_clause 0x1
	s_load_b128 s[24:27], s[0:1], 0x78
	s_load_b96 s[36:38], s[0:1], 0x10
	s_lshl_b64 s[2:3], s[2:3], 5
	s_lshl_b32 s40, s42, 5
	v_dual_mov_b32 v5, s3 :: v_dual_bitop2_b32 v4, s2, v3 bitop3:0x54
	s_mov_b32 s41, s35
	v_dual_mov_b32 v17, v9 :: v_dual_lshrrev_b32 v16, 3, v2
	v_add_nc_u64_e32 v[14:15], s[40:41], v[8:9]
	s_delay_alu instid0(VALU_DEP_3)
	v_mul_u64_e32 v[18:19], s[18:19], v[4:5]
	s_wait_xcnt 0x0
	v_cmp_gt_i64_e64 s0, s[4:5], v[4:5]
	v_dual_mov_b32 v11, v9 :: v_dual_lshrrev_b32 v2, 5, v2
	v_add_nc_u64_e32 v[6:7], s[40:41], v[16:17]
	s_cmp_eq_f32 s39, 0
	v_mul_u64_e32 v[20:21], s[10:11], v[14:15]
	v_dual_lshlrev_b32 v17, 2, v0 :: v_dual_lshlrev_b32 v27, 2, v10
	s_cselect_b32 s40, -1, 0
	s_wait_kmcnt 0x0
	v_mul_u64_e32 v[4:5], s[24:25], v[14:15]
	v_cmp_gt_i64_e64 s1, s[6:7], v[6:7]
	v_add_nc_u64_e32 v[6:7], s[2:3], v[10:11]
	s_lshl_b32 s2, s42, 6
	s_mov_b32 s3, s35
	v_lshl_add_u32 v25, v8, 5, 0x400
	v_dual_lshlrev_b32 v8, 1, v16 :: v_dual_lshlrev_b32 v22, 2, v3
	v_mov_b32_e32 v3, v9
	v_lshl_add_u64 v[12:13], v[12:13], 1, s[2:3]
	v_lshl_or_b32 v17, v16, 5, v17
	v_cmp_gt_i64_e64 s2, s[6:7], v[14:15]
	v_lshl_or_b32 v24, v2, 7, v22
	v_add_nc_u64_e32 v[22:23], 16, v[14:15]
	v_add_nc_u64_e32 v[10:11], v[12:13], v[8:9]
	v_lshlrev_b32_e32 v8, 1, v2
	v_add_nc_u32_e32 v26, 0x400, v17
	v_add_nc_u64_e32 v[16:17], 16, v[6:7]
	v_cmp_gt_i64_e64 s3, s[4:5], v[6:7]
	s_lshl_b64 s[10:11], s[10:11], 4
	s_lshl_b64 s[18:19], s[20:21], 1
	v_add_nc_u64_e32 v[10:11], s[22:23], v[10:11]
	v_lshl_add_u64 v[12:13], v[18:19], 1, v[8:9]
	v_cmp_gt_i64_e64 s22, s[36:37], 0
	v_cmp_gt_i64_e64 s4, s[4:5], v[16:17]
	;; [unrolled: 1-line block ×3, first 2 shown]
	s_lshl_b64 s[6:7], s[24:25], 4
	v_add_nc_u64_e32 v[12:13], s[16:17], v[12:13]
	v_lshl_add_u64 v[8:9], v[20:21], 1, s[8:9]
	s_lshl_b64 s[8:9], s[30:31], 1
	s_lshl_b64 s[16:17], s[28:29], 4
	s_branch .LBB439_5
.LBB439_2:                              ;   in Loop: Header=BB439_5 Depth=1
	s_or_b32 exec_lo, exec_lo, s20
	global_store_d16_hi_b16 v[16:17], v15, off offset:32
.LBB439_3:                              ;   in Loop: Header=BB439_5 Depth=1
	s_wait_xcnt 0x0
	s_or_b32 exec_lo, exec_lo, s23
.LBB439_4:                              ;   in Loop: Header=BB439_5 Depth=1
	s_add_co_i32 s34, s34, 0x10000
	s_delay_alu instid0(SALU_CYCLE_1)
	s_cmp_lt_i32 s34, s33
	s_cbranch_scc0 .LBB439_74
.LBB439_5:                              ; =>This Loop Header: Depth=1
                                        ;     Child Loop BB439_8 Depth 2
	v_dual_mov_b32 v17, 0 :: v_dual_mov_b32 v16, 0
	v_dual_mov_b32 v15, 0 :: v_dual_mov_b32 v14, 0
	s_and_not1_b32 vcc_lo, exec_lo, s22
	s_cbranch_vccnz .LBB439_12
; %bb.6:                                ;   in Loop: Header=BB439_5 Depth=1
	v_mad_nc_u64_u32 v[18:19], s8, s34, v[10:11]
	v_mad_nc_u64_u32 v[20:21], s18, s34, v[12:13]
	v_mov_b32_e32 v16, 0
	s_mov_b64 s[20:21], 0
	s_delay_alu instid0(VALU_DEP_1)
	v_dual_mov_b32 v17, v16 :: v_dual_mov_b32 v14, v16
	v_mov_b32_e32 v15, v16
	v_mad_u32 v19, s9, s34, v19
	v_mad_u32 v21, s19, s34, v21
	s_branch .LBB439_8
.LBB439_7:                              ;   in Loop: Header=BB439_8 Depth=2
	s_wait_xcnt 0x0
	s_or_b32 exec_lo, exec_lo, s23
	ds_store_b32 v26, v23
	s_wait_dscnt 0x0
	s_barrier_signal -1
	s_barrier_wait -1
	ds_load_b128 v[28:31], v25
	ds_load_2addr_b32 v[22:23], v27 offset1:16
	ds_load_b128 v[32:35], v25 offset:512
	ds_load_2addr_b32 v[44:45], v27 offset0:32 offset1:48
	ds_load_2addr_b32 v[46:47], v27 offset0:64 offset1:80
	;; [unrolled: 1-line block ×3, first 2 shown]
	ds_load_b128 v[36:39], v25 offset:16
	ds_load_2addr_b32 v[50:51], v27 offset0:128 offset1:144
	ds_load_b128 v[40:43], v25 offset:528
	s_add_nc_u64 s[20:21], s[20:21], 8
	v_add_nc_u64_e32 v[18:19], s[16:17], v[18:19]
	v_cmp_lt_i64_e64 s23, s[20:21], s[36:37]
	v_add_nc_u64_e32 v[20:21], 16, v[20:21]
	s_and_b32 vcc_lo, exec_lo, s23
	s_wait_dscnt 0x7
	v_pk_fma_f32 v[16:17], v[22:23], v[28:29], v[16:17] op_sel_hi:[1,0,1]
	s_wait_dscnt 0x6
	v_pk_fma_f32 v[14:15], v[22:23], v[32:33], v[14:15] op_sel_hi:[1,0,1]
	ds_load_2addr_b32 v[22:23], v27 offset0:160 offset1:176
	s_wait_dscnt 0x6
	v_pk_fma_f32 v[16:17], v[44:45], v[28:29], v[16:17] op_sel:[0,1,0]
	v_pk_fma_f32 v[14:15], v[44:45], v[32:33], v[14:15] op_sel:[0,1,0]
	ds_load_2addr_b32 v[28:29], v27 offset0:192 offset1:208
	v_dual_mov_b32 v32, v31 :: v_dual_mov_b32 v44, v35
	s_wait_dscnt 0x6
	v_pk_fma_f32 v[16:17], v[46:47], v[30:31], v[16:17] op_sel_hi:[1,0,1]
	v_pk_fma_f32 v[14:15], v[46:47], v[34:35], v[14:15] op_sel_hi:[1,0,1]
	ds_load_2addr_b32 v[30:31], v27 offset0:224 offset1:240
	s_wait_dscnt 0x0
	s_barrier_signal -1
	v_pk_fma_f32 v[16:17], v[48:49], v[32:33], v[16:17] op_sel_hi:[1,0,1]
	v_pk_fma_f32 v[14:15], v[48:49], v[44:45], v[14:15] op_sel_hi:[1,0,1]
	s_barrier_wait -1
	v_mov_b32_e32 v32, v43
	s_delay_alu instid0(VALU_DEP_3) | instskip(NEXT) | instid1(VALU_DEP_3)
	v_pk_fma_f32 v[16:17], v[50:51], v[36:37], v[16:17] op_sel_hi:[1,0,1]
	v_pk_fma_f32 v[14:15], v[50:51], v[40:41], v[14:15] op_sel_hi:[1,0,1]
	s_delay_alu instid0(VALU_DEP_2) | instskip(NEXT) | instid1(VALU_DEP_2)
	v_pk_fma_f32 v[16:17], v[22:23], v[36:37], v[16:17] op_sel:[0,1,0]
	v_pk_fma_f32 v[14:15], v[22:23], v[40:41], v[14:15] op_sel:[0,1,0]
	v_mov_b32_e32 v22, v39
	s_delay_alu instid0(VALU_DEP_3) | instskip(NEXT) | instid1(VALU_DEP_3)
	v_pk_fma_f32 v[16:17], v[28:29], v[38:39], v[16:17] op_sel_hi:[1,0,1]
	v_pk_fma_f32 v[14:15], v[28:29], v[42:43], v[14:15] op_sel_hi:[1,0,1]
	s_delay_alu instid0(VALU_DEP_2) | instskip(NEXT) | instid1(VALU_DEP_2)
	v_pk_fma_f32 v[16:17], v[30:31], v[22:23], v[16:17] op_sel_hi:[1,0,1]
	v_pk_fma_f32 v[14:15], v[30:31], v[32:33], v[14:15] op_sel_hi:[1,0,1]
	s_cbranch_vccz .LBB439_12
.LBB439_8:                              ;   Parent Loop BB439_5 Depth=1
                                        ; =>  This Inner Loop Header: Depth=2
	v_add_nc_u64_e32 v[22:23], s[20:21], v[2:3]
	s_delay_alu instid0(VALU_DEP_1) | instskip(SKIP_2) | instid1(SALU_CYCLE_1)
	v_cmp_gt_i64_e32 vcc_lo, s[36:37], v[22:23]
	v_mov_b32_e32 v22, 0
	s_and_b32 s24, s0, vcc_lo
	s_and_saveexec_b32 s23, s24
	s_cbranch_execz .LBB439_10
; %bb.9:                                ;   in Loop: Header=BB439_8 Depth=2
	global_load_u16 v22, v[20:21], off
	s_wait_loadcnt 0x0
	v_lshlrev_b32_e32 v22, 16, v22
.LBB439_10:                             ;   in Loop: Header=BB439_8 Depth=2
	s_wait_xcnt 0x0
	s_or_b32 exec_lo, exec_lo, s23
	v_add_nc_u64_e32 v[28:29], s[20:21], v[0:1]
	v_mov_b32_e32 v23, 0
	ds_store_b32 v24, v22
	v_cmp_gt_i64_e32 vcc_lo, s[36:37], v[28:29]
	s_and_b32 s24, vcc_lo, s1
	s_delay_alu instid0(SALU_CYCLE_1)
	s_and_saveexec_b32 s23, s24
	s_cbranch_execz .LBB439_7
; %bb.11:                               ;   in Loop: Header=BB439_8 Depth=2
	global_load_u16 v22, v[18:19], off
	s_wait_loadcnt 0x0
	v_lshlrev_b32_e32 v23, 16, v22
	s_branch .LBB439_7
.LBB439_12:                             ;   in Loop: Header=BB439_5 Depth=1
	s_mul_u64 s[20:21], s[26:27], s[34:35]
	s_and_not1_b32 vcc_lo, exec_lo, s40
	s_lshl_b64 s[20:21], s[20:21], 1
	s_delay_alu instid0(SALU_CYCLE_1)
	s_add_nc_u64 s[20:21], s[14:15], s[20:21]
	s_cbranch_vccnz .LBB439_17
; %bb.13:                               ;   in Loop: Header=BB439_5 Depth=1
	s_and_saveexec_b32 s23, s2
	s_cbranch_execz .LBB439_32
; %bb.14:                               ;   in Loop: Header=BB439_5 Depth=1
	v_lshl_add_u64 v[18:19], v[4:5], 1, s[20:21]
	s_and_saveexec_b32 s24, s3
	s_cbranch_execnz .LBB439_18
; %bb.15:                               ;   in Loop: Header=BB439_5 Depth=1
	s_or_b32 exec_lo, exec_lo, s24
	s_and_saveexec_b32 s24, s4
	s_cbranch_execnz .LBB439_23
.LBB439_16:                             ;   in Loop: Header=BB439_5 Depth=1
	s_or_b32 exec_lo, exec_lo, s24
	s_delay_alu instid0(SALU_CYCLE_1)
	s_and_b32 exec_lo, exec_lo, s5
	s_cbranch_execnz .LBB439_28
	s_branch .LBB439_32
.LBB439_17:                             ;   in Loop: Header=BB439_5 Depth=1
	s_branch .LBB439_33
.LBB439_18:                             ;   in Loop: Header=BB439_5 Depth=1
	v_mul_f32_e32 v20, s38, v16
	s_delay_alu instid0(VALU_DEP_1) | instskip(NEXT) | instid1(VALU_DEP_1)
	v_and_b32_e32 v21, 0x7f800000, v20
	v_cmp_ne_u32_e32 vcc_lo, 0x7f800000, v21
                                        ; implicit-def: $vgpr21
	s_and_saveexec_b32 s25, vcc_lo
	s_delay_alu instid0(SALU_CYCLE_1)
	s_xor_b32 s25, exec_lo, s25
; %bb.19:                               ;   in Loop: Header=BB439_5 Depth=1
	v_bfe_u32 v21, v20, 16, 1
	s_delay_alu instid0(VALU_DEP_1)
	v_add3_u32 v21, v20, v21, 0x7fff
                                        ; implicit-def: $vgpr20
; %bb.20:                               ;   in Loop: Header=BB439_5 Depth=1
	s_and_not1_saveexec_b32 s25, s25
; %bb.21:                               ;   in Loop: Header=BB439_5 Depth=1
	v_and_b32_e32 v21, 0xffff, v20
	v_or_b32_e32 v22, 0x10000, v20
	s_delay_alu instid0(VALU_DEP_2) | instskip(NEXT) | instid1(VALU_DEP_2)
	v_cmp_eq_u32_e32 vcc_lo, 0, v21
	v_cndmask_b32_e32 v21, v22, v20, vcc_lo
; %bb.22:                               ;   in Loop: Header=BB439_5 Depth=1
	s_or_b32 exec_lo, exec_lo, s25
	v_lshl_add_u64 v[22:23], v[6:7], 1, v[18:19]
	global_store_d16_hi_b16 v[22:23], v21, off
	s_wait_xcnt 0x0
	s_or_b32 exec_lo, exec_lo, s24
	s_and_saveexec_b32 s24, s4
	s_cbranch_execz .LBB439_16
.LBB439_23:                             ;   in Loop: Header=BB439_5 Depth=1
	v_mul_f32_e32 v20, s38, v17
	s_delay_alu instid0(VALU_DEP_1) | instskip(NEXT) | instid1(VALU_DEP_1)
	v_and_b32_e32 v21, 0x7f800000, v20
	v_cmp_ne_u32_e32 vcc_lo, 0x7f800000, v21
                                        ; implicit-def: $vgpr21
	s_and_saveexec_b32 s25, vcc_lo
	s_delay_alu instid0(SALU_CYCLE_1)
	s_xor_b32 s25, exec_lo, s25
; %bb.24:                               ;   in Loop: Header=BB439_5 Depth=1
	v_bfe_u32 v21, v20, 16, 1
	s_delay_alu instid0(VALU_DEP_1)
	v_add3_u32 v21, v20, v21, 0x7fff
                                        ; implicit-def: $vgpr20
; %bb.25:                               ;   in Loop: Header=BB439_5 Depth=1
	s_and_not1_saveexec_b32 s25, s25
; %bb.26:                               ;   in Loop: Header=BB439_5 Depth=1
	v_and_b32_e32 v21, 0xffff, v20
	v_or_b32_e32 v22, 0x10000, v20
	s_delay_alu instid0(VALU_DEP_2) | instskip(NEXT) | instid1(VALU_DEP_2)
	v_cmp_eq_u32_e32 vcc_lo, 0, v21
	v_cndmask_b32_e32 v21, v22, v20, vcc_lo
; %bb.27:                               ;   in Loop: Header=BB439_5 Depth=1
	s_or_b32 exec_lo, exec_lo, s25
	v_lshl_add_u64 v[22:23], v[6:7], 1, v[18:19]
	global_store_d16_hi_b16 v[22:23], v21, off offset:32
	s_wait_xcnt 0x0
	s_or_b32 exec_lo, exec_lo, s24
	s_delay_alu instid0(SALU_CYCLE_1)
	s_and_b32 exec_lo, exec_lo, s5
	s_cbranch_execz .LBB439_32
.LBB439_28:                             ;   in Loop: Header=BB439_5 Depth=1
	v_lshl_add_u64 v[18:19], s[6:7], 1, v[18:19]
	s_delay_alu instid0(VALU_DEP_1)
	v_lshl_add_u64 v[18:19], v[6:7], 1, v[18:19]
	s_and_saveexec_b32 s24, s3
	s_cbranch_execz .LBB439_30
; %bb.29:                               ;   in Loop: Header=BB439_5 Depth=1
	v_mul_f32_e32 v20, s38, v14
	s_delay_alu instid0(VALU_DEP_1) | instskip(SKIP_3) | instid1(VALU_DEP_4)
	v_and_b32_e32 v22, 0xffff, v20
	v_bfe_u32 v21, v20, 16, 1
	v_or_b32_e32 v23, 0x10000, v20
	v_and_b32_e32 v28, 0x7f800000, v20
	v_cmp_eq_u32_e32 vcc_lo, 0, v22
	s_delay_alu instid0(VALU_DEP_4) | instskip(NEXT) | instid1(VALU_DEP_4)
	v_add3_u32 v21, v20, v21, 0x7fff
	v_cndmask_b32_e32 v20, v23, v20, vcc_lo
	s_delay_alu instid0(VALU_DEP_4) | instskip(NEXT) | instid1(VALU_DEP_2)
	v_cmp_eq_u32_e32 vcc_lo, 0x7f800000, v28
	v_cndmask_b32_e32 v20, v21, v20, vcc_lo
	global_store_d16_hi_b16 v[18:19], v20, off
.LBB439_30:                             ;   in Loop: Header=BB439_5 Depth=1
	s_wait_xcnt 0x0
	s_or_b32 exec_lo, exec_lo, s24
	s_delay_alu instid0(SALU_CYCLE_1)
	s_and_b32 exec_lo, exec_lo, s4
	s_cbranch_execz .LBB439_32
; %bb.31:                               ;   in Loop: Header=BB439_5 Depth=1
	v_mul_f32_e32 v20, s38, v15
	s_delay_alu instid0(VALU_DEP_1) | instskip(SKIP_3) | instid1(VALU_DEP_4)
	v_and_b32_e32 v22, 0xffff, v20
	v_bfe_u32 v21, v20, 16, 1
	v_or_b32_e32 v23, 0x10000, v20
	v_and_b32_e32 v28, 0x7f800000, v20
	v_cmp_eq_u32_e32 vcc_lo, 0, v22
	s_delay_alu instid0(VALU_DEP_4) | instskip(NEXT) | instid1(VALU_DEP_4)
	v_add3_u32 v21, v20, v21, 0x7fff
	v_cndmask_b32_e32 v20, v23, v20, vcc_lo
	s_delay_alu instid0(VALU_DEP_4) | instskip(NEXT) | instid1(VALU_DEP_2)
	v_cmp_eq_u32_e32 vcc_lo, 0x7f800000, v28
	v_cndmask_b32_e32 v20, v21, v20, vcc_lo
	global_store_d16_hi_b16 v[18:19], v20, off offset:32
.LBB439_32:                             ;   in Loop: Header=BB439_5 Depth=1
	s_wait_xcnt 0x0
	s_or_b32 exec_lo, exec_lo, s23
	s_cbranch_execnz .LBB439_4
.LBB439_33:                             ;   in Loop: Header=BB439_5 Depth=1
	s_and_saveexec_b32 s23, s2
	s_cbranch_execz .LBB439_3
; %bb.34:                               ;   in Loop: Header=BB439_5 Depth=1
	s_mul_u64 s[24:25], s[12:13], s[34:35]
	v_lshl_add_u64 v[20:21], v[4:5], 1, s[20:21]
	v_lshl_add_u64 v[18:19], s[24:25], 1, v[8:9]
	s_delay_alu instid0(VALU_DEP_1)
	v_lshl_add_u64 v[22:23], v[6:7], 1, v[18:19]
	s_and_saveexec_b32 s20, s3
	s_cbranch_execnz .LBB439_37
; %bb.35:                               ;   in Loop: Header=BB439_5 Depth=1
	s_or_b32 exec_lo, exec_lo, s20
	s_and_saveexec_b32 s20, s4
	s_cbranch_execnz .LBB439_46
.LBB439_36:                             ;   in Loop: Header=BB439_5 Depth=1
	s_or_b32 exec_lo, exec_lo, s20
	s_delay_alu instid0(SALU_CYCLE_1)
	s_and_b32 exec_lo, exec_lo, s5
	s_cbranch_execz .LBB439_3
	s_branch .LBB439_55
.LBB439_37:                             ;   in Loop: Header=BB439_5 Depth=1
	global_load_u16 v28, v[22:23], off
	s_wait_loadcnt 0x0
	v_lshlrev_b32_e32 v28, 16, v28
	s_delay_alu instid0(VALU_DEP_1) | instskip(NEXT) | instid1(VALU_DEP_1)
	v_mul_f32_e32 v28, s39, v28
	v_and_b32_e32 v29, 0x7f800000, v28
	s_delay_alu instid0(VALU_DEP_1) | instskip(SKIP_2) | instid1(SALU_CYCLE_1)
	v_cmp_ne_u32_e32 vcc_lo, 0x7f800000, v29
                                        ; implicit-def: $vgpr29
	s_wait_xcnt 0x0
	s_and_saveexec_b32 s21, vcc_lo
	s_xor_b32 s21, exec_lo, s21
; %bb.38:                               ;   in Loop: Header=BB439_5 Depth=1
	v_bfe_u32 v29, v28, 16, 1
	s_delay_alu instid0(VALU_DEP_1)
	v_add3_u32 v29, v28, v29, 0x7fff
                                        ; implicit-def: $vgpr28
; %bb.39:                               ;   in Loop: Header=BB439_5 Depth=1
	s_and_not1_saveexec_b32 s21, s21
; %bb.40:                               ;   in Loop: Header=BB439_5 Depth=1
	v_and_b32_e32 v29, 0xffff, v28
	v_or_b32_e32 v30, 0x10000, v28
	s_delay_alu instid0(VALU_DEP_2) | instskip(NEXT) | instid1(VALU_DEP_2)
	v_cmp_eq_u32_e32 vcc_lo, 0, v29
	v_cndmask_b32_e32 v29, v30, v28, vcc_lo
; %bb.41:                               ;   in Loop: Header=BB439_5 Depth=1
	s_or_b32 exec_lo, exec_lo, s21
	s_delay_alu instid0(VALU_DEP_1) | instskip(NEXT) | instid1(VALU_DEP_1)
	v_fma_mix_f32_bf16 v16, s38, v16, v29 op_sel:[0,0,1] op_sel_hi:[0,0,1]
	v_and_b32_e32 v28, 0x7f800000, v16
	s_delay_alu instid0(VALU_DEP_1) | instskip(SKIP_1) | instid1(SALU_CYCLE_1)
	v_cmp_ne_u32_e32 vcc_lo, 0x7f800000, v28
                                        ; implicit-def: $vgpr28
	s_and_saveexec_b32 s21, vcc_lo
	s_xor_b32 s21, exec_lo, s21
; %bb.42:                               ;   in Loop: Header=BB439_5 Depth=1
	v_bfe_u32 v28, v16, 16, 1
	s_delay_alu instid0(VALU_DEP_1)
	v_add3_u32 v28, v16, v28, 0x7fff
                                        ; implicit-def: $vgpr16
; %bb.43:                               ;   in Loop: Header=BB439_5 Depth=1
	s_and_not1_saveexec_b32 s21, s21
; %bb.44:                               ;   in Loop: Header=BB439_5 Depth=1
	v_and_b32_e32 v28, 0xffff, v16
	v_or_b32_e32 v29, 0x10000, v16
	s_delay_alu instid0(VALU_DEP_2) | instskip(NEXT) | instid1(VALU_DEP_2)
	v_cmp_eq_u32_e32 vcc_lo, 0, v28
	v_cndmask_b32_e32 v28, v29, v16, vcc_lo
; %bb.45:                               ;   in Loop: Header=BB439_5 Depth=1
	s_or_b32 exec_lo, exec_lo, s21
	v_lshl_add_u64 v[30:31], v[6:7], 1, v[20:21]
	global_store_d16_hi_b16 v[30:31], v28, off
	s_wait_xcnt 0x0
	s_or_b32 exec_lo, exec_lo, s20
	s_and_saveexec_b32 s20, s4
	s_cbranch_execz .LBB439_36
.LBB439_46:                             ;   in Loop: Header=BB439_5 Depth=1
	global_load_u16 v16, v[22:23], off offset:32
	s_wait_loadcnt 0x0
	v_lshlrev_b32_e32 v16, 16, v16
	s_delay_alu instid0(VALU_DEP_1) | instskip(SKIP_1) | instid1(VALU_DEP_1)
	v_mul_f32_e32 v16, s39, v16
	s_wait_xcnt 0x0
	v_and_b32_e32 v22, 0x7f800000, v16
	s_delay_alu instid0(VALU_DEP_1) | instskip(SKIP_1) | instid1(SALU_CYCLE_1)
	v_cmp_ne_u32_e32 vcc_lo, 0x7f800000, v22
                                        ; implicit-def: $vgpr22
	s_and_saveexec_b32 s21, vcc_lo
	s_xor_b32 s21, exec_lo, s21
; %bb.47:                               ;   in Loop: Header=BB439_5 Depth=1
	v_bfe_u32 v22, v16, 16, 1
	s_delay_alu instid0(VALU_DEP_1)
	v_add3_u32 v22, v16, v22, 0x7fff
                                        ; implicit-def: $vgpr16
; %bb.48:                               ;   in Loop: Header=BB439_5 Depth=1
	s_and_not1_saveexec_b32 s21, s21
; %bb.49:                               ;   in Loop: Header=BB439_5 Depth=1
	v_and_b32_e32 v22, 0xffff, v16
	v_or_b32_e32 v23, 0x10000, v16
	s_delay_alu instid0(VALU_DEP_2) | instskip(NEXT) | instid1(VALU_DEP_2)
	v_cmp_eq_u32_e32 vcc_lo, 0, v22
	v_cndmask_b32_e32 v22, v23, v16, vcc_lo
; %bb.50:                               ;   in Loop: Header=BB439_5 Depth=1
	s_or_b32 exec_lo, exec_lo, s21
	s_delay_alu instid0(VALU_DEP_1) | instskip(NEXT) | instid1(VALU_DEP_1)
	v_fma_mix_f32_bf16 v16, s38, v17, v22 op_sel:[0,0,1] op_sel_hi:[0,0,1]
	v_and_b32_e32 v17, 0x7f800000, v16
	s_delay_alu instid0(VALU_DEP_1) | instskip(SKIP_1) | instid1(SALU_CYCLE_1)
	v_cmp_ne_u32_e32 vcc_lo, 0x7f800000, v17
                                        ; implicit-def: $vgpr17
	s_and_saveexec_b32 s21, vcc_lo
	s_xor_b32 s21, exec_lo, s21
; %bb.51:                               ;   in Loop: Header=BB439_5 Depth=1
	v_bfe_u32 v17, v16, 16, 1
	s_delay_alu instid0(VALU_DEP_1)
	v_add3_u32 v17, v16, v17, 0x7fff
                                        ; implicit-def: $vgpr16
; %bb.52:                               ;   in Loop: Header=BB439_5 Depth=1
	s_and_not1_saveexec_b32 s21, s21
; %bb.53:                               ;   in Loop: Header=BB439_5 Depth=1
	v_and_b32_e32 v17, 0xffff, v16
	v_or_b32_e32 v22, 0x10000, v16
	s_delay_alu instid0(VALU_DEP_2) | instskip(NEXT) | instid1(VALU_DEP_2)
	v_cmp_eq_u32_e32 vcc_lo, 0, v17
	v_cndmask_b32_e32 v17, v22, v16, vcc_lo
; %bb.54:                               ;   in Loop: Header=BB439_5 Depth=1
	s_or_b32 exec_lo, exec_lo, s21
	v_lshl_add_u64 v[22:23], v[6:7], 1, v[20:21]
	global_store_d16_hi_b16 v[22:23], v17, off offset:32
	s_wait_xcnt 0x0
	s_or_b32 exec_lo, exec_lo, s20
	s_delay_alu instid0(SALU_CYCLE_1)
	s_and_b32 exec_lo, exec_lo, s5
	s_cbranch_execz .LBB439_3
.LBB439_55:                             ;   in Loop: Header=BB439_5 Depth=1
	v_lshlrev_b64_e32 v[16:17], 1, v[6:7]
	v_lshl_add_u64 v[18:19], s[10:11], 1, v[18:19]
	v_lshl_add_u64 v[20:21], s[6:7], 1, v[20:21]
	s_delay_alu instid0(VALU_DEP_2) | instskip(NEXT) | instid1(VALU_DEP_2)
	v_add_nc_u64_e32 v[18:19], v[18:19], v[16:17]
	v_add_nc_u64_e32 v[16:17], v[20:21], v[16:17]
	s_and_saveexec_b32 s20, s3
	s_cbranch_execz .LBB439_65
; %bb.56:                               ;   in Loop: Header=BB439_5 Depth=1
	global_load_u16 v20, v[18:19], off
	s_wait_loadcnt 0x0
	v_lshlrev_b32_e32 v20, 16, v20
	s_delay_alu instid0(VALU_DEP_1) | instskip(NEXT) | instid1(VALU_DEP_1)
	v_mul_f32_e32 v20, s39, v20
	v_and_b32_e32 v21, 0x7f800000, v20
	s_delay_alu instid0(VALU_DEP_1) | instskip(SKIP_2) | instid1(SALU_CYCLE_1)
	v_cmp_ne_u32_e32 vcc_lo, 0x7f800000, v21
                                        ; implicit-def: $vgpr21
	s_wait_xcnt 0x0
	s_and_saveexec_b32 s21, vcc_lo
	s_xor_b32 s21, exec_lo, s21
; %bb.57:                               ;   in Loop: Header=BB439_5 Depth=1
	v_bfe_u32 v21, v20, 16, 1
	s_delay_alu instid0(VALU_DEP_1)
	v_add3_u32 v21, v20, v21, 0x7fff
                                        ; implicit-def: $vgpr20
; %bb.58:                               ;   in Loop: Header=BB439_5 Depth=1
	s_and_not1_saveexec_b32 s21, s21
; %bb.59:                               ;   in Loop: Header=BB439_5 Depth=1
	v_and_b32_e32 v21, 0xffff, v20
	v_or_b32_e32 v22, 0x10000, v20
	s_delay_alu instid0(VALU_DEP_2) | instskip(NEXT) | instid1(VALU_DEP_2)
	v_cmp_eq_u32_e32 vcc_lo, 0, v21
	v_cndmask_b32_e32 v21, v22, v20, vcc_lo
; %bb.60:                               ;   in Loop: Header=BB439_5 Depth=1
	s_or_b32 exec_lo, exec_lo, s21
	s_delay_alu instid0(VALU_DEP_1) | instskip(NEXT) | instid1(VALU_DEP_1)
	v_fma_mix_f32_bf16 v14, s38, v14, v21 op_sel:[0,0,1] op_sel_hi:[0,0,1]
	v_and_b32_e32 v20, 0x7f800000, v14
	s_delay_alu instid0(VALU_DEP_1) | instskip(SKIP_1) | instid1(SALU_CYCLE_1)
	v_cmp_ne_u32_e32 vcc_lo, 0x7f800000, v20
                                        ; implicit-def: $vgpr20
	s_and_saveexec_b32 s21, vcc_lo
	s_xor_b32 s21, exec_lo, s21
; %bb.61:                               ;   in Loop: Header=BB439_5 Depth=1
	v_bfe_u32 v20, v14, 16, 1
	s_delay_alu instid0(VALU_DEP_1)
	v_add3_u32 v20, v14, v20, 0x7fff
                                        ; implicit-def: $vgpr14
; %bb.62:                               ;   in Loop: Header=BB439_5 Depth=1
	s_and_not1_saveexec_b32 s21, s21
; %bb.63:                               ;   in Loop: Header=BB439_5 Depth=1
	v_and_b32_e32 v20, 0xffff, v14
	v_or_b32_e32 v21, 0x10000, v14
	s_delay_alu instid0(VALU_DEP_2) | instskip(NEXT) | instid1(VALU_DEP_2)
	v_cmp_eq_u32_e32 vcc_lo, 0, v20
	v_cndmask_b32_e32 v20, v21, v14, vcc_lo
; %bb.64:                               ;   in Loop: Header=BB439_5 Depth=1
	s_or_b32 exec_lo, exec_lo, s21
	global_store_d16_hi_b16 v[16:17], v20, off
.LBB439_65:                             ;   in Loop: Header=BB439_5 Depth=1
	s_wait_xcnt 0x0
	s_or_b32 exec_lo, exec_lo, s20
	s_delay_alu instid0(SALU_CYCLE_1)
	s_and_b32 exec_lo, exec_lo, s4
	s_cbranch_execz .LBB439_3
; %bb.66:                               ;   in Loop: Header=BB439_5 Depth=1
	global_load_u16 v14, v[18:19], off offset:32
	s_wait_loadcnt 0x0
	v_lshlrev_b32_e32 v14, 16, v14
	s_delay_alu instid0(VALU_DEP_1) | instskip(SKIP_1) | instid1(VALU_DEP_1)
	v_mul_f32_e32 v14, s39, v14
	s_wait_xcnt 0x0
	v_and_b32_e32 v18, 0x7f800000, v14
	s_delay_alu instid0(VALU_DEP_1) | instskip(SKIP_1) | instid1(SALU_CYCLE_1)
	v_cmp_ne_u32_e32 vcc_lo, 0x7f800000, v18
                                        ; implicit-def: $vgpr18
	s_and_saveexec_b32 s20, vcc_lo
	s_xor_b32 s20, exec_lo, s20
; %bb.67:                               ;   in Loop: Header=BB439_5 Depth=1
	v_bfe_u32 v18, v14, 16, 1
	s_delay_alu instid0(VALU_DEP_1)
	v_add3_u32 v18, v14, v18, 0x7fff
                                        ; implicit-def: $vgpr14
; %bb.68:                               ;   in Loop: Header=BB439_5 Depth=1
	s_and_not1_saveexec_b32 s20, s20
; %bb.69:                               ;   in Loop: Header=BB439_5 Depth=1
	v_and_b32_e32 v18, 0xffff, v14
	v_or_b32_e32 v19, 0x10000, v14
	s_delay_alu instid0(VALU_DEP_2) | instskip(NEXT) | instid1(VALU_DEP_2)
	v_cmp_eq_u32_e32 vcc_lo, 0, v18
	v_cndmask_b32_e32 v18, v19, v14, vcc_lo
; %bb.70:                               ;   in Loop: Header=BB439_5 Depth=1
	s_or_b32 exec_lo, exec_lo, s20
	s_delay_alu instid0(VALU_DEP_1) | instskip(NEXT) | instid1(VALU_DEP_1)
	v_fma_mix_f32_bf16 v14, s38, v15, v18 op_sel:[0,0,1] op_sel_hi:[0,0,1]
	v_and_b32_e32 v15, 0x7f800000, v14
	s_delay_alu instid0(VALU_DEP_1) | instskip(SKIP_1) | instid1(SALU_CYCLE_1)
	v_cmp_ne_u32_e32 vcc_lo, 0x7f800000, v15
                                        ; implicit-def: $vgpr15
	s_and_saveexec_b32 s20, vcc_lo
	s_xor_b32 s20, exec_lo, s20
; %bb.71:                               ;   in Loop: Header=BB439_5 Depth=1
	v_bfe_u32 v15, v14, 16, 1
	s_delay_alu instid0(VALU_DEP_1)
	v_add3_u32 v15, v14, v15, 0x7fff
                                        ; implicit-def: $vgpr14
; %bb.72:                               ;   in Loop: Header=BB439_5 Depth=1
	s_and_not1_saveexec_b32 s20, s20
	s_cbranch_execz .LBB439_2
; %bb.73:                               ;   in Loop: Header=BB439_5 Depth=1
	v_and_b32_e32 v15, 0xffff, v14
	v_or_b32_e32 v18, 0x10000, v14
	s_delay_alu instid0(VALU_DEP_2) | instskip(NEXT) | instid1(VALU_DEP_2)
	v_cmp_eq_u32_e32 vcc_lo, 0, v15
	v_cndmask_b32_e32 v15, v18, v14, vcc_lo
	s_branch .LBB439_2
.LBB439_74:
	s_endpgm
	.section	.rodata,"a",@progbits
	.p2align	6, 0x0
	.amdhsa_kernel _ZN12_GLOBAL__N_135rocblas_gemm_batched_general_kernelIfLi16ELi16ELi32ELi32ELi8ELi32ELi8ELi8ELi32ELc84ELc84EK16rocblas_bfloat16S2_S1_EEvlllT_PT11_llS5_llS3_PT12_llPT13_lli
		.amdhsa_group_segment_fixed_size 2048
		.amdhsa_private_segment_fixed_size 0
		.amdhsa_kernarg_size 140
		.amdhsa_user_sgpr_count 2
		.amdhsa_user_sgpr_dispatch_ptr 0
		.amdhsa_user_sgpr_queue_ptr 0
		.amdhsa_user_sgpr_kernarg_segment_ptr 1
		.amdhsa_user_sgpr_dispatch_id 0
		.amdhsa_user_sgpr_kernarg_preload_length 0
		.amdhsa_user_sgpr_kernarg_preload_offset 0
		.amdhsa_user_sgpr_private_segment_size 0
		.amdhsa_wavefront_size32 1
		.amdhsa_uses_dynamic_stack 0
		.amdhsa_enable_private_segment 0
		.amdhsa_system_sgpr_workgroup_id_x 1
		.amdhsa_system_sgpr_workgroup_id_y 1
		.amdhsa_system_sgpr_workgroup_id_z 1
		.amdhsa_system_sgpr_workgroup_info 0
		.amdhsa_system_vgpr_workitem_id 1
		.amdhsa_next_free_vgpr 52
		.amdhsa_next_free_sgpr 43
		.amdhsa_named_barrier_count 0
		.amdhsa_reserve_vcc 1
		.amdhsa_float_round_mode_32 0
		.amdhsa_float_round_mode_16_64 0
		.amdhsa_float_denorm_mode_32 3
		.amdhsa_float_denorm_mode_16_64 3
		.amdhsa_fp16_overflow 0
		.amdhsa_memory_ordered 1
		.amdhsa_forward_progress 1
		.amdhsa_inst_pref_size 23
		.amdhsa_round_robin_scheduling 0
		.amdhsa_exception_fp_ieee_invalid_op 0
		.amdhsa_exception_fp_denorm_src 0
		.amdhsa_exception_fp_ieee_div_zero 0
		.amdhsa_exception_fp_ieee_overflow 0
		.amdhsa_exception_fp_ieee_underflow 0
		.amdhsa_exception_fp_ieee_inexact 0
		.amdhsa_exception_int_div_zero 0
	.end_amdhsa_kernel
	.section	.text._ZN12_GLOBAL__N_135rocblas_gemm_batched_general_kernelIfLi16ELi16ELi32ELi32ELi8ELi32ELi8ELi8ELi32ELc84ELc84EK16rocblas_bfloat16S2_S1_EEvlllT_PT11_llS5_llS3_PT12_llPT13_lli,"axG",@progbits,_ZN12_GLOBAL__N_135rocblas_gemm_batched_general_kernelIfLi16ELi16ELi32ELi32ELi8ELi32ELi8ELi8ELi32ELc84ELc84EK16rocblas_bfloat16S2_S1_EEvlllT_PT11_llS5_llS3_PT12_llPT13_lli,comdat
.Lfunc_end439:
	.size	_ZN12_GLOBAL__N_135rocblas_gemm_batched_general_kernelIfLi16ELi16ELi32ELi32ELi8ELi32ELi8ELi8ELi32ELc84ELc84EK16rocblas_bfloat16S2_S1_EEvlllT_PT11_llS5_llS3_PT12_llPT13_lli, .Lfunc_end439-_ZN12_GLOBAL__N_135rocblas_gemm_batched_general_kernelIfLi16ELi16ELi32ELi32ELi8ELi32ELi8ELi8ELi32ELc84ELc84EK16rocblas_bfloat16S2_S1_EEvlllT_PT11_llS5_llS3_PT12_llPT13_lli
                                        ; -- End function
	.set _ZN12_GLOBAL__N_135rocblas_gemm_batched_general_kernelIfLi16ELi16ELi32ELi32ELi8ELi32ELi8ELi8ELi32ELc84ELc84EK16rocblas_bfloat16S2_S1_EEvlllT_PT11_llS5_llS3_PT12_llPT13_lli.num_vgpr, 52
	.set _ZN12_GLOBAL__N_135rocblas_gemm_batched_general_kernelIfLi16ELi16ELi32ELi32ELi8ELi32ELi8ELi8ELi32ELc84ELc84EK16rocblas_bfloat16S2_S1_EEvlllT_PT11_llS5_llS3_PT12_llPT13_lli.num_agpr, 0
	.set _ZN12_GLOBAL__N_135rocblas_gemm_batched_general_kernelIfLi16ELi16ELi32ELi32ELi8ELi32ELi8ELi8ELi32ELc84ELc84EK16rocblas_bfloat16S2_S1_EEvlllT_PT11_llS5_llS3_PT12_llPT13_lli.numbered_sgpr, 43
	.set _ZN12_GLOBAL__N_135rocblas_gemm_batched_general_kernelIfLi16ELi16ELi32ELi32ELi8ELi32ELi8ELi8ELi32ELc84ELc84EK16rocblas_bfloat16S2_S1_EEvlllT_PT11_llS5_llS3_PT12_llPT13_lli.num_named_barrier, 0
	.set _ZN12_GLOBAL__N_135rocblas_gemm_batched_general_kernelIfLi16ELi16ELi32ELi32ELi8ELi32ELi8ELi8ELi32ELc84ELc84EK16rocblas_bfloat16S2_S1_EEvlllT_PT11_llS5_llS3_PT12_llPT13_lli.private_seg_size, 0
	.set _ZN12_GLOBAL__N_135rocblas_gemm_batched_general_kernelIfLi16ELi16ELi32ELi32ELi8ELi32ELi8ELi8ELi32ELc84ELc84EK16rocblas_bfloat16S2_S1_EEvlllT_PT11_llS5_llS3_PT12_llPT13_lli.uses_vcc, 1
	.set _ZN12_GLOBAL__N_135rocblas_gemm_batched_general_kernelIfLi16ELi16ELi32ELi32ELi8ELi32ELi8ELi8ELi32ELc84ELc84EK16rocblas_bfloat16S2_S1_EEvlllT_PT11_llS5_llS3_PT12_llPT13_lli.uses_flat_scratch, 0
	.set _ZN12_GLOBAL__N_135rocblas_gemm_batched_general_kernelIfLi16ELi16ELi32ELi32ELi8ELi32ELi8ELi8ELi32ELc84ELc84EK16rocblas_bfloat16S2_S1_EEvlllT_PT11_llS5_llS3_PT12_llPT13_lli.has_dyn_sized_stack, 0
	.set _ZN12_GLOBAL__N_135rocblas_gemm_batched_general_kernelIfLi16ELi16ELi32ELi32ELi8ELi32ELi8ELi8ELi32ELc84ELc84EK16rocblas_bfloat16S2_S1_EEvlllT_PT11_llS5_llS3_PT12_llPT13_lli.has_recursion, 0
	.set _ZN12_GLOBAL__N_135rocblas_gemm_batched_general_kernelIfLi16ELi16ELi32ELi32ELi8ELi32ELi8ELi8ELi32ELc84ELc84EK16rocblas_bfloat16S2_S1_EEvlllT_PT11_llS5_llS3_PT12_llPT13_lli.has_indirect_call, 0
	.section	.AMDGPU.csdata,"",@progbits
; Kernel info:
; codeLenInByte = 2844
; TotalNumSgprs: 45
; NumVgprs: 52
; ScratchSize: 0
; MemoryBound: 0
; FloatMode: 240
; IeeeMode: 1
; LDSByteSize: 2048 bytes/workgroup (compile time only)
; SGPRBlocks: 0
; VGPRBlocks: 3
; NumSGPRsForWavesPerEU: 45
; NumVGPRsForWavesPerEU: 52
; NamedBarCnt: 0
; Occupancy: 16
; WaveLimiterHint : 0
; COMPUTE_PGM_RSRC2:SCRATCH_EN: 0
; COMPUTE_PGM_RSRC2:USER_SGPR: 2
; COMPUTE_PGM_RSRC2:TRAP_HANDLER: 0
; COMPUTE_PGM_RSRC2:TGID_X_EN: 1
; COMPUTE_PGM_RSRC2:TGID_Y_EN: 1
; COMPUTE_PGM_RSRC2:TGID_Z_EN: 1
; COMPUTE_PGM_RSRC2:TIDIG_COMP_CNT: 1
	.section	.text._ZN12_GLOBAL__N_135rocblas_gemm_batched_general_kernelIfLi16ELi16ELi32ELi32ELi8ELi32ELi8ELi8ELi32ELc67ELc67EK16rocblas_bfloat16S2_S1_EEvlllT_PT11_llS5_llS3_PT12_llPT13_lli,"axG",@progbits,_ZN12_GLOBAL__N_135rocblas_gemm_batched_general_kernelIfLi16ELi16ELi32ELi32ELi8ELi32ELi8ELi8ELi32ELc67ELc67EK16rocblas_bfloat16S2_S1_EEvlllT_PT11_llS5_llS3_PT12_llPT13_lli,comdat
	.globl	_ZN12_GLOBAL__N_135rocblas_gemm_batched_general_kernelIfLi16ELi16ELi32ELi32ELi8ELi32ELi8ELi8ELi32ELc67ELc67EK16rocblas_bfloat16S2_S1_EEvlllT_PT11_llS5_llS3_PT12_llPT13_lli ; -- Begin function _ZN12_GLOBAL__N_135rocblas_gemm_batched_general_kernelIfLi16ELi16ELi32ELi32ELi8ELi32ELi8ELi8ELi32ELc67ELc67EK16rocblas_bfloat16S2_S1_EEvlllT_PT11_llS5_llS3_PT12_llPT13_lli
	.p2align	8
	.type	_ZN12_GLOBAL__N_135rocblas_gemm_batched_general_kernelIfLi16ELi16ELi32ELi32ELi8ELi32ELi8ELi8ELi32ELc67ELc67EK16rocblas_bfloat16S2_S1_EEvlllT_PT11_llS5_llS3_PT12_llPT13_lli,@function
_ZN12_GLOBAL__N_135rocblas_gemm_batched_general_kernelIfLi16ELi16ELi32ELi32ELi8ELi32ELi8ELi8ELi32ELc67ELc67EK16rocblas_bfloat16S2_S1_EEvlllT_PT11_llS5_llS3_PT12_llPT13_lli: ; @_ZN12_GLOBAL__N_135rocblas_gemm_batched_general_kernelIfLi16ELi16ELi32ELi32ELi8ELi32ELi8ELi8ELi32ELc67ELc67EK16rocblas_bfloat16S2_S1_EEvlllT_PT11_llS5_llS3_PT12_llPT13_lli
; %bb.0:
	s_load_b32 s33, s[0:1], 0x88
	s_bfe_u32 s2, ttmp6, 0x40014
	s_lshr_b32 s3, ttmp7, 16
	s_add_co_i32 s2, s2, 1
	s_bfe_u32 s5, ttmp6, 0x40008
	s_mul_i32 s4, s3, s2
	s_getreg_b32 s2, hwreg(HW_REG_IB_STS2, 6, 4)
	s_add_co_i32 s5, s5, s4
	s_cmp_eq_u32 s2, 0
	s_mov_b32 s35, 0
	s_cselect_b32 s34, s3, s5
	s_wait_kmcnt 0x0
	s_cmp_ge_i32 s34, s33
	s_cbranch_scc1 .LBB440_74
; %bb.1:
	s_clause 0x4
	s_load_b128 s[4:7], s[0:1], 0x0
	s_load_b256 s[16:23], s[0:1], 0x20
	s_load_b128 s[28:31], s[0:1], 0x40
	s_load_b32 s39, s[0:1], 0x50
	s_load_b256 s[8:15], s[0:1], 0x58
	v_bfe_u32 v8, v0, 10, 10
	v_and_b32_e32 v10, 0x3ff, v0
	v_dual_mov_b32 v9, 0 :: v_dual_bitop2_b32 v0, 7, v0 bitop3:0x40
	s_bfe_u32 s3, ttmp6, 0x4000c
	s_bfe_u32 s25, ttmp6, 0x40010
	s_add_co_i32 s3, s3, 1
	s_and_b32 s26, ttmp7, 0xffff
	s_add_co_i32 s25, s25, 1
	s_and_b32 s24, ttmp6, 15
	s_mul_i32 s3, ttmp9, s3
	s_mul_i32 s25, s26, s25
	s_bfe_u32 s27, ttmp6, 0x40004
	v_lshl_add_u32 v2, v8, 4, v10
	v_mov_b32_e32 v1, v9
	s_add_co_i32 s24, s24, s3
	s_add_co_i32 s27, s27, s25
	s_cmp_eq_u32 s2, 0
	v_and_b32_e32 v3, 31, v2
	s_cselect_b32 s2, ttmp9, s24
	s_wait_kmcnt 0x0
	v_mul_u64_e32 v[12:13], s[28:29], v[0:1]
	s_cselect_b32 s42, s26, s27
	s_ashr_i32 s3, s2, 31
	s_clause 0x1
	s_load_b128 s[24:27], s[0:1], 0x78
	s_load_b96 s[36:38], s[0:1], 0x10
	s_lshl_b64 s[2:3], s[2:3], 5
	s_lshl_b32 s40, s42, 5
	v_dual_mov_b32 v5, s3 :: v_dual_bitop2_b32 v4, s2, v3 bitop3:0x54
	s_mov_b32 s41, s35
	v_dual_mov_b32 v17, v9 :: v_dual_lshrrev_b32 v16, 3, v2
	v_add_nc_u64_e32 v[14:15], s[40:41], v[8:9]
	s_delay_alu instid0(VALU_DEP_3)
	v_mul_u64_e32 v[18:19], s[18:19], v[4:5]
	s_wait_xcnt 0x0
	v_cmp_gt_i64_e64 s0, s[4:5], v[4:5]
	v_dual_mov_b32 v11, v9 :: v_dual_lshrrev_b32 v2, 5, v2
	v_add_nc_u64_e32 v[6:7], s[40:41], v[16:17]
	s_cmp_eq_f32 s39, 0
	v_mul_u64_e32 v[20:21], s[10:11], v[14:15]
	v_dual_lshlrev_b32 v17, 2, v0 :: v_dual_lshlrev_b32 v27, 2, v10
	s_cselect_b32 s40, -1, 0
	s_wait_kmcnt 0x0
	v_mul_u64_e32 v[4:5], s[24:25], v[14:15]
	v_cmp_gt_i64_e64 s1, s[6:7], v[6:7]
	v_add_nc_u64_e32 v[6:7], s[2:3], v[10:11]
	s_lshl_b32 s2, s42, 6
	s_mov_b32 s3, s35
	v_lshl_add_u32 v25, v8, 5, 0x400
	v_dual_lshlrev_b32 v8, 1, v16 :: v_dual_lshlrev_b32 v22, 2, v3
	v_mov_b32_e32 v3, v9
	v_lshl_add_u64 v[12:13], v[12:13], 1, s[2:3]
	v_lshl_or_b32 v17, v16, 5, v17
	v_cmp_gt_i64_e64 s2, s[6:7], v[14:15]
	v_lshl_or_b32 v24, v2, 7, v22
	v_add_nc_u64_e32 v[22:23], 16, v[14:15]
	v_add_nc_u64_e32 v[10:11], v[12:13], v[8:9]
	v_lshlrev_b32_e32 v8, 1, v2
	v_add_nc_u32_e32 v26, 0x400, v17
	v_add_nc_u64_e32 v[16:17], 16, v[6:7]
	v_cmp_gt_i64_e64 s3, s[4:5], v[6:7]
	s_lshl_b64 s[10:11], s[10:11], 4
	s_lshl_b64 s[18:19], s[20:21], 1
	v_add_nc_u64_e32 v[10:11], s[22:23], v[10:11]
	v_lshl_add_u64 v[12:13], v[18:19], 1, v[8:9]
	v_cmp_gt_i64_e64 s22, s[36:37], 0
	v_cmp_gt_i64_e64 s4, s[4:5], v[16:17]
	;; [unrolled: 1-line block ×3, first 2 shown]
	s_lshl_b64 s[6:7], s[24:25], 4
	v_add_nc_u64_e32 v[12:13], s[16:17], v[12:13]
	v_lshl_add_u64 v[8:9], v[20:21], 1, s[8:9]
	s_lshl_b64 s[8:9], s[30:31], 1
	s_lshl_b64 s[16:17], s[28:29], 4
	s_branch .LBB440_5
.LBB440_2:                              ;   in Loop: Header=BB440_5 Depth=1
	s_or_b32 exec_lo, exec_lo, s20
	global_store_d16_hi_b16 v[16:17], v15, off offset:32
.LBB440_3:                              ;   in Loop: Header=BB440_5 Depth=1
	s_wait_xcnt 0x0
	s_or_b32 exec_lo, exec_lo, s23
.LBB440_4:                              ;   in Loop: Header=BB440_5 Depth=1
	s_add_co_i32 s34, s34, 0x10000
	s_delay_alu instid0(SALU_CYCLE_1)
	s_cmp_lt_i32 s34, s33
	s_cbranch_scc0 .LBB440_74
.LBB440_5:                              ; =>This Loop Header: Depth=1
                                        ;     Child Loop BB440_8 Depth 2
	v_dual_mov_b32 v17, 0 :: v_dual_mov_b32 v16, 0
	v_dual_mov_b32 v15, 0 :: v_dual_mov_b32 v14, 0
	s_and_not1_b32 vcc_lo, exec_lo, s22
	s_cbranch_vccnz .LBB440_12
; %bb.6:                                ;   in Loop: Header=BB440_5 Depth=1
	v_mad_nc_u64_u32 v[18:19], s8, s34, v[10:11]
	v_mad_nc_u64_u32 v[20:21], s18, s34, v[12:13]
	v_mov_b32_e32 v16, 0
	s_mov_b64 s[20:21], 0
	s_delay_alu instid0(VALU_DEP_1)
	v_dual_mov_b32 v17, v16 :: v_dual_mov_b32 v14, v16
	v_mov_b32_e32 v15, v16
	v_mad_u32 v19, s9, s34, v19
	v_mad_u32 v21, s19, s34, v21
	s_branch .LBB440_8
.LBB440_7:                              ;   in Loop: Header=BB440_8 Depth=2
	s_wait_xcnt 0x0
	s_or_b32 exec_lo, exec_lo, s23
	ds_store_b32 v26, v23
	s_wait_dscnt 0x0
	s_barrier_signal -1
	s_barrier_wait -1
	ds_load_b128 v[28:31], v25
	ds_load_2addr_b32 v[22:23], v27 offset1:16
	ds_load_b128 v[32:35], v25 offset:512
	ds_load_2addr_b32 v[44:45], v27 offset0:32 offset1:48
	ds_load_2addr_b32 v[46:47], v27 offset0:64 offset1:80
	;; [unrolled: 1-line block ×3, first 2 shown]
	ds_load_b128 v[36:39], v25 offset:16
	ds_load_2addr_b32 v[50:51], v27 offset0:128 offset1:144
	ds_load_b128 v[40:43], v25 offset:528
	s_add_nc_u64 s[20:21], s[20:21], 8
	v_add_nc_u64_e32 v[18:19], s[16:17], v[18:19]
	v_cmp_lt_i64_e64 s23, s[20:21], s[36:37]
	v_add_nc_u64_e32 v[20:21], 16, v[20:21]
	s_and_b32 vcc_lo, exec_lo, s23
	s_wait_dscnt 0x7
	v_pk_fma_f32 v[16:17], v[22:23], v[28:29], v[16:17] op_sel_hi:[1,0,1]
	s_wait_dscnt 0x6
	v_pk_fma_f32 v[14:15], v[22:23], v[32:33], v[14:15] op_sel_hi:[1,0,1]
	ds_load_2addr_b32 v[22:23], v27 offset0:160 offset1:176
	s_wait_dscnt 0x6
	v_pk_fma_f32 v[16:17], v[44:45], v[28:29], v[16:17] op_sel:[0,1,0]
	v_pk_fma_f32 v[14:15], v[44:45], v[32:33], v[14:15] op_sel:[0,1,0]
	ds_load_2addr_b32 v[28:29], v27 offset0:192 offset1:208
	v_dual_mov_b32 v32, v31 :: v_dual_mov_b32 v44, v35
	s_wait_dscnt 0x6
	v_pk_fma_f32 v[16:17], v[46:47], v[30:31], v[16:17] op_sel_hi:[1,0,1]
	v_pk_fma_f32 v[14:15], v[46:47], v[34:35], v[14:15] op_sel_hi:[1,0,1]
	ds_load_2addr_b32 v[30:31], v27 offset0:224 offset1:240
	s_wait_dscnt 0x0
	s_barrier_signal -1
	v_pk_fma_f32 v[16:17], v[48:49], v[32:33], v[16:17] op_sel_hi:[1,0,1]
	v_pk_fma_f32 v[14:15], v[48:49], v[44:45], v[14:15] op_sel_hi:[1,0,1]
	s_barrier_wait -1
	v_mov_b32_e32 v32, v43
	s_delay_alu instid0(VALU_DEP_3) | instskip(NEXT) | instid1(VALU_DEP_3)
	v_pk_fma_f32 v[16:17], v[50:51], v[36:37], v[16:17] op_sel_hi:[1,0,1]
	v_pk_fma_f32 v[14:15], v[50:51], v[40:41], v[14:15] op_sel_hi:[1,0,1]
	s_delay_alu instid0(VALU_DEP_2) | instskip(NEXT) | instid1(VALU_DEP_2)
	v_pk_fma_f32 v[16:17], v[22:23], v[36:37], v[16:17] op_sel:[0,1,0]
	v_pk_fma_f32 v[14:15], v[22:23], v[40:41], v[14:15] op_sel:[0,1,0]
	v_mov_b32_e32 v22, v39
	s_delay_alu instid0(VALU_DEP_3) | instskip(NEXT) | instid1(VALU_DEP_3)
	v_pk_fma_f32 v[16:17], v[28:29], v[38:39], v[16:17] op_sel_hi:[1,0,1]
	v_pk_fma_f32 v[14:15], v[28:29], v[42:43], v[14:15] op_sel_hi:[1,0,1]
	s_delay_alu instid0(VALU_DEP_2) | instskip(NEXT) | instid1(VALU_DEP_2)
	v_pk_fma_f32 v[16:17], v[30:31], v[22:23], v[16:17] op_sel_hi:[1,0,1]
	v_pk_fma_f32 v[14:15], v[30:31], v[32:33], v[14:15] op_sel_hi:[1,0,1]
	s_cbranch_vccz .LBB440_12
.LBB440_8:                              ;   Parent Loop BB440_5 Depth=1
                                        ; =>  This Inner Loop Header: Depth=2
	v_add_nc_u64_e32 v[22:23], s[20:21], v[2:3]
	s_delay_alu instid0(VALU_DEP_1) | instskip(SKIP_2) | instid1(SALU_CYCLE_1)
	v_cmp_gt_i64_e32 vcc_lo, s[36:37], v[22:23]
	v_mov_b32_e32 v22, 0
	s_and_b32 s24, s0, vcc_lo
	s_and_saveexec_b32 s23, s24
	s_cbranch_execz .LBB440_10
; %bb.9:                                ;   in Loop: Header=BB440_8 Depth=2
	global_load_u16 v22, v[20:21], off
	s_wait_loadcnt 0x0
	v_lshlrev_b32_e32 v22, 16, v22
.LBB440_10:                             ;   in Loop: Header=BB440_8 Depth=2
	s_wait_xcnt 0x0
	s_or_b32 exec_lo, exec_lo, s23
	v_add_nc_u64_e32 v[28:29], s[20:21], v[0:1]
	v_mov_b32_e32 v23, 0
	ds_store_b32 v24, v22
	v_cmp_gt_i64_e32 vcc_lo, s[36:37], v[28:29]
	s_and_b32 s24, vcc_lo, s1
	s_delay_alu instid0(SALU_CYCLE_1)
	s_and_saveexec_b32 s23, s24
	s_cbranch_execz .LBB440_7
; %bb.11:                               ;   in Loop: Header=BB440_8 Depth=2
	global_load_u16 v22, v[18:19], off
	s_wait_loadcnt 0x0
	v_lshlrev_b32_e32 v23, 16, v22
	s_branch .LBB440_7
.LBB440_12:                             ;   in Loop: Header=BB440_5 Depth=1
	s_mul_u64 s[20:21], s[26:27], s[34:35]
	s_and_not1_b32 vcc_lo, exec_lo, s40
	s_lshl_b64 s[20:21], s[20:21], 1
	s_delay_alu instid0(SALU_CYCLE_1)
	s_add_nc_u64 s[20:21], s[14:15], s[20:21]
	s_cbranch_vccnz .LBB440_17
; %bb.13:                               ;   in Loop: Header=BB440_5 Depth=1
	s_and_saveexec_b32 s23, s2
	s_cbranch_execz .LBB440_32
; %bb.14:                               ;   in Loop: Header=BB440_5 Depth=1
	v_lshl_add_u64 v[18:19], v[4:5], 1, s[20:21]
	s_and_saveexec_b32 s24, s3
	s_cbranch_execnz .LBB440_18
; %bb.15:                               ;   in Loop: Header=BB440_5 Depth=1
	s_or_b32 exec_lo, exec_lo, s24
	s_and_saveexec_b32 s24, s4
	s_cbranch_execnz .LBB440_23
.LBB440_16:                             ;   in Loop: Header=BB440_5 Depth=1
	s_or_b32 exec_lo, exec_lo, s24
	s_delay_alu instid0(SALU_CYCLE_1)
	s_and_b32 exec_lo, exec_lo, s5
	s_cbranch_execnz .LBB440_28
	s_branch .LBB440_32
.LBB440_17:                             ;   in Loop: Header=BB440_5 Depth=1
	s_branch .LBB440_33
.LBB440_18:                             ;   in Loop: Header=BB440_5 Depth=1
	v_mul_f32_e32 v20, s38, v16
	s_delay_alu instid0(VALU_DEP_1) | instskip(NEXT) | instid1(VALU_DEP_1)
	v_and_b32_e32 v21, 0x7f800000, v20
	v_cmp_ne_u32_e32 vcc_lo, 0x7f800000, v21
                                        ; implicit-def: $vgpr21
	s_and_saveexec_b32 s25, vcc_lo
	s_delay_alu instid0(SALU_CYCLE_1)
	s_xor_b32 s25, exec_lo, s25
; %bb.19:                               ;   in Loop: Header=BB440_5 Depth=1
	v_bfe_u32 v21, v20, 16, 1
	s_delay_alu instid0(VALU_DEP_1)
	v_add3_u32 v21, v20, v21, 0x7fff
                                        ; implicit-def: $vgpr20
; %bb.20:                               ;   in Loop: Header=BB440_5 Depth=1
	s_and_not1_saveexec_b32 s25, s25
; %bb.21:                               ;   in Loop: Header=BB440_5 Depth=1
	v_and_b32_e32 v21, 0xffff, v20
	v_or_b32_e32 v22, 0x10000, v20
	s_delay_alu instid0(VALU_DEP_2) | instskip(NEXT) | instid1(VALU_DEP_2)
	v_cmp_eq_u32_e32 vcc_lo, 0, v21
	v_cndmask_b32_e32 v21, v22, v20, vcc_lo
; %bb.22:                               ;   in Loop: Header=BB440_5 Depth=1
	s_or_b32 exec_lo, exec_lo, s25
	v_lshl_add_u64 v[22:23], v[6:7], 1, v[18:19]
	global_store_d16_hi_b16 v[22:23], v21, off
	s_wait_xcnt 0x0
	s_or_b32 exec_lo, exec_lo, s24
	s_and_saveexec_b32 s24, s4
	s_cbranch_execz .LBB440_16
.LBB440_23:                             ;   in Loop: Header=BB440_5 Depth=1
	v_mul_f32_e32 v20, s38, v17
	s_delay_alu instid0(VALU_DEP_1) | instskip(NEXT) | instid1(VALU_DEP_1)
	v_and_b32_e32 v21, 0x7f800000, v20
	v_cmp_ne_u32_e32 vcc_lo, 0x7f800000, v21
                                        ; implicit-def: $vgpr21
	s_and_saveexec_b32 s25, vcc_lo
	s_delay_alu instid0(SALU_CYCLE_1)
	s_xor_b32 s25, exec_lo, s25
; %bb.24:                               ;   in Loop: Header=BB440_5 Depth=1
	v_bfe_u32 v21, v20, 16, 1
	s_delay_alu instid0(VALU_DEP_1)
	v_add3_u32 v21, v20, v21, 0x7fff
                                        ; implicit-def: $vgpr20
; %bb.25:                               ;   in Loop: Header=BB440_5 Depth=1
	s_and_not1_saveexec_b32 s25, s25
; %bb.26:                               ;   in Loop: Header=BB440_5 Depth=1
	v_and_b32_e32 v21, 0xffff, v20
	v_or_b32_e32 v22, 0x10000, v20
	s_delay_alu instid0(VALU_DEP_2) | instskip(NEXT) | instid1(VALU_DEP_2)
	v_cmp_eq_u32_e32 vcc_lo, 0, v21
	v_cndmask_b32_e32 v21, v22, v20, vcc_lo
; %bb.27:                               ;   in Loop: Header=BB440_5 Depth=1
	s_or_b32 exec_lo, exec_lo, s25
	v_lshl_add_u64 v[22:23], v[6:7], 1, v[18:19]
	global_store_d16_hi_b16 v[22:23], v21, off offset:32
	s_wait_xcnt 0x0
	s_or_b32 exec_lo, exec_lo, s24
	s_delay_alu instid0(SALU_CYCLE_1)
	s_and_b32 exec_lo, exec_lo, s5
	s_cbranch_execz .LBB440_32
.LBB440_28:                             ;   in Loop: Header=BB440_5 Depth=1
	v_lshl_add_u64 v[18:19], s[6:7], 1, v[18:19]
	s_delay_alu instid0(VALU_DEP_1)
	v_lshl_add_u64 v[18:19], v[6:7], 1, v[18:19]
	s_and_saveexec_b32 s24, s3
	s_cbranch_execz .LBB440_30
; %bb.29:                               ;   in Loop: Header=BB440_5 Depth=1
	v_mul_f32_e32 v20, s38, v14
	s_delay_alu instid0(VALU_DEP_1) | instskip(SKIP_3) | instid1(VALU_DEP_4)
	v_and_b32_e32 v22, 0xffff, v20
	v_bfe_u32 v21, v20, 16, 1
	v_or_b32_e32 v23, 0x10000, v20
	v_and_b32_e32 v28, 0x7f800000, v20
	v_cmp_eq_u32_e32 vcc_lo, 0, v22
	s_delay_alu instid0(VALU_DEP_4) | instskip(NEXT) | instid1(VALU_DEP_4)
	v_add3_u32 v21, v20, v21, 0x7fff
	v_cndmask_b32_e32 v20, v23, v20, vcc_lo
	s_delay_alu instid0(VALU_DEP_4) | instskip(NEXT) | instid1(VALU_DEP_2)
	v_cmp_eq_u32_e32 vcc_lo, 0x7f800000, v28
	v_cndmask_b32_e32 v20, v21, v20, vcc_lo
	global_store_d16_hi_b16 v[18:19], v20, off
.LBB440_30:                             ;   in Loop: Header=BB440_5 Depth=1
	s_wait_xcnt 0x0
	s_or_b32 exec_lo, exec_lo, s24
	s_delay_alu instid0(SALU_CYCLE_1)
	s_and_b32 exec_lo, exec_lo, s4
	s_cbranch_execz .LBB440_32
; %bb.31:                               ;   in Loop: Header=BB440_5 Depth=1
	v_mul_f32_e32 v20, s38, v15
	s_delay_alu instid0(VALU_DEP_1) | instskip(SKIP_3) | instid1(VALU_DEP_4)
	v_and_b32_e32 v22, 0xffff, v20
	v_bfe_u32 v21, v20, 16, 1
	v_or_b32_e32 v23, 0x10000, v20
	v_and_b32_e32 v28, 0x7f800000, v20
	v_cmp_eq_u32_e32 vcc_lo, 0, v22
	s_delay_alu instid0(VALU_DEP_4) | instskip(NEXT) | instid1(VALU_DEP_4)
	v_add3_u32 v21, v20, v21, 0x7fff
	v_cndmask_b32_e32 v20, v23, v20, vcc_lo
	s_delay_alu instid0(VALU_DEP_4) | instskip(NEXT) | instid1(VALU_DEP_2)
	v_cmp_eq_u32_e32 vcc_lo, 0x7f800000, v28
	v_cndmask_b32_e32 v20, v21, v20, vcc_lo
	global_store_d16_hi_b16 v[18:19], v20, off offset:32
.LBB440_32:                             ;   in Loop: Header=BB440_5 Depth=1
	s_wait_xcnt 0x0
	s_or_b32 exec_lo, exec_lo, s23
	s_cbranch_execnz .LBB440_4
.LBB440_33:                             ;   in Loop: Header=BB440_5 Depth=1
	s_and_saveexec_b32 s23, s2
	s_cbranch_execz .LBB440_3
; %bb.34:                               ;   in Loop: Header=BB440_5 Depth=1
	s_mul_u64 s[24:25], s[12:13], s[34:35]
	v_lshl_add_u64 v[20:21], v[4:5], 1, s[20:21]
	v_lshl_add_u64 v[18:19], s[24:25], 1, v[8:9]
	s_delay_alu instid0(VALU_DEP_1)
	v_lshl_add_u64 v[22:23], v[6:7], 1, v[18:19]
	s_and_saveexec_b32 s20, s3
	s_cbranch_execnz .LBB440_37
; %bb.35:                               ;   in Loop: Header=BB440_5 Depth=1
	s_or_b32 exec_lo, exec_lo, s20
	s_and_saveexec_b32 s20, s4
	s_cbranch_execnz .LBB440_46
.LBB440_36:                             ;   in Loop: Header=BB440_5 Depth=1
	s_or_b32 exec_lo, exec_lo, s20
	s_delay_alu instid0(SALU_CYCLE_1)
	s_and_b32 exec_lo, exec_lo, s5
	s_cbranch_execz .LBB440_3
	s_branch .LBB440_55
.LBB440_37:                             ;   in Loop: Header=BB440_5 Depth=1
	global_load_u16 v28, v[22:23], off
	s_wait_loadcnt 0x0
	v_lshlrev_b32_e32 v28, 16, v28
	s_delay_alu instid0(VALU_DEP_1) | instskip(NEXT) | instid1(VALU_DEP_1)
	v_mul_f32_e32 v28, s39, v28
	v_and_b32_e32 v29, 0x7f800000, v28
	s_delay_alu instid0(VALU_DEP_1) | instskip(SKIP_2) | instid1(SALU_CYCLE_1)
	v_cmp_ne_u32_e32 vcc_lo, 0x7f800000, v29
                                        ; implicit-def: $vgpr29
	s_wait_xcnt 0x0
	s_and_saveexec_b32 s21, vcc_lo
	s_xor_b32 s21, exec_lo, s21
; %bb.38:                               ;   in Loop: Header=BB440_5 Depth=1
	v_bfe_u32 v29, v28, 16, 1
	s_delay_alu instid0(VALU_DEP_1)
	v_add3_u32 v29, v28, v29, 0x7fff
                                        ; implicit-def: $vgpr28
; %bb.39:                               ;   in Loop: Header=BB440_5 Depth=1
	s_and_not1_saveexec_b32 s21, s21
; %bb.40:                               ;   in Loop: Header=BB440_5 Depth=1
	v_and_b32_e32 v29, 0xffff, v28
	v_or_b32_e32 v30, 0x10000, v28
	s_delay_alu instid0(VALU_DEP_2) | instskip(NEXT) | instid1(VALU_DEP_2)
	v_cmp_eq_u32_e32 vcc_lo, 0, v29
	v_cndmask_b32_e32 v29, v30, v28, vcc_lo
; %bb.41:                               ;   in Loop: Header=BB440_5 Depth=1
	s_or_b32 exec_lo, exec_lo, s21
	s_delay_alu instid0(VALU_DEP_1) | instskip(NEXT) | instid1(VALU_DEP_1)
	v_fma_mix_f32_bf16 v16, s38, v16, v29 op_sel:[0,0,1] op_sel_hi:[0,0,1]
	v_and_b32_e32 v28, 0x7f800000, v16
	s_delay_alu instid0(VALU_DEP_1) | instskip(SKIP_1) | instid1(SALU_CYCLE_1)
	v_cmp_ne_u32_e32 vcc_lo, 0x7f800000, v28
                                        ; implicit-def: $vgpr28
	s_and_saveexec_b32 s21, vcc_lo
	s_xor_b32 s21, exec_lo, s21
; %bb.42:                               ;   in Loop: Header=BB440_5 Depth=1
	v_bfe_u32 v28, v16, 16, 1
	s_delay_alu instid0(VALU_DEP_1)
	v_add3_u32 v28, v16, v28, 0x7fff
                                        ; implicit-def: $vgpr16
; %bb.43:                               ;   in Loop: Header=BB440_5 Depth=1
	s_and_not1_saveexec_b32 s21, s21
; %bb.44:                               ;   in Loop: Header=BB440_5 Depth=1
	v_and_b32_e32 v28, 0xffff, v16
	v_or_b32_e32 v29, 0x10000, v16
	s_delay_alu instid0(VALU_DEP_2) | instskip(NEXT) | instid1(VALU_DEP_2)
	v_cmp_eq_u32_e32 vcc_lo, 0, v28
	v_cndmask_b32_e32 v28, v29, v16, vcc_lo
; %bb.45:                               ;   in Loop: Header=BB440_5 Depth=1
	s_or_b32 exec_lo, exec_lo, s21
	v_lshl_add_u64 v[30:31], v[6:7], 1, v[20:21]
	global_store_d16_hi_b16 v[30:31], v28, off
	s_wait_xcnt 0x0
	s_or_b32 exec_lo, exec_lo, s20
	s_and_saveexec_b32 s20, s4
	s_cbranch_execz .LBB440_36
.LBB440_46:                             ;   in Loop: Header=BB440_5 Depth=1
	global_load_u16 v16, v[22:23], off offset:32
	s_wait_loadcnt 0x0
	v_lshlrev_b32_e32 v16, 16, v16
	s_delay_alu instid0(VALU_DEP_1) | instskip(SKIP_1) | instid1(VALU_DEP_1)
	v_mul_f32_e32 v16, s39, v16
	s_wait_xcnt 0x0
	v_and_b32_e32 v22, 0x7f800000, v16
	s_delay_alu instid0(VALU_DEP_1) | instskip(SKIP_1) | instid1(SALU_CYCLE_1)
	v_cmp_ne_u32_e32 vcc_lo, 0x7f800000, v22
                                        ; implicit-def: $vgpr22
	s_and_saveexec_b32 s21, vcc_lo
	s_xor_b32 s21, exec_lo, s21
; %bb.47:                               ;   in Loop: Header=BB440_5 Depth=1
	v_bfe_u32 v22, v16, 16, 1
	s_delay_alu instid0(VALU_DEP_1)
	v_add3_u32 v22, v16, v22, 0x7fff
                                        ; implicit-def: $vgpr16
; %bb.48:                               ;   in Loop: Header=BB440_5 Depth=1
	s_and_not1_saveexec_b32 s21, s21
; %bb.49:                               ;   in Loop: Header=BB440_5 Depth=1
	v_and_b32_e32 v22, 0xffff, v16
	v_or_b32_e32 v23, 0x10000, v16
	s_delay_alu instid0(VALU_DEP_2) | instskip(NEXT) | instid1(VALU_DEP_2)
	v_cmp_eq_u32_e32 vcc_lo, 0, v22
	v_cndmask_b32_e32 v22, v23, v16, vcc_lo
; %bb.50:                               ;   in Loop: Header=BB440_5 Depth=1
	s_or_b32 exec_lo, exec_lo, s21
	s_delay_alu instid0(VALU_DEP_1) | instskip(NEXT) | instid1(VALU_DEP_1)
	v_fma_mix_f32_bf16 v16, s38, v17, v22 op_sel:[0,0,1] op_sel_hi:[0,0,1]
	v_and_b32_e32 v17, 0x7f800000, v16
	s_delay_alu instid0(VALU_DEP_1) | instskip(SKIP_1) | instid1(SALU_CYCLE_1)
	v_cmp_ne_u32_e32 vcc_lo, 0x7f800000, v17
                                        ; implicit-def: $vgpr17
	s_and_saveexec_b32 s21, vcc_lo
	s_xor_b32 s21, exec_lo, s21
; %bb.51:                               ;   in Loop: Header=BB440_5 Depth=1
	v_bfe_u32 v17, v16, 16, 1
	s_delay_alu instid0(VALU_DEP_1)
	v_add3_u32 v17, v16, v17, 0x7fff
                                        ; implicit-def: $vgpr16
; %bb.52:                               ;   in Loop: Header=BB440_5 Depth=1
	s_and_not1_saveexec_b32 s21, s21
; %bb.53:                               ;   in Loop: Header=BB440_5 Depth=1
	v_and_b32_e32 v17, 0xffff, v16
	v_or_b32_e32 v22, 0x10000, v16
	s_delay_alu instid0(VALU_DEP_2) | instskip(NEXT) | instid1(VALU_DEP_2)
	v_cmp_eq_u32_e32 vcc_lo, 0, v17
	v_cndmask_b32_e32 v17, v22, v16, vcc_lo
; %bb.54:                               ;   in Loop: Header=BB440_5 Depth=1
	s_or_b32 exec_lo, exec_lo, s21
	v_lshl_add_u64 v[22:23], v[6:7], 1, v[20:21]
	global_store_d16_hi_b16 v[22:23], v17, off offset:32
	s_wait_xcnt 0x0
	s_or_b32 exec_lo, exec_lo, s20
	s_delay_alu instid0(SALU_CYCLE_1)
	s_and_b32 exec_lo, exec_lo, s5
	s_cbranch_execz .LBB440_3
.LBB440_55:                             ;   in Loop: Header=BB440_5 Depth=1
	v_lshlrev_b64_e32 v[16:17], 1, v[6:7]
	v_lshl_add_u64 v[18:19], s[10:11], 1, v[18:19]
	v_lshl_add_u64 v[20:21], s[6:7], 1, v[20:21]
	s_delay_alu instid0(VALU_DEP_2) | instskip(NEXT) | instid1(VALU_DEP_2)
	v_add_nc_u64_e32 v[18:19], v[18:19], v[16:17]
	v_add_nc_u64_e32 v[16:17], v[20:21], v[16:17]
	s_and_saveexec_b32 s20, s3
	s_cbranch_execz .LBB440_65
; %bb.56:                               ;   in Loop: Header=BB440_5 Depth=1
	global_load_u16 v20, v[18:19], off
	s_wait_loadcnt 0x0
	v_lshlrev_b32_e32 v20, 16, v20
	s_delay_alu instid0(VALU_DEP_1) | instskip(NEXT) | instid1(VALU_DEP_1)
	v_mul_f32_e32 v20, s39, v20
	v_and_b32_e32 v21, 0x7f800000, v20
	s_delay_alu instid0(VALU_DEP_1) | instskip(SKIP_2) | instid1(SALU_CYCLE_1)
	v_cmp_ne_u32_e32 vcc_lo, 0x7f800000, v21
                                        ; implicit-def: $vgpr21
	s_wait_xcnt 0x0
	s_and_saveexec_b32 s21, vcc_lo
	s_xor_b32 s21, exec_lo, s21
; %bb.57:                               ;   in Loop: Header=BB440_5 Depth=1
	v_bfe_u32 v21, v20, 16, 1
	s_delay_alu instid0(VALU_DEP_1)
	v_add3_u32 v21, v20, v21, 0x7fff
                                        ; implicit-def: $vgpr20
; %bb.58:                               ;   in Loop: Header=BB440_5 Depth=1
	s_and_not1_saveexec_b32 s21, s21
; %bb.59:                               ;   in Loop: Header=BB440_5 Depth=1
	v_and_b32_e32 v21, 0xffff, v20
	v_or_b32_e32 v22, 0x10000, v20
	s_delay_alu instid0(VALU_DEP_2) | instskip(NEXT) | instid1(VALU_DEP_2)
	v_cmp_eq_u32_e32 vcc_lo, 0, v21
	v_cndmask_b32_e32 v21, v22, v20, vcc_lo
; %bb.60:                               ;   in Loop: Header=BB440_5 Depth=1
	s_or_b32 exec_lo, exec_lo, s21
	s_delay_alu instid0(VALU_DEP_1) | instskip(NEXT) | instid1(VALU_DEP_1)
	v_fma_mix_f32_bf16 v14, s38, v14, v21 op_sel:[0,0,1] op_sel_hi:[0,0,1]
	v_and_b32_e32 v20, 0x7f800000, v14
	s_delay_alu instid0(VALU_DEP_1) | instskip(SKIP_1) | instid1(SALU_CYCLE_1)
	v_cmp_ne_u32_e32 vcc_lo, 0x7f800000, v20
                                        ; implicit-def: $vgpr20
	s_and_saveexec_b32 s21, vcc_lo
	s_xor_b32 s21, exec_lo, s21
; %bb.61:                               ;   in Loop: Header=BB440_5 Depth=1
	v_bfe_u32 v20, v14, 16, 1
	s_delay_alu instid0(VALU_DEP_1)
	v_add3_u32 v20, v14, v20, 0x7fff
                                        ; implicit-def: $vgpr14
; %bb.62:                               ;   in Loop: Header=BB440_5 Depth=1
	s_and_not1_saveexec_b32 s21, s21
; %bb.63:                               ;   in Loop: Header=BB440_5 Depth=1
	v_and_b32_e32 v20, 0xffff, v14
	v_or_b32_e32 v21, 0x10000, v14
	s_delay_alu instid0(VALU_DEP_2) | instskip(NEXT) | instid1(VALU_DEP_2)
	v_cmp_eq_u32_e32 vcc_lo, 0, v20
	v_cndmask_b32_e32 v20, v21, v14, vcc_lo
; %bb.64:                               ;   in Loop: Header=BB440_5 Depth=1
	s_or_b32 exec_lo, exec_lo, s21
	global_store_d16_hi_b16 v[16:17], v20, off
.LBB440_65:                             ;   in Loop: Header=BB440_5 Depth=1
	s_wait_xcnt 0x0
	s_or_b32 exec_lo, exec_lo, s20
	s_delay_alu instid0(SALU_CYCLE_1)
	s_and_b32 exec_lo, exec_lo, s4
	s_cbranch_execz .LBB440_3
; %bb.66:                               ;   in Loop: Header=BB440_5 Depth=1
	global_load_u16 v14, v[18:19], off offset:32
	s_wait_loadcnt 0x0
	v_lshlrev_b32_e32 v14, 16, v14
	s_delay_alu instid0(VALU_DEP_1) | instskip(SKIP_1) | instid1(VALU_DEP_1)
	v_mul_f32_e32 v14, s39, v14
	s_wait_xcnt 0x0
	v_and_b32_e32 v18, 0x7f800000, v14
	s_delay_alu instid0(VALU_DEP_1) | instskip(SKIP_1) | instid1(SALU_CYCLE_1)
	v_cmp_ne_u32_e32 vcc_lo, 0x7f800000, v18
                                        ; implicit-def: $vgpr18
	s_and_saveexec_b32 s20, vcc_lo
	s_xor_b32 s20, exec_lo, s20
; %bb.67:                               ;   in Loop: Header=BB440_5 Depth=1
	v_bfe_u32 v18, v14, 16, 1
	s_delay_alu instid0(VALU_DEP_1)
	v_add3_u32 v18, v14, v18, 0x7fff
                                        ; implicit-def: $vgpr14
; %bb.68:                               ;   in Loop: Header=BB440_5 Depth=1
	s_and_not1_saveexec_b32 s20, s20
; %bb.69:                               ;   in Loop: Header=BB440_5 Depth=1
	v_and_b32_e32 v18, 0xffff, v14
	v_or_b32_e32 v19, 0x10000, v14
	s_delay_alu instid0(VALU_DEP_2) | instskip(NEXT) | instid1(VALU_DEP_2)
	v_cmp_eq_u32_e32 vcc_lo, 0, v18
	v_cndmask_b32_e32 v18, v19, v14, vcc_lo
; %bb.70:                               ;   in Loop: Header=BB440_5 Depth=1
	s_or_b32 exec_lo, exec_lo, s20
	s_delay_alu instid0(VALU_DEP_1) | instskip(NEXT) | instid1(VALU_DEP_1)
	v_fma_mix_f32_bf16 v14, s38, v15, v18 op_sel:[0,0,1] op_sel_hi:[0,0,1]
	v_and_b32_e32 v15, 0x7f800000, v14
	s_delay_alu instid0(VALU_DEP_1) | instskip(SKIP_1) | instid1(SALU_CYCLE_1)
	v_cmp_ne_u32_e32 vcc_lo, 0x7f800000, v15
                                        ; implicit-def: $vgpr15
	s_and_saveexec_b32 s20, vcc_lo
	s_xor_b32 s20, exec_lo, s20
; %bb.71:                               ;   in Loop: Header=BB440_5 Depth=1
	v_bfe_u32 v15, v14, 16, 1
	s_delay_alu instid0(VALU_DEP_1)
	v_add3_u32 v15, v14, v15, 0x7fff
                                        ; implicit-def: $vgpr14
; %bb.72:                               ;   in Loop: Header=BB440_5 Depth=1
	s_and_not1_saveexec_b32 s20, s20
	s_cbranch_execz .LBB440_2
; %bb.73:                               ;   in Loop: Header=BB440_5 Depth=1
	v_and_b32_e32 v15, 0xffff, v14
	v_or_b32_e32 v18, 0x10000, v14
	s_delay_alu instid0(VALU_DEP_2) | instskip(NEXT) | instid1(VALU_DEP_2)
	v_cmp_eq_u32_e32 vcc_lo, 0, v15
	v_cndmask_b32_e32 v15, v18, v14, vcc_lo
	s_branch .LBB440_2
.LBB440_74:
	s_endpgm
	.section	.rodata,"a",@progbits
	.p2align	6, 0x0
	.amdhsa_kernel _ZN12_GLOBAL__N_135rocblas_gemm_batched_general_kernelIfLi16ELi16ELi32ELi32ELi8ELi32ELi8ELi8ELi32ELc67ELc67EK16rocblas_bfloat16S2_S1_EEvlllT_PT11_llS5_llS3_PT12_llPT13_lli
		.amdhsa_group_segment_fixed_size 2048
		.amdhsa_private_segment_fixed_size 0
		.amdhsa_kernarg_size 140
		.amdhsa_user_sgpr_count 2
		.amdhsa_user_sgpr_dispatch_ptr 0
		.amdhsa_user_sgpr_queue_ptr 0
		.amdhsa_user_sgpr_kernarg_segment_ptr 1
		.amdhsa_user_sgpr_dispatch_id 0
		.amdhsa_user_sgpr_kernarg_preload_length 0
		.amdhsa_user_sgpr_kernarg_preload_offset 0
		.amdhsa_user_sgpr_private_segment_size 0
		.amdhsa_wavefront_size32 1
		.amdhsa_uses_dynamic_stack 0
		.amdhsa_enable_private_segment 0
		.amdhsa_system_sgpr_workgroup_id_x 1
		.amdhsa_system_sgpr_workgroup_id_y 1
		.amdhsa_system_sgpr_workgroup_id_z 1
		.amdhsa_system_sgpr_workgroup_info 0
		.amdhsa_system_vgpr_workitem_id 1
		.amdhsa_next_free_vgpr 52
		.amdhsa_next_free_sgpr 43
		.amdhsa_named_barrier_count 0
		.amdhsa_reserve_vcc 1
		.amdhsa_float_round_mode_32 0
		.amdhsa_float_round_mode_16_64 0
		.amdhsa_float_denorm_mode_32 3
		.amdhsa_float_denorm_mode_16_64 3
		.amdhsa_fp16_overflow 0
		.amdhsa_memory_ordered 1
		.amdhsa_forward_progress 1
		.amdhsa_inst_pref_size 23
		.amdhsa_round_robin_scheduling 0
		.amdhsa_exception_fp_ieee_invalid_op 0
		.amdhsa_exception_fp_denorm_src 0
		.amdhsa_exception_fp_ieee_div_zero 0
		.amdhsa_exception_fp_ieee_overflow 0
		.amdhsa_exception_fp_ieee_underflow 0
		.amdhsa_exception_fp_ieee_inexact 0
		.amdhsa_exception_int_div_zero 0
	.end_amdhsa_kernel
	.section	.text._ZN12_GLOBAL__N_135rocblas_gemm_batched_general_kernelIfLi16ELi16ELi32ELi32ELi8ELi32ELi8ELi8ELi32ELc67ELc67EK16rocblas_bfloat16S2_S1_EEvlllT_PT11_llS5_llS3_PT12_llPT13_lli,"axG",@progbits,_ZN12_GLOBAL__N_135rocblas_gemm_batched_general_kernelIfLi16ELi16ELi32ELi32ELi8ELi32ELi8ELi8ELi32ELc67ELc67EK16rocblas_bfloat16S2_S1_EEvlllT_PT11_llS5_llS3_PT12_llPT13_lli,comdat
.Lfunc_end440:
	.size	_ZN12_GLOBAL__N_135rocblas_gemm_batched_general_kernelIfLi16ELi16ELi32ELi32ELi8ELi32ELi8ELi8ELi32ELc67ELc67EK16rocblas_bfloat16S2_S1_EEvlllT_PT11_llS5_llS3_PT12_llPT13_lli, .Lfunc_end440-_ZN12_GLOBAL__N_135rocblas_gemm_batched_general_kernelIfLi16ELi16ELi32ELi32ELi8ELi32ELi8ELi8ELi32ELc67ELc67EK16rocblas_bfloat16S2_S1_EEvlllT_PT11_llS5_llS3_PT12_llPT13_lli
                                        ; -- End function
	.set _ZN12_GLOBAL__N_135rocblas_gemm_batched_general_kernelIfLi16ELi16ELi32ELi32ELi8ELi32ELi8ELi8ELi32ELc67ELc67EK16rocblas_bfloat16S2_S1_EEvlllT_PT11_llS5_llS3_PT12_llPT13_lli.num_vgpr, 52
	.set _ZN12_GLOBAL__N_135rocblas_gemm_batched_general_kernelIfLi16ELi16ELi32ELi32ELi8ELi32ELi8ELi8ELi32ELc67ELc67EK16rocblas_bfloat16S2_S1_EEvlllT_PT11_llS5_llS3_PT12_llPT13_lli.num_agpr, 0
	.set _ZN12_GLOBAL__N_135rocblas_gemm_batched_general_kernelIfLi16ELi16ELi32ELi32ELi8ELi32ELi8ELi8ELi32ELc67ELc67EK16rocblas_bfloat16S2_S1_EEvlllT_PT11_llS5_llS3_PT12_llPT13_lli.numbered_sgpr, 43
	.set _ZN12_GLOBAL__N_135rocblas_gemm_batched_general_kernelIfLi16ELi16ELi32ELi32ELi8ELi32ELi8ELi8ELi32ELc67ELc67EK16rocblas_bfloat16S2_S1_EEvlllT_PT11_llS5_llS3_PT12_llPT13_lli.num_named_barrier, 0
	.set _ZN12_GLOBAL__N_135rocblas_gemm_batched_general_kernelIfLi16ELi16ELi32ELi32ELi8ELi32ELi8ELi8ELi32ELc67ELc67EK16rocblas_bfloat16S2_S1_EEvlllT_PT11_llS5_llS3_PT12_llPT13_lli.private_seg_size, 0
	.set _ZN12_GLOBAL__N_135rocblas_gemm_batched_general_kernelIfLi16ELi16ELi32ELi32ELi8ELi32ELi8ELi8ELi32ELc67ELc67EK16rocblas_bfloat16S2_S1_EEvlllT_PT11_llS5_llS3_PT12_llPT13_lli.uses_vcc, 1
	.set _ZN12_GLOBAL__N_135rocblas_gemm_batched_general_kernelIfLi16ELi16ELi32ELi32ELi8ELi32ELi8ELi8ELi32ELc67ELc67EK16rocblas_bfloat16S2_S1_EEvlllT_PT11_llS5_llS3_PT12_llPT13_lli.uses_flat_scratch, 0
	.set _ZN12_GLOBAL__N_135rocblas_gemm_batched_general_kernelIfLi16ELi16ELi32ELi32ELi8ELi32ELi8ELi8ELi32ELc67ELc67EK16rocblas_bfloat16S2_S1_EEvlllT_PT11_llS5_llS3_PT12_llPT13_lli.has_dyn_sized_stack, 0
	.set _ZN12_GLOBAL__N_135rocblas_gemm_batched_general_kernelIfLi16ELi16ELi32ELi32ELi8ELi32ELi8ELi8ELi32ELc67ELc67EK16rocblas_bfloat16S2_S1_EEvlllT_PT11_llS5_llS3_PT12_llPT13_lli.has_recursion, 0
	.set _ZN12_GLOBAL__N_135rocblas_gemm_batched_general_kernelIfLi16ELi16ELi32ELi32ELi8ELi32ELi8ELi8ELi32ELc67ELc67EK16rocblas_bfloat16S2_S1_EEvlllT_PT11_llS5_llS3_PT12_llPT13_lli.has_indirect_call, 0
	.section	.AMDGPU.csdata,"",@progbits
; Kernel info:
; codeLenInByte = 2844
; TotalNumSgprs: 45
; NumVgprs: 52
; ScratchSize: 0
; MemoryBound: 0
; FloatMode: 240
; IeeeMode: 1
; LDSByteSize: 2048 bytes/workgroup (compile time only)
; SGPRBlocks: 0
; VGPRBlocks: 3
; NumSGPRsForWavesPerEU: 45
; NumVGPRsForWavesPerEU: 52
; NamedBarCnt: 0
; Occupancy: 16
; WaveLimiterHint : 0
; COMPUTE_PGM_RSRC2:SCRATCH_EN: 0
; COMPUTE_PGM_RSRC2:USER_SGPR: 2
; COMPUTE_PGM_RSRC2:TRAP_HANDLER: 0
; COMPUTE_PGM_RSRC2:TGID_X_EN: 1
; COMPUTE_PGM_RSRC2:TGID_Y_EN: 1
; COMPUTE_PGM_RSRC2:TGID_Z_EN: 1
; COMPUTE_PGM_RSRC2:TIDIG_COMP_CNT: 1
	.section	.text._ZN12_GLOBAL__N_135rocblas_gemm_batched_general_kernelIfLi16ELi16ELi32ELi32ELi8ELi32ELi8ELi8ELi32ELc67ELc78EK16rocblas_bfloat16S2_S1_EEvlllT_PT11_llS5_llS3_PT12_llPT13_lli,"axG",@progbits,_ZN12_GLOBAL__N_135rocblas_gemm_batched_general_kernelIfLi16ELi16ELi32ELi32ELi8ELi32ELi8ELi8ELi32ELc67ELc78EK16rocblas_bfloat16S2_S1_EEvlllT_PT11_llS5_llS3_PT12_llPT13_lli,comdat
	.globl	_ZN12_GLOBAL__N_135rocblas_gemm_batched_general_kernelIfLi16ELi16ELi32ELi32ELi8ELi32ELi8ELi8ELi32ELc67ELc78EK16rocblas_bfloat16S2_S1_EEvlllT_PT11_llS5_llS3_PT12_llPT13_lli ; -- Begin function _ZN12_GLOBAL__N_135rocblas_gemm_batched_general_kernelIfLi16ELi16ELi32ELi32ELi8ELi32ELi8ELi8ELi32ELc67ELc78EK16rocblas_bfloat16S2_S1_EEvlllT_PT11_llS5_llS3_PT12_llPT13_lli
	.p2align	8
	.type	_ZN12_GLOBAL__N_135rocblas_gemm_batched_general_kernelIfLi16ELi16ELi32ELi32ELi8ELi32ELi8ELi8ELi32ELc67ELc78EK16rocblas_bfloat16S2_S1_EEvlllT_PT11_llS5_llS3_PT12_llPT13_lli,@function
_ZN12_GLOBAL__N_135rocblas_gemm_batched_general_kernelIfLi16ELi16ELi32ELi32ELi8ELi32ELi8ELi8ELi32ELc67ELc78EK16rocblas_bfloat16S2_S1_EEvlllT_PT11_llS5_llS3_PT12_llPT13_lli: ; @_ZN12_GLOBAL__N_135rocblas_gemm_batched_general_kernelIfLi16ELi16ELi32ELi32ELi8ELi32ELi8ELi8ELi32ELc67ELc78EK16rocblas_bfloat16S2_S1_EEvlllT_PT11_llS5_llS3_PT12_llPT13_lli
; %bb.0:
	s_load_b32 s33, s[0:1], 0x88
	s_bfe_u32 s2, ttmp6, 0x40014
	s_lshr_b32 s3, ttmp7, 16
	s_add_co_i32 s2, s2, 1
	s_bfe_u32 s5, ttmp6, 0x40008
	s_mul_i32 s4, s3, s2
	s_getreg_b32 s2, hwreg(HW_REG_IB_STS2, 6, 4)
	s_add_co_i32 s5, s5, s4
	s_cmp_eq_u32 s2, 0
	s_mov_b32 s35, 0
	s_cselect_b32 s34, s3, s5
	s_wait_kmcnt 0x0
	s_cmp_ge_i32 s34, s33
	s_cbranch_scc1 .LBB441_74
; %bb.1:
	v_bfe_u32 v8, v0, 10, 10
	v_and_b32_e32 v10, 0x3ff, v0
	s_bfe_u32 s3, ttmp6, 0x4000c
	s_bfe_u32 s25, ttmp6, 0x40010
	s_clause 0x2
	s_load_b256 s[16:23], s[0:1], 0x20
	s_load_b128 s[4:7], s[0:1], 0x40
	s_load_b256 s[8:15], s[0:1], 0x58
	s_add_co_i32 s3, s3, 1
	s_and_b32 s26, ttmp7, 0xffff
	s_add_co_i32 s25, s25, 1
	v_lshl_add_u32 v1, v8, 4, v10
	v_mov_b32_e32 v9, 0
	s_and_b32 s24, ttmp6, 15
	s_mul_i32 s3, ttmp9, s3
	s_mul_i32 s25, s26, s25
	s_bfe_u32 s27, ttmp6, 0x40004
	s_add_co_i32 s24, s24, s3
	s_add_co_i32 s27, s27, s25
	s_cmp_eq_u32 s2, 0
	v_dual_mov_b32 v7, v9 :: v_dual_lshrrev_b32 v6, 3, v1
	v_and_b32_e32 v4, 31, v1
	s_cselect_b32 s3, s26, s27
	s_cselect_b32 s2, ttmp9, s24
	s_lshl_b32 s36, s3, 5
	s_mov_b32 s37, s35
	s_ashr_i32 s3, s2, 31
	v_add_nc_u64_e32 v[12:13], s[36:37], v[6:7]
	s_clause 0x1
	s_load_b32 s39, s[0:1], 0x50
	s_load_b128 s[24:27], s[0:1], 0x78
	s_lshl_b64 s[2:3], s[2:3], 5
	v_add_nc_u64_e32 v[18:19], s[36:37], v[8:9]
	v_dual_mov_b32 v15, s3 :: v_dual_bitop2_b32 v14, s2, v4 bitop3:0x54
	s_wait_kmcnt 0x0
	v_mul_u64_e32 v[16:17], s[4:5], v[12:13]
	s_clause 0x1
	s_load_b128 s[28:31], s[0:1], 0x0
	s_load_b96 s[36:38], s[0:1], 0x10
	v_dual_mov_b32 v3, v9 :: v_dual_lshlrev_b32 v24, 2, v4
	v_mul_u64_e32 v[20:21], s[18:19], v[14:15]
	v_mul_u64_e32 v[22:23], s[10:11], v[18:19]
	v_dual_mov_b32 v11, v9 :: v_dual_bitop2_b32 v0, 7, v0 bitop3:0x40
	v_dual_mov_b32 v1, v9 :: v_dual_lshrrev_b32 v2, 5, v1
	v_lshl_add_u32 v26, v8, 5, 0x400
	s_delay_alu instid0(VALU_DEP_3) | instskip(SKIP_3) | instid1(VALU_DEP_3)
	v_dual_lshlrev_b32 v7, 2, v0 :: v_dual_lshlrev_b32 v8, 1, v0
	v_lshlrev_b32_e32 v27, 2, v10
	v_mul_u64_e32 v[4:5], s[24:25], v[18:19]
	s_cmp_eq_f32 s39, 0
	v_lshl_or_b32 v25, v6, 5, v7
	v_add_nc_u64_e32 v[6:7], s[2:3], v[10:11]
	v_lshl_or_b32 v24, v2, 7, v24
	s_cselect_b32 s40, -1, 0
	s_wait_kmcnt 0x0
	v_cmp_gt_i64_e64 s0, s[28:29], v[14:15]
	v_cmp_gt_i64_e64 s1, s[30:31], v[12:13]
	v_add_nc_u64_e32 v[12:13], 16, v[18:19]
	v_cmp_gt_i64_e64 s2, s[30:31], v[18:19]
	v_add_nc_u64_e32 v[10:11], 16, v[6:7]
	v_cmp_gt_i64_e64 s3, s[28:29], v[6:7]
	v_add_nc_u32_e32 v25, 0x400, v25
	s_lshl_b64 s[18:19], s[24:25], 4
	s_lshl_b64 s[6:7], s[6:7], 1
	v_cmp_gt_i64_e64 s5, s[30:31], v[12:13]
	v_lshl_add_u64 v[14:15], v[16:17], 1, v[8:9]
	v_lshlrev_b32_e32 v8, 1, v2
	v_cmp_gt_i64_e64 s4, s[28:29], v[10:11]
	s_delay_alu instid0(VALU_DEP_3) | instskip(NEXT) | instid1(VALU_DEP_3)
	v_add_nc_u64_e32 v[10:11], s[22:23], v[14:15]
	v_lshl_add_u64 v[16:17], v[20:21], 1, v[8:9]
	v_cmp_gt_i64_e64 s22, s[36:37], 0
	v_lshl_add_u64 v[8:9], v[22:23], 1, s[8:9]
	s_lshl_b64 s[8:9], s[10:11], 4
	s_lshl_b64 s[10:11], s[20:21], 1
	v_add_nc_u64_e32 v[12:13], s[16:17], v[16:17]
	s_branch .LBB441_5
.LBB441_2:                              ;   in Loop: Header=BB441_5 Depth=1
	s_or_b32 exec_lo, exec_lo, s16
	global_store_d16_hi_b16 v[16:17], v15, off offset:32
.LBB441_3:                              ;   in Loop: Header=BB441_5 Depth=1
	s_wait_xcnt 0x0
	s_or_b32 exec_lo, exec_lo, s20
.LBB441_4:                              ;   in Loop: Header=BB441_5 Depth=1
	s_add_co_i32 s34, s34, 0x10000
	s_delay_alu instid0(SALU_CYCLE_1)
	s_cmp_lt_i32 s34, s33
	s_cbranch_scc0 .LBB441_74
.LBB441_5:                              ; =>This Loop Header: Depth=1
                                        ;     Child Loop BB441_8 Depth 2
	v_dual_mov_b32 v17, 0 :: v_dual_mov_b32 v16, 0
	v_dual_mov_b32 v15, 0 :: v_dual_mov_b32 v14, 0
	s_and_not1_b32 vcc_lo, exec_lo, s22
	s_cbranch_vccnz .LBB441_12
; %bb.6:                                ;   in Loop: Header=BB441_5 Depth=1
	v_mad_nc_u64_u32 v[18:19], s6, s34, v[10:11]
	v_mad_nc_u64_u32 v[20:21], s10, s34, v[12:13]
	v_mov_b32_e32 v16, 0
	s_mov_b64 s[16:17], 0
	s_delay_alu instid0(VALU_DEP_1)
	v_dual_mov_b32 v17, v16 :: v_dual_mov_b32 v14, v16
	v_mov_b32_e32 v15, v16
	v_mad_u32 v19, s7, s34, v19
	v_mad_u32 v21, s11, s34, v21
	s_branch .LBB441_8
.LBB441_7:                              ;   in Loop: Header=BB441_8 Depth=2
	s_wait_xcnt 0x0
	s_or_b32 exec_lo, exec_lo, s20
	ds_store_b32 v25, v23
	s_wait_dscnt 0x0
	s_barrier_signal -1
	s_barrier_wait -1
	ds_load_b128 v[28:31], v26
	ds_load_2addr_b32 v[22:23], v27 offset1:16
	ds_load_b128 v[32:35], v26 offset:512
	ds_load_2addr_b32 v[44:45], v27 offset0:32 offset1:48
	ds_load_2addr_b32 v[46:47], v27 offset0:64 offset1:80
	;; [unrolled: 1-line block ×3, first 2 shown]
	ds_load_b128 v[36:39], v26 offset:16
	ds_load_2addr_b32 v[50:51], v27 offset0:128 offset1:144
	ds_load_b128 v[40:43], v26 offset:528
	s_add_nc_u64 s[16:17], s[16:17], 8
	v_add_nc_u64_e32 v[18:19], 16, v[18:19]
	v_cmp_lt_i64_e64 s20, s[16:17], s[36:37]
	v_add_nc_u64_e32 v[20:21], 16, v[20:21]
	s_and_b32 vcc_lo, exec_lo, s20
	s_wait_dscnt 0x7
	v_pk_fma_f32 v[16:17], v[22:23], v[28:29], v[16:17] op_sel_hi:[1,0,1]
	s_wait_dscnt 0x6
	v_pk_fma_f32 v[14:15], v[22:23], v[32:33], v[14:15] op_sel_hi:[1,0,1]
	ds_load_2addr_b32 v[22:23], v27 offset0:160 offset1:176
	s_wait_dscnt 0x6
	v_pk_fma_f32 v[16:17], v[44:45], v[28:29], v[16:17] op_sel:[0,1,0]
	v_pk_fma_f32 v[14:15], v[44:45], v[32:33], v[14:15] op_sel:[0,1,0]
	ds_load_2addr_b32 v[28:29], v27 offset0:192 offset1:208
	v_dual_mov_b32 v32, v31 :: v_dual_mov_b32 v44, v35
	s_wait_dscnt 0x6
	v_pk_fma_f32 v[16:17], v[46:47], v[30:31], v[16:17] op_sel_hi:[1,0,1]
	v_pk_fma_f32 v[14:15], v[46:47], v[34:35], v[14:15] op_sel_hi:[1,0,1]
	ds_load_2addr_b32 v[30:31], v27 offset0:224 offset1:240
	s_wait_dscnt 0x0
	s_barrier_signal -1
	v_pk_fma_f32 v[16:17], v[48:49], v[32:33], v[16:17] op_sel_hi:[1,0,1]
	v_pk_fma_f32 v[14:15], v[48:49], v[44:45], v[14:15] op_sel_hi:[1,0,1]
	s_barrier_wait -1
	v_mov_b32_e32 v32, v43
	s_delay_alu instid0(VALU_DEP_3) | instskip(NEXT) | instid1(VALU_DEP_3)
	v_pk_fma_f32 v[16:17], v[50:51], v[36:37], v[16:17] op_sel_hi:[1,0,1]
	v_pk_fma_f32 v[14:15], v[50:51], v[40:41], v[14:15] op_sel_hi:[1,0,1]
	s_delay_alu instid0(VALU_DEP_2) | instskip(NEXT) | instid1(VALU_DEP_2)
	v_pk_fma_f32 v[16:17], v[22:23], v[36:37], v[16:17] op_sel:[0,1,0]
	v_pk_fma_f32 v[14:15], v[22:23], v[40:41], v[14:15] op_sel:[0,1,0]
	v_mov_b32_e32 v22, v39
	s_delay_alu instid0(VALU_DEP_3) | instskip(NEXT) | instid1(VALU_DEP_3)
	v_pk_fma_f32 v[16:17], v[28:29], v[38:39], v[16:17] op_sel_hi:[1,0,1]
	v_pk_fma_f32 v[14:15], v[28:29], v[42:43], v[14:15] op_sel_hi:[1,0,1]
	s_delay_alu instid0(VALU_DEP_2) | instskip(NEXT) | instid1(VALU_DEP_2)
	v_pk_fma_f32 v[16:17], v[30:31], v[22:23], v[16:17] op_sel_hi:[1,0,1]
	v_pk_fma_f32 v[14:15], v[30:31], v[32:33], v[14:15] op_sel_hi:[1,0,1]
	s_cbranch_vccz .LBB441_12
.LBB441_8:                              ;   Parent Loop BB441_5 Depth=1
                                        ; =>  This Inner Loop Header: Depth=2
	v_add_nc_u64_e32 v[22:23], s[16:17], v[2:3]
	s_delay_alu instid0(VALU_DEP_1) | instskip(SKIP_2) | instid1(SALU_CYCLE_1)
	v_cmp_gt_i64_e32 vcc_lo, s[36:37], v[22:23]
	v_mov_b32_e32 v22, 0
	s_and_b32 s21, s0, vcc_lo
	s_and_saveexec_b32 s20, s21
	s_cbranch_execz .LBB441_10
; %bb.9:                                ;   in Loop: Header=BB441_8 Depth=2
	global_load_u16 v22, v[20:21], off
	s_wait_loadcnt 0x0
	v_lshlrev_b32_e32 v22, 16, v22
.LBB441_10:                             ;   in Loop: Header=BB441_8 Depth=2
	s_wait_xcnt 0x0
	s_or_b32 exec_lo, exec_lo, s20
	v_add_nc_u64_e32 v[28:29], s[16:17], v[0:1]
	v_mov_b32_e32 v23, 0
	ds_store_b32 v24, v22
	v_cmp_gt_i64_e32 vcc_lo, s[36:37], v[28:29]
	s_and_b32 s21, vcc_lo, s1
	s_delay_alu instid0(SALU_CYCLE_1)
	s_and_saveexec_b32 s20, s21
	s_cbranch_execz .LBB441_7
; %bb.11:                               ;   in Loop: Header=BB441_8 Depth=2
	global_load_u16 v22, v[18:19], off
	s_wait_loadcnt 0x0
	v_lshlrev_b32_e32 v23, 16, v22
	s_branch .LBB441_7
.LBB441_12:                             ;   in Loop: Header=BB441_5 Depth=1
	s_mul_u64 s[16:17], s[26:27], s[34:35]
	s_and_not1_b32 vcc_lo, exec_lo, s40
	s_lshl_b64 s[16:17], s[16:17], 1
	s_delay_alu instid0(SALU_CYCLE_1)
	s_add_nc_u64 s[16:17], s[14:15], s[16:17]
	s_cbranch_vccnz .LBB441_17
; %bb.13:                               ;   in Loop: Header=BB441_5 Depth=1
	s_and_saveexec_b32 s20, s2
	s_cbranch_execz .LBB441_32
; %bb.14:                               ;   in Loop: Header=BB441_5 Depth=1
	v_lshl_add_u64 v[18:19], v[4:5], 1, s[16:17]
	s_and_saveexec_b32 s21, s3
	s_cbranch_execnz .LBB441_18
; %bb.15:                               ;   in Loop: Header=BB441_5 Depth=1
	s_or_b32 exec_lo, exec_lo, s21
	s_and_saveexec_b32 s21, s4
	s_cbranch_execnz .LBB441_23
.LBB441_16:                             ;   in Loop: Header=BB441_5 Depth=1
	s_or_b32 exec_lo, exec_lo, s21
	s_delay_alu instid0(SALU_CYCLE_1)
	s_and_b32 exec_lo, exec_lo, s5
	s_cbranch_execnz .LBB441_28
	s_branch .LBB441_32
.LBB441_17:                             ;   in Loop: Header=BB441_5 Depth=1
	s_branch .LBB441_33
.LBB441_18:                             ;   in Loop: Header=BB441_5 Depth=1
	v_mul_f32_e32 v20, s38, v16
	s_delay_alu instid0(VALU_DEP_1) | instskip(NEXT) | instid1(VALU_DEP_1)
	v_and_b32_e32 v21, 0x7f800000, v20
	v_cmp_ne_u32_e32 vcc_lo, 0x7f800000, v21
                                        ; implicit-def: $vgpr21
	s_and_saveexec_b32 s23, vcc_lo
	s_delay_alu instid0(SALU_CYCLE_1)
	s_xor_b32 s23, exec_lo, s23
; %bb.19:                               ;   in Loop: Header=BB441_5 Depth=1
	v_bfe_u32 v21, v20, 16, 1
	s_delay_alu instid0(VALU_DEP_1)
	v_add3_u32 v21, v20, v21, 0x7fff
                                        ; implicit-def: $vgpr20
; %bb.20:                               ;   in Loop: Header=BB441_5 Depth=1
	s_and_not1_saveexec_b32 s23, s23
; %bb.21:                               ;   in Loop: Header=BB441_5 Depth=1
	v_and_b32_e32 v21, 0xffff, v20
	v_or_b32_e32 v22, 0x10000, v20
	s_delay_alu instid0(VALU_DEP_2) | instskip(NEXT) | instid1(VALU_DEP_2)
	v_cmp_eq_u32_e32 vcc_lo, 0, v21
	v_cndmask_b32_e32 v21, v22, v20, vcc_lo
; %bb.22:                               ;   in Loop: Header=BB441_5 Depth=1
	s_or_b32 exec_lo, exec_lo, s23
	v_lshl_add_u64 v[22:23], v[6:7], 1, v[18:19]
	global_store_d16_hi_b16 v[22:23], v21, off
	s_wait_xcnt 0x0
	s_or_b32 exec_lo, exec_lo, s21
	s_and_saveexec_b32 s21, s4
	s_cbranch_execz .LBB441_16
.LBB441_23:                             ;   in Loop: Header=BB441_5 Depth=1
	v_mul_f32_e32 v20, s38, v17
	s_delay_alu instid0(VALU_DEP_1) | instskip(NEXT) | instid1(VALU_DEP_1)
	v_and_b32_e32 v21, 0x7f800000, v20
	v_cmp_ne_u32_e32 vcc_lo, 0x7f800000, v21
                                        ; implicit-def: $vgpr21
	s_and_saveexec_b32 s23, vcc_lo
	s_delay_alu instid0(SALU_CYCLE_1)
	s_xor_b32 s23, exec_lo, s23
; %bb.24:                               ;   in Loop: Header=BB441_5 Depth=1
	v_bfe_u32 v21, v20, 16, 1
	s_delay_alu instid0(VALU_DEP_1)
	v_add3_u32 v21, v20, v21, 0x7fff
                                        ; implicit-def: $vgpr20
; %bb.25:                               ;   in Loop: Header=BB441_5 Depth=1
	s_and_not1_saveexec_b32 s23, s23
; %bb.26:                               ;   in Loop: Header=BB441_5 Depth=1
	v_and_b32_e32 v21, 0xffff, v20
	v_or_b32_e32 v22, 0x10000, v20
	s_delay_alu instid0(VALU_DEP_2) | instskip(NEXT) | instid1(VALU_DEP_2)
	v_cmp_eq_u32_e32 vcc_lo, 0, v21
	v_cndmask_b32_e32 v21, v22, v20, vcc_lo
; %bb.27:                               ;   in Loop: Header=BB441_5 Depth=1
	s_or_b32 exec_lo, exec_lo, s23
	v_lshl_add_u64 v[22:23], v[6:7], 1, v[18:19]
	global_store_d16_hi_b16 v[22:23], v21, off offset:32
	s_wait_xcnt 0x0
	s_or_b32 exec_lo, exec_lo, s21
	s_delay_alu instid0(SALU_CYCLE_1)
	s_and_b32 exec_lo, exec_lo, s5
	s_cbranch_execz .LBB441_32
.LBB441_28:                             ;   in Loop: Header=BB441_5 Depth=1
	v_lshl_add_u64 v[18:19], s[18:19], 1, v[18:19]
	s_delay_alu instid0(VALU_DEP_1)
	v_lshl_add_u64 v[18:19], v[6:7], 1, v[18:19]
	s_and_saveexec_b32 s21, s3
	s_cbranch_execz .LBB441_30
; %bb.29:                               ;   in Loop: Header=BB441_5 Depth=1
	v_mul_f32_e32 v20, s38, v14
	s_delay_alu instid0(VALU_DEP_1) | instskip(SKIP_3) | instid1(VALU_DEP_4)
	v_and_b32_e32 v22, 0xffff, v20
	v_bfe_u32 v21, v20, 16, 1
	v_or_b32_e32 v23, 0x10000, v20
	v_and_b32_e32 v28, 0x7f800000, v20
	v_cmp_eq_u32_e32 vcc_lo, 0, v22
	s_delay_alu instid0(VALU_DEP_4) | instskip(NEXT) | instid1(VALU_DEP_4)
	v_add3_u32 v21, v20, v21, 0x7fff
	v_cndmask_b32_e32 v20, v23, v20, vcc_lo
	s_delay_alu instid0(VALU_DEP_4) | instskip(NEXT) | instid1(VALU_DEP_2)
	v_cmp_eq_u32_e32 vcc_lo, 0x7f800000, v28
	v_cndmask_b32_e32 v20, v21, v20, vcc_lo
	global_store_d16_hi_b16 v[18:19], v20, off
.LBB441_30:                             ;   in Loop: Header=BB441_5 Depth=1
	s_wait_xcnt 0x0
	s_or_b32 exec_lo, exec_lo, s21
	s_delay_alu instid0(SALU_CYCLE_1)
	s_and_b32 exec_lo, exec_lo, s4
	s_cbranch_execz .LBB441_32
; %bb.31:                               ;   in Loop: Header=BB441_5 Depth=1
	v_mul_f32_e32 v20, s38, v15
	s_delay_alu instid0(VALU_DEP_1) | instskip(SKIP_3) | instid1(VALU_DEP_4)
	v_and_b32_e32 v22, 0xffff, v20
	v_bfe_u32 v21, v20, 16, 1
	v_or_b32_e32 v23, 0x10000, v20
	v_and_b32_e32 v28, 0x7f800000, v20
	v_cmp_eq_u32_e32 vcc_lo, 0, v22
	s_delay_alu instid0(VALU_DEP_4) | instskip(NEXT) | instid1(VALU_DEP_4)
	v_add3_u32 v21, v20, v21, 0x7fff
	v_cndmask_b32_e32 v20, v23, v20, vcc_lo
	s_delay_alu instid0(VALU_DEP_4) | instskip(NEXT) | instid1(VALU_DEP_2)
	v_cmp_eq_u32_e32 vcc_lo, 0x7f800000, v28
	v_cndmask_b32_e32 v20, v21, v20, vcc_lo
	global_store_d16_hi_b16 v[18:19], v20, off offset:32
.LBB441_32:                             ;   in Loop: Header=BB441_5 Depth=1
	s_wait_xcnt 0x0
	s_or_b32 exec_lo, exec_lo, s20
	s_cbranch_execnz .LBB441_4
.LBB441_33:                             ;   in Loop: Header=BB441_5 Depth=1
	s_and_saveexec_b32 s20, s2
	s_cbranch_execz .LBB441_3
; %bb.34:                               ;   in Loop: Header=BB441_5 Depth=1
	s_mul_u64 s[24:25], s[12:13], s[34:35]
	v_lshl_add_u64 v[20:21], v[4:5], 1, s[16:17]
	v_lshl_add_u64 v[18:19], s[24:25], 1, v[8:9]
	s_delay_alu instid0(VALU_DEP_1)
	v_lshl_add_u64 v[22:23], v[6:7], 1, v[18:19]
	s_and_saveexec_b32 s16, s3
	s_cbranch_execnz .LBB441_37
; %bb.35:                               ;   in Loop: Header=BB441_5 Depth=1
	s_or_b32 exec_lo, exec_lo, s16
	s_and_saveexec_b32 s16, s4
	s_cbranch_execnz .LBB441_46
.LBB441_36:                             ;   in Loop: Header=BB441_5 Depth=1
	s_or_b32 exec_lo, exec_lo, s16
	s_delay_alu instid0(SALU_CYCLE_1)
	s_and_b32 exec_lo, exec_lo, s5
	s_cbranch_execz .LBB441_3
	s_branch .LBB441_55
.LBB441_37:                             ;   in Loop: Header=BB441_5 Depth=1
	global_load_u16 v28, v[22:23], off
	s_wait_loadcnt 0x0
	v_lshlrev_b32_e32 v28, 16, v28
	s_delay_alu instid0(VALU_DEP_1) | instskip(NEXT) | instid1(VALU_DEP_1)
	v_mul_f32_e32 v28, s39, v28
	v_and_b32_e32 v29, 0x7f800000, v28
	s_delay_alu instid0(VALU_DEP_1) | instskip(SKIP_2) | instid1(SALU_CYCLE_1)
	v_cmp_ne_u32_e32 vcc_lo, 0x7f800000, v29
                                        ; implicit-def: $vgpr29
	s_wait_xcnt 0x0
	s_and_saveexec_b32 s17, vcc_lo
	s_xor_b32 s17, exec_lo, s17
; %bb.38:                               ;   in Loop: Header=BB441_5 Depth=1
	v_bfe_u32 v29, v28, 16, 1
	s_delay_alu instid0(VALU_DEP_1)
	v_add3_u32 v29, v28, v29, 0x7fff
                                        ; implicit-def: $vgpr28
; %bb.39:                               ;   in Loop: Header=BB441_5 Depth=1
	s_and_not1_saveexec_b32 s17, s17
; %bb.40:                               ;   in Loop: Header=BB441_5 Depth=1
	v_and_b32_e32 v29, 0xffff, v28
	v_or_b32_e32 v30, 0x10000, v28
	s_delay_alu instid0(VALU_DEP_2) | instskip(NEXT) | instid1(VALU_DEP_2)
	v_cmp_eq_u32_e32 vcc_lo, 0, v29
	v_cndmask_b32_e32 v29, v30, v28, vcc_lo
; %bb.41:                               ;   in Loop: Header=BB441_5 Depth=1
	s_or_b32 exec_lo, exec_lo, s17
	s_delay_alu instid0(VALU_DEP_1) | instskip(NEXT) | instid1(VALU_DEP_1)
	v_fma_mix_f32_bf16 v16, s38, v16, v29 op_sel:[0,0,1] op_sel_hi:[0,0,1]
	v_and_b32_e32 v28, 0x7f800000, v16
	s_delay_alu instid0(VALU_DEP_1) | instskip(SKIP_1) | instid1(SALU_CYCLE_1)
	v_cmp_ne_u32_e32 vcc_lo, 0x7f800000, v28
                                        ; implicit-def: $vgpr28
	s_and_saveexec_b32 s17, vcc_lo
	s_xor_b32 s17, exec_lo, s17
; %bb.42:                               ;   in Loop: Header=BB441_5 Depth=1
	v_bfe_u32 v28, v16, 16, 1
	s_delay_alu instid0(VALU_DEP_1)
	v_add3_u32 v28, v16, v28, 0x7fff
                                        ; implicit-def: $vgpr16
; %bb.43:                               ;   in Loop: Header=BB441_5 Depth=1
	s_and_not1_saveexec_b32 s17, s17
; %bb.44:                               ;   in Loop: Header=BB441_5 Depth=1
	v_and_b32_e32 v28, 0xffff, v16
	v_or_b32_e32 v29, 0x10000, v16
	s_delay_alu instid0(VALU_DEP_2) | instskip(NEXT) | instid1(VALU_DEP_2)
	v_cmp_eq_u32_e32 vcc_lo, 0, v28
	v_cndmask_b32_e32 v28, v29, v16, vcc_lo
; %bb.45:                               ;   in Loop: Header=BB441_5 Depth=1
	s_or_b32 exec_lo, exec_lo, s17
	v_lshl_add_u64 v[30:31], v[6:7], 1, v[20:21]
	global_store_d16_hi_b16 v[30:31], v28, off
	s_wait_xcnt 0x0
	s_or_b32 exec_lo, exec_lo, s16
	s_and_saveexec_b32 s16, s4
	s_cbranch_execz .LBB441_36
.LBB441_46:                             ;   in Loop: Header=BB441_5 Depth=1
	global_load_u16 v16, v[22:23], off offset:32
	s_wait_loadcnt 0x0
	v_lshlrev_b32_e32 v16, 16, v16
	s_delay_alu instid0(VALU_DEP_1) | instskip(SKIP_1) | instid1(VALU_DEP_1)
	v_mul_f32_e32 v16, s39, v16
	s_wait_xcnt 0x0
	v_and_b32_e32 v22, 0x7f800000, v16
	s_delay_alu instid0(VALU_DEP_1) | instskip(SKIP_1) | instid1(SALU_CYCLE_1)
	v_cmp_ne_u32_e32 vcc_lo, 0x7f800000, v22
                                        ; implicit-def: $vgpr22
	s_and_saveexec_b32 s17, vcc_lo
	s_xor_b32 s17, exec_lo, s17
; %bb.47:                               ;   in Loop: Header=BB441_5 Depth=1
	v_bfe_u32 v22, v16, 16, 1
	s_delay_alu instid0(VALU_DEP_1)
	v_add3_u32 v22, v16, v22, 0x7fff
                                        ; implicit-def: $vgpr16
; %bb.48:                               ;   in Loop: Header=BB441_5 Depth=1
	s_and_not1_saveexec_b32 s17, s17
; %bb.49:                               ;   in Loop: Header=BB441_5 Depth=1
	v_and_b32_e32 v22, 0xffff, v16
	v_or_b32_e32 v23, 0x10000, v16
	s_delay_alu instid0(VALU_DEP_2) | instskip(NEXT) | instid1(VALU_DEP_2)
	v_cmp_eq_u32_e32 vcc_lo, 0, v22
	v_cndmask_b32_e32 v22, v23, v16, vcc_lo
; %bb.50:                               ;   in Loop: Header=BB441_5 Depth=1
	s_or_b32 exec_lo, exec_lo, s17
	s_delay_alu instid0(VALU_DEP_1) | instskip(NEXT) | instid1(VALU_DEP_1)
	v_fma_mix_f32_bf16 v16, s38, v17, v22 op_sel:[0,0,1] op_sel_hi:[0,0,1]
	v_and_b32_e32 v17, 0x7f800000, v16
	s_delay_alu instid0(VALU_DEP_1) | instskip(SKIP_1) | instid1(SALU_CYCLE_1)
	v_cmp_ne_u32_e32 vcc_lo, 0x7f800000, v17
                                        ; implicit-def: $vgpr17
	s_and_saveexec_b32 s17, vcc_lo
	s_xor_b32 s17, exec_lo, s17
; %bb.51:                               ;   in Loop: Header=BB441_5 Depth=1
	v_bfe_u32 v17, v16, 16, 1
	s_delay_alu instid0(VALU_DEP_1)
	v_add3_u32 v17, v16, v17, 0x7fff
                                        ; implicit-def: $vgpr16
; %bb.52:                               ;   in Loop: Header=BB441_5 Depth=1
	s_and_not1_saveexec_b32 s17, s17
; %bb.53:                               ;   in Loop: Header=BB441_5 Depth=1
	v_and_b32_e32 v17, 0xffff, v16
	v_or_b32_e32 v22, 0x10000, v16
	s_delay_alu instid0(VALU_DEP_2) | instskip(NEXT) | instid1(VALU_DEP_2)
	v_cmp_eq_u32_e32 vcc_lo, 0, v17
	v_cndmask_b32_e32 v17, v22, v16, vcc_lo
; %bb.54:                               ;   in Loop: Header=BB441_5 Depth=1
	s_or_b32 exec_lo, exec_lo, s17
	v_lshl_add_u64 v[22:23], v[6:7], 1, v[20:21]
	global_store_d16_hi_b16 v[22:23], v17, off offset:32
	s_wait_xcnt 0x0
	s_or_b32 exec_lo, exec_lo, s16
	s_delay_alu instid0(SALU_CYCLE_1)
	s_and_b32 exec_lo, exec_lo, s5
	s_cbranch_execz .LBB441_3
.LBB441_55:                             ;   in Loop: Header=BB441_5 Depth=1
	v_lshlrev_b64_e32 v[16:17], 1, v[6:7]
	v_lshl_add_u64 v[18:19], s[8:9], 1, v[18:19]
	v_lshl_add_u64 v[20:21], s[18:19], 1, v[20:21]
	s_delay_alu instid0(VALU_DEP_2) | instskip(NEXT) | instid1(VALU_DEP_2)
	v_add_nc_u64_e32 v[18:19], v[18:19], v[16:17]
	v_add_nc_u64_e32 v[16:17], v[20:21], v[16:17]
	s_and_saveexec_b32 s16, s3
	s_cbranch_execz .LBB441_65
; %bb.56:                               ;   in Loop: Header=BB441_5 Depth=1
	global_load_u16 v20, v[18:19], off
	s_wait_loadcnt 0x0
	v_lshlrev_b32_e32 v20, 16, v20
	s_delay_alu instid0(VALU_DEP_1) | instskip(NEXT) | instid1(VALU_DEP_1)
	v_mul_f32_e32 v20, s39, v20
	v_and_b32_e32 v21, 0x7f800000, v20
	s_delay_alu instid0(VALU_DEP_1) | instskip(SKIP_2) | instid1(SALU_CYCLE_1)
	v_cmp_ne_u32_e32 vcc_lo, 0x7f800000, v21
                                        ; implicit-def: $vgpr21
	s_wait_xcnt 0x0
	s_and_saveexec_b32 s17, vcc_lo
	s_xor_b32 s17, exec_lo, s17
; %bb.57:                               ;   in Loop: Header=BB441_5 Depth=1
	v_bfe_u32 v21, v20, 16, 1
	s_delay_alu instid0(VALU_DEP_1)
	v_add3_u32 v21, v20, v21, 0x7fff
                                        ; implicit-def: $vgpr20
; %bb.58:                               ;   in Loop: Header=BB441_5 Depth=1
	s_and_not1_saveexec_b32 s17, s17
; %bb.59:                               ;   in Loop: Header=BB441_5 Depth=1
	v_and_b32_e32 v21, 0xffff, v20
	v_or_b32_e32 v22, 0x10000, v20
	s_delay_alu instid0(VALU_DEP_2) | instskip(NEXT) | instid1(VALU_DEP_2)
	v_cmp_eq_u32_e32 vcc_lo, 0, v21
	v_cndmask_b32_e32 v21, v22, v20, vcc_lo
; %bb.60:                               ;   in Loop: Header=BB441_5 Depth=1
	s_or_b32 exec_lo, exec_lo, s17
	s_delay_alu instid0(VALU_DEP_1) | instskip(NEXT) | instid1(VALU_DEP_1)
	v_fma_mix_f32_bf16 v14, s38, v14, v21 op_sel:[0,0,1] op_sel_hi:[0,0,1]
	v_and_b32_e32 v20, 0x7f800000, v14
	s_delay_alu instid0(VALU_DEP_1) | instskip(SKIP_1) | instid1(SALU_CYCLE_1)
	v_cmp_ne_u32_e32 vcc_lo, 0x7f800000, v20
                                        ; implicit-def: $vgpr20
	s_and_saveexec_b32 s17, vcc_lo
	s_xor_b32 s17, exec_lo, s17
; %bb.61:                               ;   in Loop: Header=BB441_5 Depth=1
	v_bfe_u32 v20, v14, 16, 1
	s_delay_alu instid0(VALU_DEP_1)
	v_add3_u32 v20, v14, v20, 0x7fff
                                        ; implicit-def: $vgpr14
; %bb.62:                               ;   in Loop: Header=BB441_5 Depth=1
	s_and_not1_saveexec_b32 s17, s17
; %bb.63:                               ;   in Loop: Header=BB441_5 Depth=1
	v_and_b32_e32 v20, 0xffff, v14
	v_or_b32_e32 v21, 0x10000, v14
	s_delay_alu instid0(VALU_DEP_2) | instskip(NEXT) | instid1(VALU_DEP_2)
	v_cmp_eq_u32_e32 vcc_lo, 0, v20
	v_cndmask_b32_e32 v20, v21, v14, vcc_lo
; %bb.64:                               ;   in Loop: Header=BB441_5 Depth=1
	s_or_b32 exec_lo, exec_lo, s17
	global_store_d16_hi_b16 v[16:17], v20, off
.LBB441_65:                             ;   in Loop: Header=BB441_5 Depth=1
	s_wait_xcnt 0x0
	s_or_b32 exec_lo, exec_lo, s16
	s_delay_alu instid0(SALU_CYCLE_1)
	s_and_b32 exec_lo, exec_lo, s4
	s_cbranch_execz .LBB441_3
; %bb.66:                               ;   in Loop: Header=BB441_5 Depth=1
	global_load_u16 v14, v[18:19], off offset:32
	s_wait_loadcnt 0x0
	v_lshlrev_b32_e32 v14, 16, v14
	s_delay_alu instid0(VALU_DEP_1) | instskip(SKIP_1) | instid1(VALU_DEP_1)
	v_mul_f32_e32 v14, s39, v14
	s_wait_xcnt 0x0
	v_and_b32_e32 v18, 0x7f800000, v14
	s_delay_alu instid0(VALU_DEP_1) | instskip(SKIP_1) | instid1(SALU_CYCLE_1)
	v_cmp_ne_u32_e32 vcc_lo, 0x7f800000, v18
                                        ; implicit-def: $vgpr18
	s_and_saveexec_b32 s16, vcc_lo
	s_xor_b32 s16, exec_lo, s16
; %bb.67:                               ;   in Loop: Header=BB441_5 Depth=1
	v_bfe_u32 v18, v14, 16, 1
	s_delay_alu instid0(VALU_DEP_1)
	v_add3_u32 v18, v14, v18, 0x7fff
                                        ; implicit-def: $vgpr14
; %bb.68:                               ;   in Loop: Header=BB441_5 Depth=1
	s_and_not1_saveexec_b32 s16, s16
; %bb.69:                               ;   in Loop: Header=BB441_5 Depth=1
	v_and_b32_e32 v18, 0xffff, v14
	v_or_b32_e32 v19, 0x10000, v14
	s_delay_alu instid0(VALU_DEP_2) | instskip(NEXT) | instid1(VALU_DEP_2)
	v_cmp_eq_u32_e32 vcc_lo, 0, v18
	v_cndmask_b32_e32 v18, v19, v14, vcc_lo
; %bb.70:                               ;   in Loop: Header=BB441_5 Depth=1
	s_or_b32 exec_lo, exec_lo, s16
	s_delay_alu instid0(VALU_DEP_1) | instskip(NEXT) | instid1(VALU_DEP_1)
	v_fma_mix_f32_bf16 v14, s38, v15, v18 op_sel:[0,0,1] op_sel_hi:[0,0,1]
	v_and_b32_e32 v15, 0x7f800000, v14
	s_delay_alu instid0(VALU_DEP_1) | instskip(SKIP_1) | instid1(SALU_CYCLE_1)
	v_cmp_ne_u32_e32 vcc_lo, 0x7f800000, v15
                                        ; implicit-def: $vgpr15
	s_and_saveexec_b32 s16, vcc_lo
	s_xor_b32 s16, exec_lo, s16
; %bb.71:                               ;   in Loop: Header=BB441_5 Depth=1
	v_bfe_u32 v15, v14, 16, 1
	s_delay_alu instid0(VALU_DEP_1)
	v_add3_u32 v15, v14, v15, 0x7fff
                                        ; implicit-def: $vgpr14
; %bb.72:                               ;   in Loop: Header=BB441_5 Depth=1
	s_and_not1_saveexec_b32 s16, s16
	s_cbranch_execz .LBB441_2
; %bb.73:                               ;   in Loop: Header=BB441_5 Depth=1
	v_and_b32_e32 v15, 0xffff, v14
	v_or_b32_e32 v18, 0x10000, v14
	s_delay_alu instid0(VALU_DEP_2) | instskip(NEXT) | instid1(VALU_DEP_2)
	v_cmp_eq_u32_e32 vcc_lo, 0, v15
	v_cndmask_b32_e32 v15, v18, v14, vcc_lo
	s_branch .LBB441_2
.LBB441_74:
	s_endpgm
	.section	.rodata,"a",@progbits
	.p2align	6, 0x0
	.amdhsa_kernel _ZN12_GLOBAL__N_135rocblas_gemm_batched_general_kernelIfLi16ELi16ELi32ELi32ELi8ELi32ELi8ELi8ELi32ELc67ELc78EK16rocblas_bfloat16S2_S1_EEvlllT_PT11_llS5_llS3_PT12_llPT13_lli
		.amdhsa_group_segment_fixed_size 2048
		.amdhsa_private_segment_fixed_size 0
		.amdhsa_kernarg_size 140
		.amdhsa_user_sgpr_count 2
		.amdhsa_user_sgpr_dispatch_ptr 0
		.amdhsa_user_sgpr_queue_ptr 0
		.amdhsa_user_sgpr_kernarg_segment_ptr 1
		.amdhsa_user_sgpr_dispatch_id 0
		.amdhsa_user_sgpr_kernarg_preload_length 0
		.amdhsa_user_sgpr_kernarg_preload_offset 0
		.amdhsa_user_sgpr_private_segment_size 0
		.amdhsa_wavefront_size32 1
		.amdhsa_uses_dynamic_stack 0
		.amdhsa_enable_private_segment 0
		.amdhsa_system_sgpr_workgroup_id_x 1
		.amdhsa_system_sgpr_workgroup_id_y 1
		.amdhsa_system_sgpr_workgroup_id_z 1
		.amdhsa_system_sgpr_workgroup_info 0
		.amdhsa_system_vgpr_workitem_id 1
		.amdhsa_next_free_vgpr 52
		.amdhsa_next_free_sgpr 41
		.amdhsa_named_barrier_count 0
		.amdhsa_reserve_vcc 1
		.amdhsa_float_round_mode_32 0
		.amdhsa_float_round_mode_16_64 0
		.amdhsa_float_denorm_mode_32 3
		.amdhsa_float_denorm_mode_16_64 3
		.amdhsa_fp16_overflow 0
		.amdhsa_memory_ordered 1
		.amdhsa_forward_progress 1
		.amdhsa_inst_pref_size 23
		.amdhsa_round_robin_scheduling 0
		.amdhsa_exception_fp_ieee_invalid_op 0
		.amdhsa_exception_fp_denorm_src 0
		.amdhsa_exception_fp_ieee_div_zero 0
		.amdhsa_exception_fp_ieee_overflow 0
		.amdhsa_exception_fp_ieee_underflow 0
		.amdhsa_exception_fp_ieee_inexact 0
		.amdhsa_exception_int_div_zero 0
	.end_amdhsa_kernel
	.section	.text._ZN12_GLOBAL__N_135rocblas_gemm_batched_general_kernelIfLi16ELi16ELi32ELi32ELi8ELi32ELi8ELi8ELi32ELc67ELc78EK16rocblas_bfloat16S2_S1_EEvlllT_PT11_llS5_llS3_PT12_llPT13_lli,"axG",@progbits,_ZN12_GLOBAL__N_135rocblas_gemm_batched_general_kernelIfLi16ELi16ELi32ELi32ELi8ELi32ELi8ELi8ELi32ELc67ELc78EK16rocblas_bfloat16S2_S1_EEvlllT_PT11_llS5_llS3_PT12_llPT13_lli,comdat
.Lfunc_end441:
	.size	_ZN12_GLOBAL__N_135rocblas_gemm_batched_general_kernelIfLi16ELi16ELi32ELi32ELi8ELi32ELi8ELi8ELi32ELc67ELc78EK16rocblas_bfloat16S2_S1_EEvlllT_PT11_llS5_llS3_PT12_llPT13_lli, .Lfunc_end441-_ZN12_GLOBAL__N_135rocblas_gemm_batched_general_kernelIfLi16ELi16ELi32ELi32ELi8ELi32ELi8ELi8ELi32ELc67ELc78EK16rocblas_bfloat16S2_S1_EEvlllT_PT11_llS5_llS3_PT12_llPT13_lli
                                        ; -- End function
	.set _ZN12_GLOBAL__N_135rocblas_gemm_batched_general_kernelIfLi16ELi16ELi32ELi32ELi8ELi32ELi8ELi8ELi32ELc67ELc78EK16rocblas_bfloat16S2_S1_EEvlllT_PT11_llS5_llS3_PT12_llPT13_lli.num_vgpr, 52
	.set _ZN12_GLOBAL__N_135rocblas_gemm_batched_general_kernelIfLi16ELi16ELi32ELi32ELi8ELi32ELi8ELi8ELi32ELc67ELc78EK16rocblas_bfloat16S2_S1_EEvlllT_PT11_llS5_llS3_PT12_llPT13_lli.num_agpr, 0
	.set _ZN12_GLOBAL__N_135rocblas_gemm_batched_general_kernelIfLi16ELi16ELi32ELi32ELi8ELi32ELi8ELi8ELi32ELc67ELc78EK16rocblas_bfloat16S2_S1_EEvlllT_PT11_llS5_llS3_PT12_llPT13_lli.numbered_sgpr, 41
	.set _ZN12_GLOBAL__N_135rocblas_gemm_batched_general_kernelIfLi16ELi16ELi32ELi32ELi8ELi32ELi8ELi8ELi32ELc67ELc78EK16rocblas_bfloat16S2_S1_EEvlllT_PT11_llS5_llS3_PT12_llPT13_lli.num_named_barrier, 0
	.set _ZN12_GLOBAL__N_135rocblas_gemm_batched_general_kernelIfLi16ELi16ELi32ELi32ELi8ELi32ELi8ELi8ELi32ELc67ELc78EK16rocblas_bfloat16S2_S1_EEvlllT_PT11_llS5_llS3_PT12_llPT13_lli.private_seg_size, 0
	.set _ZN12_GLOBAL__N_135rocblas_gemm_batched_general_kernelIfLi16ELi16ELi32ELi32ELi8ELi32ELi8ELi8ELi32ELc67ELc78EK16rocblas_bfloat16S2_S1_EEvlllT_PT11_llS5_llS3_PT12_llPT13_lli.uses_vcc, 1
	.set _ZN12_GLOBAL__N_135rocblas_gemm_batched_general_kernelIfLi16ELi16ELi32ELi32ELi8ELi32ELi8ELi8ELi32ELc67ELc78EK16rocblas_bfloat16S2_S1_EEvlllT_PT11_llS5_llS3_PT12_llPT13_lli.uses_flat_scratch, 0
	.set _ZN12_GLOBAL__N_135rocblas_gemm_batched_general_kernelIfLi16ELi16ELi32ELi32ELi8ELi32ELi8ELi8ELi32ELc67ELc78EK16rocblas_bfloat16S2_S1_EEvlllT_PT11_llS5_llS3_PT12_llPT13_lli.has_dyn_sized_stack, 0
	.set _ZN12_GLOBAL__N_135rocblas_gemm_batched_general_kernelIfLi16ELi16ELi32ELi32ELi8ELi32ELi8ELi8ELi32ELc67ELc78EK16rocblas_bfloat16S2_S1_EEvlllT_PT11_llS5_llS3_PT12_llPT13_lli.has_recursion, 0
	.set _ZN12_GLOBAL__N_135rocblas_gemm_batched_general_kernelIfLi16ELi16ELi32ELi32ELi8ELi32ELi8ELi8ELi32ELc67ELc78EK16rocblas_bfloat16S2_S1_EEvlllT_PT11_llS5_llS3_PT12_llPT13_lli.has_indirect_call, 0
	.section	.AMDGPU.csdata,"",@progbits
; Kernel info:
; codeLenInByte = 2828
; TotalNumSgprs: 43
; NumVgprs: 52
; ScratchSize: 0
; MemoryBound: 0
; FloatMode: 240
; IeeeMode: 1
; LDSByteSize: 2048 bytes/workgroup (compile time only)
; SGPRBlocks: 0
; VGPRBlocks: 3
; NumSGPRsForWavesPerEU: 43
; NumVGPRsForWavesPerEU: 52
; NamedBarCnt: 0
; Occupancy: 16
; WaveLimiterHint : 0
; COMPUTE_PGM_RSRC2:SCRATCH_EN: 0
; COMPUTE_PGM_RSRC2:USER_SGPR: 2
; COMPUTE_PGM_RSRC2:TRAP_HANDLER: 0
; COMPUTE_PGM_RSRC2:TGID_X_EN: 1
; COMPUTE_PGM_RSRC2:TGID_Y_EN: 1
; COMPUTE_PGM_RSRC2:TGID_Z_EN: 1
; COMPUTE_PGM_RSRC2:TIDIG_COMP_CNT: 1
	.section	.text._ZN12_GLOBAL__N_135rocblas_gemm_batched_general_kernelIfLi16ELi16ELi32ELi32ELi8ELi32ELi8ELi8ELi32ELc67ELc84EK16rocblas_bfloat16S2_S1_EEvlllT_PT11_llS5_llS3_PT12_llPT13_lli,"axG",@progbits,_ZN12_GLOBAL__N_135rocblas_gemm_batched_general_kernelIfLi16ELi16ELi32ELi32ELi8ELi32ELi8ELi8ELi32ELc67ELc84EK16rocblas_bfloat16S2_S1_EEvlllT_PT11_llS5_llS3_PT12_llPT13_lli,comdat
	.globl	_ZN12_GLOBAL__N_135rocblas_gemm_batched_general_kernelIfLi16ELi16ELi32ELi32ELi8ELi32ELi8ELi8ELi32ELc67ELc84EK16rocblas_bfloat16S2_S1_EEvlllT_PT11_llS5_llS3_PT12_llPT13_lli ; -- Begin function _ZN12_GLOBAL__N_135rocblas_gemm_batched_general_kernelIfLi16ELi16ELi32ELi32ELi8ELi32ELi8ELi8ELi32ELc67ELc84EK16rocblas_bfloat16S2_S1_EEvlllT_PT11_llS5_llS3_PT12_llPT13_lli
	.p2align	8
	.type	_ZN12_GLOBAL__N_135rocblas_gemm_batched_general_kernelIfLi16ELi16ELi32ELi32ELi8ELi32ELi8ELi8ELi32ELc67ELc84EK16rocblas_bfloat16S2_S1_EEvlllT_PT11_llS5_llS3_PT12_llPT13_lli,@function
_ZN12_GLOBAL__N_135rocblas_gemm_batched_general_kernelIfLi16ELi16ELi32ELi32ELi8ELi32ELi8ELi8ELi32ELc67ELc84EK16rocblas_bfloat16S2_S1_EEvlllT_PT11_llS5_llS3_PT12_llPT13_lli: ; @_ZN12_GLOBAL__N_135rocblas_gemm_batched_general_kernelIfLi16ELi16ELi32ELi32ELi8ELi32ELi8ELi8ELi32ELc67ELc84EK16rocblas_bfloat16S2_S1_EEvlllT_PT11_llS5_llS3_PT12_llPT13_lli
; %bb.0:
	s_load_b32 s33, s[0:1], 0x88
	s_bfe_u32 s2, ttmp6, 0x40014
	s_lshr_b32 s3, ttmp7, 16
	s_add_co_i32 s2, s2, 1
	s_bfe_u32 s5, ttmp6, 0x40008
	s_mul_i32 s4, s3, s2
	s_getreg_b32 s2, hwreg(HW_REG_IB_STS2, 6, 4)
	s_add_co_i32 s5, s5, s4
	s_cmp_eq_u32 s2, 0
	s_mov_b32 s35, 0
	s_cselect_b32 s34, s3, s5
	s_wait_kmcnt 0x0
	s_cmp_ge_i32 s34, s33
	s_cbranch_scc1 .LBB442_74
; %bb.1:
	s_clause 0x4
	s_load_b128 s[4:7], s[0:1], 0x0
	s_load_b256 s[16:23], s[0:1], 0x20
	s_load_b128 s[28:31], s[0:1], 0x40
	s_load_b32 s39, s[0:1], 0x50
	s_load_b256 s[8:15], s[0:1], 0x58
	v_bfe_u32 v8, v0, 10, 10
	v_and_b32_e32 v10, 0x3ff, v0
	v_dual_mov_b32 v9, 0 :: v_dual_bitop2_b32 v0, 7, v0 bitop3:0x40
	s_bfe_u32 s3, ttmp6, 0x4000c
	s_bfe_u32 s25, ttmp6, 0x40010
	s_add_co_i32 s3, s3, 1
	s_and_b32 s26, ttmp7, 0xffff
	s_add_co_i32 s25, s25, 1
	s_and_b32 s24, ttmp6, 15
	s_mul_i32 s3, ttmp9, s3
	s_mul_i32 s25, s26, s25
	s_bfe_u32 s27, ttmp6, 0x40004
	v_lshl_add_u32 v2, v8, 4, v10
	v_mov_b32_e32 v1, v9
	s_add_co_i32 s24, s24, s3
	s_add_co_i32 s27, s27, s25
	s_cmp_eq_u32 s2, 0
	v_and_b32_e32 v3, 31, v2
	s_cselect_b32 s2, ttmp9, s24
	s_wait_kmcnt 0x0
	v_mul_u64_e32 v[12:13], s[28:29], v[0:1]
	s_cselect_b32 s42, s26, s27
	s_ashr_i32 s3, s2, 31
	s_clause 0x1
	s_load_b128 s[24:27], s[0:1], 0x78
	s_load_b96 s[36:38], s[0:1], 0x10
	s_lshl_b64 s[2:3], s[2:3], 5
	s_lshl_b32 s40, s42, 5
	v_dual_mov_b32 v5, s3 :: v_dual_bitop2_b32 v4, s2, v3 bitop3:0x54
	s_mov_b32 s41, s35
	v_dual_mov_b32 v17, v9 :: v_dual_lshrrev_b32 v16, 3, v2
	v_add_nc_u64_e32 v[14:15], s[40:41], v[8:9]
	s_delay_alu instid0(VALU_DEP_3)
	v_mul_u64_e32 v[18:19], s[18:19], v[4:5]
	s_wait_xcnt 0x0
	v_cmp_gt_i64_e64 s0, s[4:5], v[4:5]
	v_dual_mov_b32 v11, v9 :: v_dual_lshrrev_b32 v2, 5, v2
	v_add_nc_u64_e32 v[6:7], s[40:41], v[16:17]
	s_cmp_eq_f32 s39, 0
	v_mul_u64_e32 v[20:21], s[10:11], v[14:15]
	v_dual_lshlrev_b32 v17, 2, v0 :: v_dual_lshlrev_b32 v27, 2, v10
	s_cselect_b32 s40, -1, 0
	s_wait_kmcnt 0x0
	v_mul_u64_e32 v[4:5], s[24:25], v[14:15]
	v_cmp_gt_i64_e64 s1, s[6:7], v[6:7]
	v_add_nc_u64_e32 v[6:7], s[2:3], v[10:11]
	s_lshl_b32 s2, s42, 6
	s_mov_b32 s3, s35
	v_lshl_add_u32 v25, v8, 5, 0x400
	v_dual_lshlrev_b32 v8, 1, v16 :: v_dual_lshlrev_b32 v22, 2, v3
	v_mov_b32_e32 v3, v9
	v_lshl_add_u64 v[12:13], v[12:13], 1, s[2:3]
	v_lshl_or_b32 v17, v16, 5, v17
	v_cmp_gt_i64_e64 s2, s[6:7], v[14:15]
	v_lshl_or_b32 v24, v2, 7, v22
	v_add_nc_u64_e32 v[22:23], 16, v[14:15]
	v_add_nc_u64_e32 v[10:11], v[12:13], v[8:9]
	v_lshlrev_b32_e32 v8, 1, v2
	v_add_nc_u32_e32 v26, 0x400, v17
	v_add_nc_u64_e32 v[16:17], 16, v[6:7]
	v_cmp_gt_i64_e64 s3, s[4:5], v[6:7]
	s_lshl_b64 s[10:11], s[10:11], 4
	s_lshl_b64 s[18:19], s[20:21], 1
	v_add_nc_u64_e32 v[10:11], s[22:23], v[10:11]
	v_lshl_add_u64 v[12:13], v[18:19], 1, v[8:9]
	v_cmp_gt_i64_e64 s22, s[36:37], 0
	v_cmp_gt_i64_e64 s4, s[4:5], v[16:17]
	;; [unrolled: 1-line block ×3, first 2 shown]
	s_lshl_b64 s[6:7], s[24:25], 4
	v_add_nc_u64_e32 v[12:13], s[16:17], v[12:13]
	v_lshl_add_u64 v[8:9], v[20:21], 1, s[8:9]
	s_lshl_b64 s[8:9], s[30:31], 1
	s_lshl_b64 s[16:17], s[28:29], 4
	s_branch .LBB442_5
.LBB442_2:                              ;   in Loop: Header=BB442_5 Depth=1
	s_or_b32 exec_lo, exec_lo, s20
	global_store_d16_hi_b16 v[16:17], v15, off offset:32
.LBB442_3:                              ;   in Loop: Header=BB442_5 Depth=1
	s_wait_xcnt 0x0
	s_or_b32 exec_lo, exec_lo, s23
.LBB442_4:                              ;   in Loop: Header=BB442_5 Depth=1
	s_add_co_i32 s34, s34, 0x10000
	s_delay_alu instid0(SALU_CYCLE_1)
	s_cmp_lt_i32 s34, s33
	s_cbranch_scc0 .LBB442_74
.LBB442_5:                              ; =>This Loop Header: Depth=1
                                        ;     Child Loop BB442_8 Depth 2
	v_dual_mov_b32 v17, 0 :: v_dual_mov_b32 v16, 0
	v_dual_mov_b32 v15, 0 :: v_dual_mov_b32 v14, 0
	s_and_not1_b32 vcc_lo, exec_lo, s22
	s_cbranch_vccnz .LBB442_12
; %bb.6:                                ;   in Loop: Header=BB442_5 Depth=1
	v_mad_nc_u64_u32 v[18:19], s8, s34, v[10:11]
	v_mad_nc_u64_u32 v[20:21], s18, s34, v[12:13]
	v_mov_b32_e32 v16, 0
	s_mov_b64 s[20:21], 0
	s_delay_alu instid0(VALU_DEP_1)
	v_dual_mov_b32 v17, v16 :: v_dual_mov_b32 v14, v16
	v_mov_b32_e32 v15, v16
	v_mad_u32 v19, s9, s34, v19
	v_mad_u32 v21, s19, s34, v21
	s_branch .LBB442_8
.LBB442_7:                              ;   in Loop: Header=BB442_8 Depth=2
	s_wait_xcnt 0x0
	s_or_b32 exec_lo, exec_lo, s23
	ds_store_b32 v26, v23
	s_wait_dscnt 0x0
	s_barrier_signal -1
	s_barrier_wait -1
	ds_load_b128 v[28:31], v25
	ds_load_2addr_b32 v[22:23], v27 offset1:16
	ds_load_b128 v[32:35], v25 offset:512
	ds_load_2addr_b32 v[44:45], v27 offset0:32 offset1:48
	ds_load_2addr_b32 v[46:47], v27 offset0:64 offset1:80
	;; [unrolled: 1-line block ×3, first 2 shown]
	ds_load_b128 v[36:39], v25 offset:16
	ds_load_2addr_b32 v[50:51], v27 offset0:128 offset1:144
	ds_load_b128 v[40:43], v25 offset:528
	s_add_nc_u64 s[20:21], s[20:21], 8
	v_add_nc_u64_e32 v[18:19], s[16:17], v[18:19]
	v_cmp_lt_i64_e64 s23, s[20:21], s[36:37]
	v_add_nc_u64_e32 v[20:21], 16, v[20:21]
	s_and_b32 vcc_lo, exec_lo, s23
	s_wait_dscnt 0x7
	v_pk_fma_f32 v[16:17], v[22:23], v[28:29], v[16:17] op_sel_hi:[1,0,1]
	s_wait_dscnt 0x6
	v_pk_fma_f32 v[14:15], v[22:23], v[32:33], v[14:15] op_sel_hi:[1,0,1]
	ds_load_2addr_b32 v[22:23], v27 offset0:160 offset1:176
	s_wait_dscnt 0x6
	v_pk_fma_f32 v[16:17], v[44:45], v[28:29], v[16:17] op_sel:[0,1,0]
	v_pk_fma_f32 v[14:15], v[44:45], v[32:33], v[14:15] op_sel:[0,1,0]
	ds_load_2addr_b32 v[28:29], v27 offset0:192 offset1:208
	v_dual_mov_b32 v32, v31 :: v_dual_mov_b32 v44, v35
	s_wait_dscnt 0x6
	v_pk_fma_f32 v[16:17], v[46:47], v[30:31], v[16:17] op_sel_hi:[1,0,1]
	v_pk_fma_f32 v[14:15], v[46:47], v[34:35], v[14:15] op_sel_hi:[1,0,1]
	ds_load_2addr_b32 v[30:31], v27 offset0:224 offset1:240
	s_wait_dscnt 0x0
	s_barrier_signal -1
	v_pk_fma_f32 v[16:17], v[48:49], v[32:33], v[16:17] op_sel_hi:[1,0,1]
	v_pk_fma_f32 v[14:15], v[48:49], v[44:45], v[14:15] op_sel_hi:[1,0,1]
	s_barrier_wait -1
	v_mov_b32_e32 v32, v43
	s_delay_alu instid0(VALU_DEP_3) | instskip(NEXT) | instid1(VALU_DEP_3)
	v_pk_fma_f32 v[16:17], v[50:51], v[36:37], v[16:17] op_sel_hi:[1,0,1]
	v_pk_fma_f32 v[14:15], v[50:51], v[40:41], v[14:15] op_sel_hi:[1,0,1]
	s_delay_alu instid0(VALU_DEP_2) | instskip(NEXT) | instid1(VALU_DEP_2)
	v_pk_fma_f32 v[16:17], v[22:23], v[36:37], v[16:17] op_sel:[0,1,0]
	v_pk_fma_f32 v[14:15], v[22:23], v[40:41], v[14:15] op_sel:[0,1,0]
	v_mov_b32_e32 v22, v39
	s_delay_alu instid0(VALU_DEP_3) | instskip(NEXT) | instid1(VALU_DEP_3)
	v_pk_fma_f32 v[16:17], v[28:29], v[38:39], v[16:17] op_sel_hi:[1,0,1]
	v_pk_fma_f32 v[14:15], v[28:29], v[42:43], v[14:15] op_sel_hi:[1,0,1]
	s_delay_alu instid0(VALU_DEP_2) | instskip(NEXT) | instid1(VALU_DEP_2)
	v_pk_fma_f32 v[16:17], v[30:31], v[22:23], v[16:17] op_sel_hi:[1,0,1]
	v_pk_fma_f32 v[14:15], v[30:31], v[32:33], v[14:15] op_sel_hi:[1,0,1]
	s_cbranch_vccz .LBB442_12
.LBB442_8:                              ;   Parent Loop BB442_5 Depth=1
                                        ; =>  This Inner Loop Header: Depth=2
	v_add_nc_u64_e32 v[22:23], s[20:21], v[2:3]
	s_delay_alu instid0(VALU_DEP_1) | instskip(SKIP_2) | instid1(SALU_CYCLE_1)
	v_cmp_gt_i64_e32 vcc_lo, s[36:37], v[22:23]
	v_mov_b32_e32 v22, 0
	s_and_b32 s24, s0, vcc_lo
	s_and_saveexec_b32 s23, s24
	s_cbranch_execz .LBB442_10
; %bb.9:                                ;   in Loop: Header=BB442_8 Depth=2
	global_load_u16 v22, v[20:21], off
	s_wait_loadcnt 0x0
	v_lshlrev_b32_e32 v22, 16, v22
.LBB442_10:                             ;   in Loop: Header=BB442_8 Depth=2
	s_wait_xcnt 0x0
	s_or_b32 exec_lo, exec_lo, s23
	v_add_nc_u64_e32 v[28:29], s[20:21], v[0:1]
	v_mov_b32_e32 v23, 0
	ds_store_b32 v24, v22
	v_cmp_gt_i64_e32 vcc_lo, s[36:37], v[28:29]
	s_and_b32 s24, vcc_lo, s1
	s_delay_alu instid0(SALU_CYCLE_1)
	s_and_saveexec_b32 s23, s24
	s_cbranch_execz .LBB442_7
; %bb.11:                               ;   in Loop: Header=BB442_8 Depth=2
	global_load_u16 v22, v[18:19], off
	s_wait_loadcnt 0x0
	v_lshlrev_b32_e32 v23, 16, v22
	s_branch .LBB442_7
.LBB442_12:                             ;   in Loop: Header=BB442_5 Depth=1
	s_mul_u64 s[20:21], s[26:27], s[34:35]
	s_and_not1_b32 vcc_lo, exec_lo, s40
	s_lshl_b64 s[20:21], s[20:21], 1
	s_delay_alu instid0(SALU_CYCLE_1)
	s_add_nc_u64 s[20:21], s[14:15], s[20:21]
	s_cbranch_vccnz .LBB442_17
; %bb.13:                               ;   in Loop: Header=BB442_5 Depth=1
	s_and_saveexec_b32 s23, s2
	s_cbranch_execz .LBB442_32
; %bb.14:                               ;   in Loop: Header=BB442_5 Depth=1
	v_lshl_add_u64 v[18:19], v[4:5], 1, s[20:21]
	s_and_saveexec_b32 s24, s3
	s_cbranch_execnz .LBB442_18
; %bb.15:                               ;   in Loop: Header=BB442_5 Depth=1
	s_or_b32 exec_lo, exec_lo, s24
	s_and_saveexec_b32 s24, s4
	s_cbranch_execnz .LBB442_23
.LBB442_16:                             ;   in Loop: Header=BB442_5 Depth=1
	s_or_b32 exec_lo, exec_lo, s24
	s_delay_alu instid0(SALU_CYCLE_1)
	s_and_b32 exec_lo, exec_lo, s5
	s_cbranch_execnz .LBB442_28
	s_branch .LBB442_32
.LBB442_17:                             ;   in Loop: Header=BB442_5 Depth=1
	s_branch .LBB442_33
.LBB442_18:                             ;   in Loop: Header=BB442_5 Depth=1
	v_mul_f32_e32 v20, s38, v16
	s_delay_alu instid0(VALU_DEP_1) | instskip(NEXT) | instid1(VALU_DEP_1)
	v_and_b32_e32 v21, 0x7f800000, v20
	v_cmp_ne_u32_e32 vcc_lo, 0x7f800000, v21
                                        ; implicit-def: $vgpr21
	s_and_saveexec_b32 s25, vcc_lo
	s_delay_alu instid0(SALU_CYCLE_1)
	s_xor_b32 s25, exec_lo, s25
; %bb.19:                               ;   in Loop: Header=BB442_5 Depth=1
	v_bfe_u32 v21, v20, 16, 1
	s_delay_alu instid0(VALU_DEP_1)
	v_add3_u32 v21, v20, v21, 0x7fff
                                        ; implicit-def: $vgpr20
; %bb.20:                               ;   in Loop: Header=BB442_5 Depth=1
	s_and_not1_saveexec_b32 s25, s25
; %bb.21:                               ;   in Loop: Header=BB442_5 Depth=1
	v_and_b32_e32 v21, 0xffff, v20
	v_or_b32_e32 v22, 0x10000, v20
	s_delay_alu instid0(VALU_DEP_2) | instskip(NEXT) | instid1(VALU_DEP_2)
	v_cmp_eq_u32_e32 vcc_lo, 0, v21
	v_cndmask_b32_e32 v21, v22, v20, vcc_lo
; %bb.22:                               ;   in Loop: Header=BB442_5 Depth=1
	s_or_b32 exec_lo, exec_lo, s25
	v_lshl_add_u64 v[22:23], v[6:7], 1, v[18:19]
	global_store_d16_hi_b16 v[22:23], v21, off
	s_wait_xcnt 0x0
	s_or_b32 exec_lo, exec_lo, s24
	s_and_saveexec_b32 s24, s4
	s_cbranch_execz .LBB442_16
.LBB442_23:                             ;   in Loop: Header=BB442_5 Depth=1
	v_mul_f32_e32 v20, s38, v17
	s_delay_alu instid0(VALU_DEP_1) | instskip(NEXT) | instid1(VALU_DEP_1)
	v_and_b32_e32 v21, 0x7f800000, v20
	v_cmp_ne_u32_e32 vcc_lo, 0x7f800000, v21
                                        ; implicit-def: $vgpr21
	s_and_saveexec_b32 s25, vcc_lo
	s_delay_alu instid0(SALU_CYCLE_1)
	s_xor_b32 s25, exec_lo, s25
; %bb.24:                               ;   in Loop: Header=BB442_5 Depth=1
	v_bfe_u32 v21, v20, 16, 1
	s_delay_alu instid0(VALU_DEP_1)
	v_add3_u32 v21, v20, v21, 0x7fff
                                        ; implicit-def: $vgpr20
; %bb.25:                               ;   in Loop: Header=BB442_5 Depth=1
	s_and_not1_saveexec_b32 s25, s25
; %bb.26:                               ;   in Loop: Header=BB442_5 Depth=1
	v_and_b32_e32 v21, 0xffff, v20
	v_or_b32_e32 v22, 0x10000, v20
	s_delay_alu instid0(VALU_DEP_2) | instskip(NEXT) | instid1(VALU_DEP_2)
	v_cmp_eq_u32_e32 vcc_lo, 0, v21
	v_cndmask_b32_e32 v21, v22, v20, vcc_lo
; %bb.27:                               ;   in Loop: Header=BB442_5 Depth=1
	s_or_b32 exec_lo, exec_lo, s25
	v_lshl_add_u64 v[22:23], v[6:7], 1, v[18:19]
	global_store_d16_hi_b16 v[22:23], v21, off offset:32
	s_wait_xcnt 0x0
	s_or_b32 exec_lo, exec_lo, s24
	s_delay_alu instid0(SALU_CYCLE_1)
	s_and_b32 exec_lo, exec_lo, s5
	s_cbranch_execz .LBB442_32
.LBB442_28:                             ;   in Loop: Header=BB442_5 Depth=1
	v_lshl_add_u64 v[18:19], s[6:7], 1, v[18:19]
	s_delay_alu instid0(VALU_DEP_1)
	v_lshl_add_u64 v[18:19], v[6:7], 1, v[18:19]
	s_and_saveexec_b32 s24, s3
	s_cbranch_execz .LBB442_30
; %bb.29:                               ;   in Loop: Header=BB442_5 Depth=1
	v_mul_f32_e32 v20, s38, v14
	s_delay_alu instid0(VALU_DEP_1) | instskip(SKIP_3) | instid1(VALU_DEP_4)
	v_and_b32_e32 v22, 0xffff, v20
	v_bfe_u32 v21, v20, 16, 1
	v_or_b32_e32 v23, 0x10000, v20
	v_and_b32_e32 v28, 0x7f800000, v20
	v_cmp_eq_u32_e32 vcc_lo, 0, v22
	s_delay_alu instid0(VALU_DEP_4) | instskip(NEXT) | instid1(VALU_DEP_4)
	v_add3_u32 v21, v20, v21, 0x7fff
	v_cndmask_b32_e32 v20, v23, v20, vcc_lo
	s_delay_alu instid0(VALU_DEP_4) | instskip(NEXT) | instid1(VALU_DEP_2)
	v_cmp_eq_u32_e32 vcc_lo, 0x7f800000, v28
	v_cndmask_b32_e32 v20, v21, v20, vcc_lo
	global_store_d16_hi_b16 v[18:19], v20, off
.LBB442_30:                             ;   in Loop: Header=BB442_5 Depth=1
	s_wait_xcnt 0x0
	s_or_b32 exec_lo, exec_lo, s24
	s_delay_alu instid0(SALU_CYCLE_1)
	s_and_b32 exec_lo, exec_lo, s4
	s_cbranch_execz .LBB442_32
; %bb.31:                               ;   in Loop: Header=BB442_5 Depth=1
	v_mul_f32_e32 v20, s38, v15
	s_delay_alu instid0(VALU_DEP_1) | instskip(SKIP_3) | instid1(VALU_DEP_4)
	v_and_b32_e32 v22, 0xffff, v20
	v_bfe_u32 v21, v20, 16, 1
	v_or_b32_e32 v23, 0x10000, v20
	v_and_b32_e32 v28, 0x7f800000, v20
	v_cmp_eq_u32_e32 vcc_lo, 0, v22
	s_delay_alu instid0(VALU_DEP_4) | instskip(NEXT) | instid1(VALU_DEP_4)
	v_add3_u32 v21, v20, v21, 0x7fff
	v_cndmask_b32_e32 v20, v23, v20, vcc_lo
	s_delay_alu instid0(VALU_DEP_4) | instskip(NEXT) | instid1(VALU_DEP_2)
	v_cmp_eq_u32_e32 vcc_lo, 0x7f800000, v28
	v_cndmask_b32_e32 v20, v21, v20, vcc_lo
	global_store_d16_hi_b16 v[18:19], v20, off offset:32
.LBB442_32:                             ;   in Loop: Header=BB442_5 Depth=1
	s_wait_xcnt 0x0
	s_or_b32 exec_lo, exec_lo, s23
	s_cbranch_execnz .LBB442_4
.LBB442_33:                             ;   in Loop: Header=BB442_5 Depth=1
	s_and_saveexec_b32 s23, s2
	s_cbranch_execz .LBB442_3
; %bb.34:                               ;   in Loop: Header=BB442_5 Depth=1
	s_mul_u64 s[24:25], s[12:13], s[34:35]
	v_lshl_add_u64 v[20:21], v[4:5], 1, s[20:21]
	v_lshl_add_u64 v[18:19], s[24:25], 1, v[8:9]
	s_delay_alu instid0(VALU_DEP_1)
	v_lshl_add_u64 v[22:23], v[6:7], 1, v[18:19]
	s_and_saveexec_b32 s20, s3
	s_cbranch_execnz .LBB442_37
; %bb.35:                               ;   in Loop: Header=BB442_5 Depth=1
	s_or_b32 exec_lo, exec_lo, s20
	s_and_saveexec_b32 s20, s4
	s_cbranch_execnz .LBB442_46
.LBB442_36:                             ;   in Loop: Header=BB442_5 Depth=1
	s_or_b32 exec_lo, exec_lo, s20
	s_delay_alu instid0(SALU_CYCLE_1)
	s_and_b32 exec_lo, exec_lo, s5
	s_cbranch_execz .LBB442_3
	s_branch .LBB442_55
.LBB442_37:                             ;   in Loop: Header=BB442_5 Depth=1
	global_load_u16 v28, v[22:23], off
	s_wait_loadcnt 0x0
	v_lshlrev_b32_e32 v28, 16, v28
	s_delay_alu instid0(VALU_DEP_1) | instskip(NEXT) | instid1(VALU_DEP_1)
	v_mul_f32_e32 v28, s39, v28
	v_and_b32_e32 v29, 0x7f800000, v28
	s_delay_alu instid0(VALU_DEP_1) | instskip(SKIP_2) | instid1(SALU_CYCLE_1)
	v_cmp_ne_u32_e32 vcc_lo, 0x7f800000, v29
                                        ; implicit-def: $vgpr29
	s_wait_xcnt 0x0
	s_and_saveexec_b32 s21, vcc_lo
	s_xor_b32 s21, exec_lo, s21
; %bb.38:                               ;   in Loop: Header=BB442_5 Depth=1
	v_bfe_u32 v29, v28, 16, 1
	s_delay_alu instid0(VALU_DEP_1)
	v_add3_u32 v29, v28, v29, 0x7fff
                                        ; implicit-def: $vgpr28
; %bb.39:                               ;   in Loop: Header=BB442_5 Depth=1
	s_and_not1_saveexec_b32 s21, s21
; %bb.40:                               ;   in Loop: Header=BB442_5 Depth=1
	v_and_b32_e32 v29, 0xffff, v28
	v_or_b32_e32 v30, 0x10000, v28
	s_delay_alu instid0(VALU_DEP_2) | instskip(NEXT) | instid1(VALU_DEP_2)
	v_cmp_eq_u32_e32 vcc_lo, 0, v29
	v_cndmask_b32_e32 v29, v30, v28, vcc_lo
; %bb.41:                               ;   in Loop: Header=BB442_5 Depth=1
	s_or_b32 exec_lo, exec_lo, s21
	s_delay_alu instid0(VALU_DEP_1) | instskip(NEXT) | instid1(VALU_DEP_1)
	v_fma_mix_f32_bf16 v16, s38, v16, v29 op_sel:[0,0,1] op_sel_hi:[0,0,1]
	v_and_b32_e32 v28, 0x7f800000, v16
	s_delay_alu instid0(VALU_DEP_1) | instskip(SKIP_1) | instid1(SALU_CYCLE_1)
	v_cmp_ne_u32_e32 vcc_lo, 0x7f800000, v28
                                        ; implicit-def: $vgpr28
	s_and_saveexec_b32 s21, vcc_lo
	s_xor_b32 s21, exec_lo, s21
; %bb.42:                               ;   in Loop: Header=BB442_5 Depth=1
	v_bfe_u32 v28, v16, 16, 1
	s_delay_alu instid0(VALU_DEP_1)
	v_add3_u32 v28, v16, v28, 0x7fff
                                        ; implicit-def: $vgpr16
; %bb.43:                               ;   in Loop: Header=BB442_5 Depth=1
	s_and_not1_saveexec_b32 s21, s21
; %bb.44:                               ;   in Loop: Header=BB442_5 Depth=1
	v_and_b32_e32 v28, 0xffff, v16
	v_or_b32_e32 v29, 0x10000, v16
	s_delay_alu instid0(VALU_DEP_2) | instskip(NEXT) | instid1(VALU_DEP_2)
	v_cmp_eq_u32_e32 vcc_lo, 0, v28
	v_cndmask_b32_e32 v28, v29, v16, vcc_lo
; %bb.45:                               ;   in Loop: Header=BB442_5 Depth=1
	s_or_b32 exec_lo, exec_lo, s21
	v_lshl_add_u64 v[30:31], v[6:7], 1, v[20:21]
	global_store_d16_hi_b16 v[30:31], v28, off
	s_wait_xcnt 0x0
	s_or_b32 exec_lo, exec_lo, s20
	s_and_saveexec_b32 s20, s4
	s_cbranch_execz .LBB442_36
.LBB442_46:                             ;   in Loop: Header=BB442_5 Depth=1
	global_load_u16 v16, v[22:23], off offset:32
	s_wait_loadcnt 0x0
	v_lshlrev_b32_e32 v16, 16, v16
	s_delay_alu instid0(VALU_DEP_1) | instskip(SKIP_1) | instid1(VALU_DEP_1)
	v_mul_f32_e32 v16, s39, v16
	s_wait_xcnt 0x0
	v_and_b32_e32 v22, 0x7f800000, v16
	s_delay_alu instid0(VALU_DEP_1) | instskip(SKIP_1) | instid1(SALU_CYCLE_1)
	v_cmp_ne_u32_e32 vcc_lo, 0x7f800000, v22
                                        ; implicit-def: $vgpr22
	s_and_saveexec_b32 s21, vcc_lo
	s_xor_b32 s21, exec_lo, s21
; %bb.47:                               ;   in Loop: Header=BB442_5 Depth=1
	v_bfe_u32 v22, v16, 16, 1
	s_delay_alu instid0(VALU_DEP_1)
	v_add3_u32 v22, v16, v22, 0x7fff
                                        ; implicit-def: $vgpr16
; %bb.48:                               ;   in Loop: Header=BB442_5 Depth=1
	s_and_not1_saveexec_b32 s21, s21
; %bb.49:                               ;   in Loop: Header=BB442_5 Depth=1
	v_and_b32_e32 v22, 0xffff, v16
	v_or_b32_e32 v23, 0x10000, v16
	s_delay_alu instid0(VALU_DEP_2) | instskip(NEXT) | instid1(VALU_DEP_2)
	v_cmp_eq_u32_e32 vcc_lo, 0, v22
	v_cndmask_b32_e32 v22, v23, v16, vcc_lo
; %bb.50:                               ;   in Loop: Header=BB442_5 Depth=1
	s_or_b32 exec_lo, exec_lo, s21
	s_delay_alu instid0(VALU_DEP_1) | instskip(NEXT) | instid1(VALU_DEP_1)
	v_fma_mix_f32_bf16 v16, s38, v17, v22 op_sel:[0,0,1] op_sel_hi:[0,0,1]
	v_and_b32_e32 v17, 0x7f800000, v16
	s_delay_alu instid0(VALU_DEP_1) | instskip(SKIP_1) | instid1(SALU_CYCLE_1)
	v_cmp_ne_u32_e32 vcc_lo, 0x7f800000, v17
                                        ; implicit-def: $vgpr17
	s_and_saveexec_b32 s21, vcc_lo
	s_xor_b32 s21, exec_lo, s21
; %bb.51:                               ;   in Loop: Header=BB442_5 Depth=1
	v_bfe_u32 v17, v16, 16, 1
	s_delay_alu instid0(VALU_DEP_1)
	v_add3_u32 v17, v16, v17, 0x7fff
                                        ; implicit-def: $vgpr16
; %bb.52:                               ;   in Loop: Header=BB442_5 Depth=1
	s_and_not1_saveexec_b32 s21, s21
; %bb.53:                               ;   in Loop: Header=BB442_5 Depth=1
	v_and_b32_e32 v17, 0xffff, v16
	v_or_b32_e32 v22, 0x10000, v16
	s_delay_alu instid0(VALU_DEP_2) | instskip(NEXT) | instid1(VALU_DEP_2)
	v_cmp_eq_u32_e32 vcc_lo, 0, v17
	v_cndmask_b32_e32 v17, v22, v16, vcc_lo
; %bb.54:                               ;   in Loop: Header=BB442_5 Depth=1
	s_or_b32 exec_lo, exec_lo, s21
	v_lshl_add_u64 v[22:23], v[6:7], 1, v[20:21]
	global_store_d16_hi_b16 v[22:23], v17, off offset:32
	s_wait_xcnt 0x0
	s_or_b32 exec_lo, exec_lo, s20
	s_delay_alu instid0(SALU_CYCLE_1)
	s_and_b32 exec_lo, exec_lo, s5
	s_cbranch_execz .LBB442_3
.LBB442_55:                             ;   in Loop: Header=BB442_5 Depth=1
	v_lshlrev_b64_e32 v[16:17], 1, v[6:7]
	v_lshl_add_u64 v[18:19], s[10:11], 1, v[18:19]
	v_lshl_add_u64 v[20:21], s[6:7], 1, v[20:21]
	s_delay_alu instid0(VALU_DEP_2) | instskip(NEXT) | instid1(VALU_DEP_2)
	v_add_nc_u64_e32 v[18:19], v[18:19], v[16:17]
	v_add_nc_u64_e32 v[16:17], v[20:21], v[16:17]
	s_and_saveexec_b32 s20, s3
	s_cbranch_execz .LBB442_65
; %bb.56:                               ;   in Loop: Header=BB442_5 Depth=1
	global_load_u16 v20, v[18:19], off
	s_wait_loadcnt 0x0
	v_lshlrev_b32_e32 v20, 16, v20
	s_delay_alu instid0(VALU_DEP_1) | instskip(NEXT) | instid1(VALU_DEP_1)
	v_mul_f32_e32 v20, s39, v20
	v_and_b32_e32 v21, 0x7f800000, v20
	s_delay_alu instid0(VALU_DEP_1) | instskip(SKIP_2) | instid1(SALU_CYCLE_1)
	v_cmp_ne_u32_e32 vcc_lo, 0x7f800000, v21
                                        ; implicit-def: $vgpr21
	s_wait_xcnt 0x0
	s_and_saveexec_b32 s21, vcc_lo
	s_xor_b32 s21, exec_lo, s21
; %bb.57:                               ;   in Loop: Header=BB442_5 Depth=1
	v_bfe_u32 v21, v20, 16, 1
	s_delay_alu instid0(VALU_DEP_1)
	v_add3_u32 v21, v20, v21, 0x7fff
                                        ; implicit-def: $vgpr20
; %bb.58:                               ;   in Loop: Header=BB442_5 Depth=1
	s_and_not1_saveexec_b32 s21, s21
; %bb.59:                               ;   in Loop: Header=BB442_5 Depth=1
	v_and_b32_e32 v21, 0xffff, v20
	v_or_b32_e32 v22, 0x10000, v20
	s_delay_alu instid0(VALU_DEP_2) | instskip(NEXT) | instid1(VALU_DEP_2)
	v_cmp_eq_u32_e32 vcc_lo, 0, v21
	v_cndmask_b32_e32 v21, v22, v20, vcc_lo
; %bb.60:                               ;   in Loop: Header=BB442_5 Depth=1
	s_or_b32 exec_lo, exec_lo, s21
	s_delay_alu instid0(VALU_DEP_1) | instskip(NEXT) | instid1(VALU_DEP_1)
	v_fma_mix_f32_bf16 v14, s38, v14, v21 op_sel:[0,0,1] op_sel_hi:[0,0,1]
	v_and_b32_e32 v20, 0x7f800000, v14
	s_delay_alu instid0(VALU_DEP_1) | instskip(SKIP_1) | instid1(SALU_CYCLE_1)
	v_cmp_ne_u32_e32 vcc_lo, 0x7f800000, v20
                                        ; implicit-def: $vgpr20
	s_and_saveexec_b32 s21, vcc_lo
	s_xor_b32 s21, exec_lo, s21
; %bb.61:                               ;   in Loop: Header=BB442_5 Depth=1
	v_bfe_u32 v20, v14, 16, 1
	s_delay_alu instid0(VALU_DEP_1)
	v_add3_u32 v20, v14, v20, 0x7fff
                                        ; implicit-def: $vgpr14
; %bb.62:                               ;   in Loop: Header=BB442_5 Depth=1
	s_and_not1_saveexec_b32 s21, s21
; %bb.63:                               ;   in Loop: Header=BB442_5 Depth=1
	v_and_b32_e32 v20, 0xffff, v14
	v_or_b32_e32 v21, 0x10000, v14
	s_delay_alu instid0(VALU_DEP_2) | instskip(NEXT) | instid1(VALU_DEP_2)
	v_cmp_eq_u32_e32 vcc_lo, 0, v20
	v_cndmask_b32_e32 v20, v21, v14, vcc_lo
; %bb.64:                               ;   in Loop: Header=BB442_5 Depth=1
	s_or_b32 exec_lo, exec_lo, s21
	global_store_d16_hi_b16 v[16:17], v20, off
.LBB442_65:                             ;   in Loop: Header=BB442_5 Depth=1
	s_wait_xcnt 0x0
	s_or_b32 exec_lo, exec_lo, s20
	s_delay_alu instid0(SALU_CYCLE_1)
	s_and_b32 exec_lo, exec_lo, s4
	s_cbranch_execz .LBB442_3
; %bb.66:                               ;   in Loop: Header=BB442_5 Depth=1
	global_load_u16 v14, v[18:19], off offset:32
	s_wait_loadcnt 0x0
	v_lshlrev_b32_e32 v14, 16, v14
	s_delay_alu instid0(VALU_DEP_1) | instskip(SKIP_1) | instid1(VALU_DEP_1)
	v_mul_f32_e32 v14, s39, v14
	s_wait_xcnt 0x0
	v_and_b32_e32 v18, 0x7f800000, v14
	s_delay_alu instid0(VALU_DEP_1) | instskip(SKIP_1) | instid1(SALU_CYCLE_1)
	v_cmp_ne_u32_e32 vcc_lo, 0x7f800000, v18
                                        ; implicit-def: $vgpr18
	s_and_saveexec_b32 s20, vcc_lo
	s_xor_b32 s20, exec_lo, s20
; %bb.67:                               ;   in Loop: Header=BB442_5 Depth=1
	v_bfe_u32 v18, v14, 16, 1
	s_delay_alu instid0(VALU_DEP_1)
	v_add3_u32 v18, v14, v18, 0x7fff
                                        ; implicit-def: $vgpr14
; %bb.68:                               ;   in Loop: Header=BB442_5 Depth=1
	s_and_not1_saveexec_b32 s20, s20
; %bb.69:                               ;   in Loop: Header=BB442_5 Depth=1
	v_and_b32_e32 v18, 0xffff, v14
	v_or_b32_e32 v19, 0x10000, v14
	s_delay_alu instid0(VALU_DEP_2) | instskip(NEXT) | instid1(VALU_DEP_2)
	v_cmp_eq_u32_e32 vcc_lo, 0, v18
	v_cndmask_b32_e32 v18, v19, v14, vcc_lo
; %bb.70:                               ;   in Loop: Header=BB442_5 Depth=1
	s_or_b32 exec_lo, exec_lo, s20
	s_delay_alu instid0(VALU_DEP_1) | instskip(NEXT) | instid1(VALU_DEP_1)
	v_fma_mix_f32_bf16 v14, s38, v15, v18 op_sel:[0,0,1] op_sel_hi:[0,0,1]
	v_and_b32_e32 v15, 0x7f800000, v14
	s_delay_alu instid0(VALU_DEP_1) | instskip(SKIP_1) | instid1(SALU_CYCLE_1)
	v_cmp_ne_u32_e32 vcc_lo, 0x7f800000, v15
                                        ; implicit-def: $vgpr15
	s_and_saveexec_b32 s20, vcc_lo
	s_xor_b32 s20, exec_lo, s20
; %bb.71:                               ;   in Loop: Header=BB442_5 Depth=1
	v_bfe_u32 v15, v14, 16, 1
	s_delay_alu instid0(VALU_DEP_1)
	v_add3_u32 v15, v14, v15, 0x7fff
                                        ; implicit-def: $vgpr14
; %bb.72:                               ;   in Loop: Header=BB442_5 Depth=1
	s_and_not1_saveexec_b32 s20, s20
	s_cbranch_execz .LBB442_2
; %bb.73:                               ;   in Loop: Header=BB442_5 Depth=1
	v_and_b32_e32 v15, 0xffff, v14
	v_or_b32_e32 v18, 0x10000, v14
	s_delay_alu instid0(VALU_DEP_2) | instskip(NEXT) | instid1(VALU_DEP_2)
	v_cmp_eq_u32_e32 vcc_lo, 0, v15
	v_cndmask_b32_e32 v15, v18, v14, vcc_lo
	s_branch .LBB442_2
.LBB442_74:
	s_endpgm
	.section	.rodata,"a",@progbits
	.p2align	6, 0x0
	.amdhsa_kernel _ZN12_GLOBAL__N_135rocblas_gemm_batched_general_kernelIfLi16ELi16ELi32ELi32ELi8ELi32ELi8ELi8ELi32ELc67ELc84EK16rocblas_bfloat16S2_S1_EEvlllT_PT11_llS5_llS3_PT12_llPT13_lli
		.amdhsa_group_segment_fixed_size 2048
		.amdhsa_private_segment_fixed_size 0
		.amdhsa_kernarg_size 140
		.amdhsa_user_sgpr_count 2
		.amdhsa_user_sgpr_dispatch_ptr 0
		.amdhsa_user_sgpr_queue_ptr 0
		.amdhsa_user_sgpr_kernarg_segment_ptr 1
		.amdhsa_user_sgpr_dispatch_id 0
		.amdhsa_user_sgpr_kernarg_preload_length 0
		.amdhsa_user_sgpr_kernarg_preload_offset 0
		.amdhsa_user_sgpr_private_segment_size 0
		.amdhsa_wavefront_size32 1
		.amdhsa_uses_dynamic_stack 0
		.amdhsa_enable_private_segment 0
		.amdhsa_system_sgpr_workgroup_id_x 1
		.amdhsa_system_sgpr_workgroup_id_y 1
		.amdhsa_system_sgpr_workgroup_id_z 1
		.amdhsa_system_sgpr_workgroup_info 0
		.amdhsa_system_vgpr_workitem_id 1
		.amdhsa_next_free_vgpr 52
		.amdhsa_next_free_sgpr 43
		.amdhsa_named_barrier_count 0
		.amdhsa_reserve_vcc 1
		.amdhsa_float_round_mode_32 0
		.amdhsa_float_round_mode_16_64 0
		.amdhsa_float_denorm_mode_32 3
		.amdhsa_float_denorm_mode_16_64 3
		.amdhsa_fp16_overflow 0
		.amdhsa_memory_ordered 1
		.amdhsa_forward_progress 1
		.amdhsa_inst_pref_size 23
		.amdhsa_round_robin_scheduling 0
		.amdhsa_exception_fp_ieee_invalid_op 0
		.amdhsa_exception_fp_denorm_src 0
		.amdhsa_exception_fp_ieee_div_zero 0
		.amdhsa_exception_fp_ieee_overflow 0
		.amdhsa_exception_fp_ieee_underflow 0
		.amdhsa_exception_fp_ieee_inexact 0
		.amdhsa_exception_int_div_zero 0
	.end_amdhsa_kernel
	.section	.text._ZN12_GLOBAL__N_135rocblas_gemm_batched_general_kernelIfLi16ELi16ELi32ELi32ELi8ELi32ELi8ELi8ELi32ELc67ELc84EK16rocblas_bfloat16S2_S1_EEvlllT_PT11_llS5_llS3_PT12_llPT13_lli,"axG",@progbits,_ZN12_GLOBAL__N_135rocblas_gemm_batched_general_kernelIfLi16ELi16ELi32ELi32ELi8ELi32ELi8ELi8ELi32ELc67ELc84EK16rocblas_bfloat16S2_S1_EEvlllT_PT11_llS5_llS3_PT12_llPT13_lli,comdat
.Lfunc_end442:
	.size	_ZN12_GLOBAL__N_135rocblas_gemm_batched_general_kernelIfLi16ELi16ELi32ELi32ELi8ELi32ELi8ELi8ELi32ELc67ELc84EK16rocblas_bfloat16S2_S1_EEvlllT_PT11_llS5_llS3_PT12_llPT13_lli, .Lfunc_end442-_ZN12_GLOBAL__N_135rocblas_gemm_batched_general_kernelIfLi16ELi16ELi32ELi32ELi8ELi32ELi8ELi8ELi32ELc67ELc84EK16rocblas_bfloat16S2_S1_EEvlllT_PT11_llS5_llS3_PT12_llPT13_lli
                                        ; -- End function
	.set _ZN12_GLOBAL__N_135rocblas_gemm_batched_general_kernelIfLi16ELi16ELi32ELi32ELi8ELi32ELi8ELi8ELi32ELc67ELc84EK16rocblas_bfloat16S2_S1_EEvlllT_PT11_llS5_llS3_PT12_llPT13_lli.num_vgpr, 52
	.set _ZN12_GLOBAL__N_135rocblas_gemm_batched_general_kernelIfLi16ELi16ELi32ELi32ELi8ELi32ELi8ELi8ELi32ELc67ELc84EK16rocblas_bfloat16S2_S1_EEvlllT_PT11_llS5_llS3_PT12_llPT13_lli.num_agpr, 0
	.set _ZN12_GLOBAL__N_135rocblas_gemm_batched_general_kernelIfLi16ELi16ELi32ELi32ELi8ELi32ELi8ELi8ELi32ELc67ELc84EK16rocblas_bfloat16S2_S1_EEvlllT_PT11_llS5_llS3_PT12_llPT13_lli.numbered_sgpr, 43
	.set _ZN12_GLOBAL__N_135rocblas_gemm_batched_general_kernelIfLi16ELi16ELi32ELi32ELi8ELi32ELi8ELi8ELi32ELc67ELc84EK16rocblas_bfloat16S2_S1_EEvlllT_PT11_llS5_llS3_PT12_llPT13_lli.num_named_barrier, 0
	.set _ZN12_GLOBAL__N_135rocblas_gemm_batched_general_kernelIfLi16ELi16ELi32ELi32ELi8ELi32ELi8ELi8ELi32ELc67ELc84EK16rocblas_bfloat16S2_S1_EEvlllT_PT11_llS5_llS3_PT12_llPT13_lli.private_seg_size, 0
	.set _ZN12_GLOBAL__N_135rocblas_gemm_batched_general_kernelIfLi16ELi16ELi32ELi32ELi8ELi32ELi8ELi8ELi32ELc67ELc84EK16rocblas_bfloat16S2_S1_EEvlllT_PT11_llS5_llS3_PT12_llPT13_lli.uses_vcc, 1
	.set _ZN12_GLOBAL__N_135rocblas_gemm_batched_general_kernelIfLi16ELi16ELi32ELi32ELi8ELi32ELi8ELi8ELi32ELc67ELc84EK16rocblas_bfloat16S2_S1_EEvlllT_PT11_llS5_llS3_PT12_llPT13_lli.uses_flat_scratch, 0
	.set _ZN12_GLOBAL__N_135rocblas_gemm_batched_general_kernelIfLi16ELi16ELi32ELi32ELi8ELi32ELi8ELi8ELi32ELc67ELc84EK16rocblas_bfloat16S2_S1_EEvlllT_PT11_llS5_llS3_PT12_llPT13_lli.has_dyn_sized_stack, 0
	.set _ZN12_GLOBAL__N_135rocblas_gemm_batched_general_kernelIfLi16ELi16ELi32ELi32ELi8ELi32ELi8ELi8ELi32ELc67ELc84EK16rocblas_bfloat16S2_S1_EEvlllT_PT11_llS5_llS3_PT12_llPT13_lli.has_recursion, 0
	.set _ZN12_GLOBAL__N_135rocblas_gemm_batched_general_kernelIfLi16ELi16ELi32ELi32ELi8ELi32ELi8ELi8ELi32ELc67ELc84EK16rocblas_bfloat16S2_S1_EEvlllT_PT11_llS5_llS3_PT12_llPT13_lli.has_indirect_call, 0
	.section	.AMDGPU.csdata,"",@progbits
; Kernel info:
; codeLenInByte = 2844
; TotalNumSgprs: 45
; NumVgprs: 52
; ScratchSize: 0
; MemoryBound: 0
; FloatMode: 240
; IeeeMode: 1
; LDSByteSize: 2048 bytes/workgroup (compile time only)
; SGPRBlocks: 0
; VGPRBlocks: 3
; NumSGPRsForWavesPerEU: 45
; NumVGPRsForWavesPerEU: 52
; NamedBarCnt: 0
; Occupancy: 16
; WaveLimiterHint : 0
; COMPUTE_PGM_RSRC2:SCRATCH_EN: 0
; COMPUTE_PGM_RSRC2:USER_SGPR: 2
; COMPUTE_PGM_RSRC2:TRAP_HANDLER: 0
; COMPUTE_PGM_RSRC2:TGID_X_EN: 1
; COMPUTE_PGM_RSRC2:TGID_Y_EN: 1
; COMPUTE_PGM_RSRC2:TGID_Z_EN: 1
; COMPUTE_PGM_RSRC2:TIDIG_COMP_CNT: 1
	.section	.text._ZN12_GLOBAL__N_135rocblas_gemm_batched_general_kernelIfLi16ELi16ELi32ELi32ELi8ELi32ELi8ELi8ELi32ELc78ELc67EK16rocblas_bfloat16S2_S1_EEvlllT_PT11_llS5_llS3_PT12_llPT13_lli,"axG",@progbits,_ZN12_GLOBAL__N_135rocblas_gemm_batched_general_kernelIfLi16ELi16ELi32ELi32ELi8ELi32ELi8ELi8ELi32ELc78ELc67EK16rocblas_bfloat16S2_S1_EEvlllT_PT11_llS5_llS3_PT12_llPT13_lli,comdat
	.globl	_ZN12_GLOBAL__N_135rocblas_gemm_batched_general_kernelIfLi16ELi16ELi32ELi32ELi8ELi32ELi8ELi8ELi32ELc78ELc67EK16rocblas_bfloat16S2_S1_EEvlllT_PT11_llS5_llS3_PT12_llPT13_lli ; -- Begin function _ZN12_GLOBAL__N_135rocblas_gemm_batched_general_kernelIfLi16ELi16ELi32ELi32ELi8ELi32ELi8ELi8ELi32ELc78ELc67EK16rocblas_bfloat16S2_S1_EEvlllT_PT11_llS5_llS3_PT12_llPT13_lli
	.p2align	8
	.type	_ZN12_GLOBAL__N_135rocblas_gemm_batched_general_kernelIfLi16ELi16ELi32ELi32ELi8ELi32ELi8ELi8ELi32ELc78ELc67EK16rocblas_bfloat16S2_S1_EEvlllT_PT11_llS5_llS3_PT12_llPT13_lli,@function
_ZN12_GLOBAL__N_135rocblas_gemm_batched_general_kernelIfLi16ELi16ELi32ELi32ELi8ELi32ELi8ELi8ELi32ELc78ELc67EK16rocblas_bfloat16S2_S1_EEvlllT_PT11_llS5_llS3_PT12_llPT13_lli: ; @_ZN12_GLOBAL__N_135rocblas_gemm_batched_general_kernelIfLi16ELi16ELi32ELi32ELi8ELi32ELi8ELi8ELi32ELc78ELc67EK16rocblas_bfloat16S2_S1_EEvlllT_PT11_llS5_llS3_PT12_llPT13_lli
; %bb.0:
	s_load_b32 s33, s[0:1], 0x88
	s_bfe_u32 s2, ttmp6, 0x40014
	s_lshr_b32 s3, ttmp7, 16
	s_add_co_i32 s2, s2, 1
	s_bfe_u32 s5, ttmp6, 0x40008
	s_mul_i32 s4, s3, s2
	s_getreg_b32 s2, hwreg(HW_REG_IB_STS2, 6, 4)
	s_add_co_i32 s5, s5, s4
	s_cmp_eq_u32 s2, 0
	s_mov_b32 s35, 0
	s_cselect_b32 s34, s3, s5
	s_wait_kmcnt 0x0
	s_cmp_ge_i32 s34, s33
	s_cbranch_scc1 .LBB443_74
; %bb.1:
	s_clause 0x3
	s_load_b128 s[4:7], s[0:1], 0x0
	s_load_b256 s[16:23], s[0:1], 0x20
	s_load_b128 s[28:31], s[0:1], 0x40
	s_load_b32 s39, s[0:1], 0x50
	v_bfe_u32 v8, v0, 10, 10
	v_and_b32_e32 v10, 0x3ff, v0
	s_bfe_u32 s3, ttmp6, 0x4000c
	s_clause 0x1
	s_load_b128 s[24:27], s[0:1], 0x78
	s_load_b256 s[8:15], s[0:1], 0x58
	s_add_co_i32 s3, s3, 1
	s_bfe_u32 s38, ttmp6, 0x40010
	v_lshl_add_u32 v4, v8, 4, v10
	v_mov_b32_e32 v9, 0
	s_and_b32 s36, ttmp6, 15
	s_mul_i32 s3, ttmp9, s3
	s_and_b32 s37, ttmp7, 0xffff
	v_and_b32_e32 v27, 31, v4
	v_dual_mov_b32 v1, v9 :: v_dual_bitop2_b32 v0, 7, v0 bitop3:0x40
	v_dual_mov_b32 v3, v9 :: v_dual_lshrrev_b32 v2, 5, v4
	s_add_co_i32 s38, s38, 1
	s_add_co_i32 s36, s36, s3
	s_wait_kmcnt 0x0
	v_mul_u64_e32 v[12:13], s[28:29], v[0:1]
	s_mul_i32 s3, s37, s38
	s_bfe_u32 s38, ttmp6, 0x40004
	v_mul_u64_e32 v[16:17], s[18:19], v[2:3]
	s_add_co_i32 s38, s38, s3
	s_cmp_eq_u32 s2, 0
	s_mov_b32 s41, s35
	s_cselect_b32 s44, s37, s38
	s_cselect_b32 s2, ttmp9, s36
	s_lshl_b32 s40, s44, 5
	s_ashr_i32 s3, s2, 31
	v_add_nc_u64_e32 v[18:19], s[40:41], v[8:9]
	v_dual_mov_b32 v15, v9 :: v_dual_lshrrev_b32 v14, 3, v4
	s_lshl_b64 s[42:43], s[2:3], 5
	s_delay_alu instid0(SALU_CYCLE_1) | instskip(SKIP_1) | instid1(VALU_DEP_4)
	v_dual_mov_b32 v11, v9 :: v_dual_bitop2_b32 v4, s42, v27 bitop3:0x54
	v_mov_b32_e32 v5, s43
	v_mul_u64_e32 v[20:21], s[10:11], v[18:19]
	v_add_nc_u64_e32 v[6:7], s[40:41], v[14:15]
	v_lshlrev_b32_e32 v15, 2, v27
	s_load_b96 s[36:38], s[0:1], 0x10
	s_wait_xcnt 0x0
	v_cmp_gt_i64_e64 s0, s[4:5], v[4:5]
	v_mul_u64_e32 v[4:5], s[24:25], v[18:19]
	v_lshlrev_b32_e32 v22, 2, v0
	s_cmp_eq_f32 s39, 0
	v_cmp_gt_i64_e64 s1, s[6:7], v[6:7]
	v_add_nc_u64_e32 v[6:7], s[42:43], v[10:11]
	v_lshl_or_b32 v24, v2, 7, v15
	s_cselect_b32 s40, -1, 0
	s_lshl_b32 s42, s44, 6
	s_mov_b32 s43, s35
	v_lshl_add_u32 v25, v8, 5, 0x400
	v_lshlrev_b32_e32 v8, 1, v14
	v_lshl_or_b32 v15, v14, 5, v22
	v_lshl_add_u64 v[12:13], v[12:13], 1, s[42:43]
	s_lshl_b64 s[2:3], s[2:3], 6
	v_add_nc_u64_e32 v[22:23], 16, v[18:19]
	v_lshl_add_u64 v[16:17], v[16:17], 1, s[2:3]
	v_add_nc_u32_e32 v26, 0x400, v15
	v_add_nc_u64_e32 v[14:15], 16, v[6:7]
	v_add_nc_u64_e32 v[12:13], v[12:13], v[8:9]
	v_dual_lshlrev_b32 v8, 1, v27 :: v_dual_lshlrev_b32 v27, 2, v10
	v_cmp_gt_i64_e64 s3, s[4:5], v[6:7]
	v_cmp_gt_i64_e64 s2, s[6:7], v[18:19]
	s_lshl_b64 s[10:11], s[10:11], 4
	v_cmp_gt_i64_e64 s4, s[4:5], v[14:15]
	v_add_nc_u64_e32 v[14:15], v[16:17], v[8:9]
	v_cmp_gt_i64_e64 s5, s[6:7], v[22:23]
	s_lshl_b64 s[6:7], s[24:25], 4
	v_add_nc_u64_e32 v[10:11], s[22:23], v[12:13]
	s_wait_kmcnt 0x0
	v_cmp_gt_i64_e64 s24, s[36:37], 0
	v_lshl_add_u64 v[8:9], v[20:21], 1, s[8:9]
	s_lshl_b64 s[8:9], s[30:31], 1
	v_add_nc_u64_e32 v[12:13], s[16:17], v[14:15]
	s_lshl_b64 s[16:17], s[28:29], 4
	s_lshl_b64 s[20:21], s[20:21], 1
	s_lshl_b64 s[18:19], s[18:19], 4
	s_branch .LBB443_5
.LBB443_2:                              ;   in Loop: Header=BB443_5 Depth=1
	s_or_b32 exec_lo, exec_lo, s22
	global_store_d16_hi_b16 v[16:17], v15, off offset:32
.LBB443_3:                              ;   in Loop: Header=BB443_5 Depth=1
	s_wait_xcnt 0x0
	s_or_b32 exec_lo, exec_lo, s25
.LBB443_4:                              ;   in Loop: Header=BB443_5 Depth=1
	s_add_co_i32 s34, s34, 0x10000
	s_delay_alu instid0(SALU_CYCLE_1)
	s_cmp_lt_i32 s34, s33
	s_cbranch_scc0 .LBB443_74
.LBB443_5:                              ; =>This Loop Header: Depth=1
                                        ;     Child Loop BB443_8 Depth 2
	v_dual_mov_b32 v17, 0 :: v_dual_mov_b32 v16, 0
	v_dual_mov_b32 v15, 0 :: v_dual_mov_b32 v14, 0
	s_and_not1_b32 vcc_lo, exec_lo, s24
	s_cbranch_vccnz .LBB443_12
; %bb.6:                                ;   in Loop: Header=BB443_5 Depth=1
	v_mad_nc_u64_u32 v[18:19], s8, s34, v[10:11]
	v_mad_nc_u64_u32 v[20:21], s20, s34, v[12:13]
	v_mov_b32_e32 v16, 0
	s_mov_b64 s[22:23], 0
	s_delay_alu instid0(VALU_DEP_1)
	v_dual_mov_b32 v17, v16 :: v_dual_mov_b32 v14, v16
	v_mov_b32_e32 v15, v16
	v_mad_u32 v19, s9, s34, v19
	v_mad_u32 v21, s21, s34, v21
	s_branch .LBB443_8
.LBB443_7:                              ;   in Loop: Header=BB443_8 Depth=2
	s_wait_xcnt 0x0
	s_or_b32 exec_lo, exec_lo, s25
	ds_store_b32 v26, v23
	s_wait_dscnt 0x0
	s_barrier_signal -1
	s_barrier_wait -1
	ds_load_b128 v[28:31], v25
	ds_load_2addr_b32 v[22:23], v27 offset1:16
	ds_load_b128 v[32:35], v25 offset:512
	ds_load_2addr_b32 v[44:45], v27 offset0:32 offset1:48
	ds_load_2addr_b32 v[46:47], v27 offset0:64 offset1:80
	;; [unrolled: 1-line block ×3, first 2 shown]
	ds_load_b128 v[36:39], v25 offset:16
	ds_load_2addr_b32 v[50:51], v27 offset0:128 offset1:144
	ds_load_b128 v[40:43], v25 offset:528
	s_add_nc_u64 s[22:23], s[22:23], 8
	v_add_nc_u64_e32 v[18:19], s[16:17], v[18:19]
	v_cmp_lt_i64_e64 s25, s[22:23], s[36:37]
	v_add_nc_u64_e32 v[20:21], s[18:19], v[20:21]
	s_and_b32 vcc_lo, exec_lo, s25
	s_wait_dscnt 0x7
	v_pk_fma_f32 v[16:17], v[22:23], v[28:29], v[16:17] op_sel_hi:[1,0,1]
	s_wait_dscnt 0x6
	v_pk_fma_f32 v[14:15], v[22:23], v[32:33], v[14:15] op_sel_hi:[1,0,1]
	ds_load_2addr_b32 v[22:23], v27 offset0:160 offset1:176
	s_wait_dscnt 0x6
	v_pk_fma_f32 v[16:17], v[44:45], v[28:29], v[16:17] op_sel:[0,1,0]
	v_pk_fma_f32 v[14:15], v[44:45], v[32:33], v[14:15] op_sel:[0,1,0]
	ds_load_2addr_b32 v[28:29], v27 offset0:192 offset1:208
	v_dual_mov_b32 v32, v31 :: v_dual_mov_b32 v44, v35
	s_wait_dscnt 0x6
	v_pk_fma_f32 v[16:17], v[46:47], v[30:31], v[16:17] op_sel_hi:[1,0,1]
	v_pk_fma_f32 v[14:15], v[46:47], v[34:35], v[14:15] op_sel_hi:[1,0,1]
	ds_load_2addr_b32 v[30:31], v27 offset0:224 offset1:240
	s_wait_dscnt 0x0
	s_barrier_signal -1
	v_pk_fma_f32 v[16:17], v[48:49], v[32:33], v[16:17] op_sel_hi:[1,0,1]
	v_pk_fma_f32 v[14:15], v[48:49], v[44:45], v[14:15] op_sel_hi:[1,0,1]
	s_barrier_wait -1
	v_mov_b32_e32 v32, v43
	s_delay_alu instid0(VALU_DEP_3) | instskip(NEXT) | instid1(VALU_DEP_3)
	v_pk_fma_f32 v[16:17], v[50:51], v[36:37], v[16:17] op_sel_hi:[1,0,1]
	v_pk_fma_f32 v[14:15], v[50:51], v[40:41], v[14:15] op_sel_hi:[1,0,1]
	s_delay_alu instid0(VALU_DEP_2) | instskip(NEXT) | instid1(VALU_DEP_2)
	v_pk_fma_f32 v[16:17], v[22:23], v[36:37], v[16:17] op_sel:[0,1,0]
	v_pk_fma_f32 v[14:15], v[22:23], v[40:41], v[14:15] op_sel:[0,1,0]
	v_mov_b32_e32 v22, v39
	s_delay_alu instid0(VALU_DEP_3) | instskip(NEXT) | instid1(VALU_DEP_3)
	v_pk_fma_f32 v[16:17], v[28:29], v[38:39], v[16:17] op_sel_hi:[1,0,1]
	v_pk_fma_f32 v[14:15], v[28:29], v[42:43], v[14:15] op_sel_hi:[1,0,1]
	s_delay_alu instid0(VALU_DEP_2) | instskip(NEXT) | instid1(VALU_DEP_2)
	v_pk_fma_f32 v[16:17], v[30:31], v[22:23], v[16:17] op_sel_hi:[1,0,1]
	v_pk_fma_f32 v[14:15], v[30:31], v[32:33], v[14:15] op_sel_hi:[1,0,1]
	s_cbranch_vccz .LBB443_12
.LBB443_8:                              ;   Parent Loop BB443_5 Depth=1
                                        ; =>  This Inner Loop Header: Depth=2
	v_add_nc_u64_e32 v[22:23], s[22:23], v[2:3]
	s_delay_alu instid0(VALU_DEP_1) | instskip(SKIP_2) | instid1(SALU_CYCLE_1)
	v_cmp_gt_i64_e32 vcc_lo, s[36:37], v[22:23]
	v_mov_b32_e32 v22, 0
	s_and_b32 s28, s0, vcc_lo
	s_and_saveexec_b32 s25, s28
	s_cbranch_execz .LBB443_10
; %bb.9:                                ;   in Loop: Header=BB443_8 Depth=2
	global_load_u16 v22, v[20:21], off
	s_wait_loadcnt 0x0
	v_lshlrev_b32_e32 v22, 16, v22
.LBB443_10:                             ;   in Loop: Header=BB443_8 Depth=2
	s_wait_xcnt 0x0
	s_or_b32 exec_lo, exec_lo, s25
	v_add_nc_u64_e32 v[28:29], s[22:23], v[0:1]
	v_mov_b32_e32 v23, 0
	ds_store_b32 v24, v22
	v_cmp_gt_i64_e32 vcc_lo, s[36:37], v[28:29]
	s_and_b32 s28, vcc_lo, s1
	s_delay_alu instid0(SALU_CYCLE_1)
	s_and_saveexec_b32 s25, s28
	s_cbranch_execz .LBB443_7
; %bb.11:                               ;   in Loop: Header=BB443_8 Depth=2
	global_load_u16 v22, v[18:19], off
	s_wait_loadcnt 0x0
	v_lshlrev_b32_e32 v23, 16, v22
	s_branch .LBB443_7
.LBB443_12:                             ;   in Loop: Header=BB443_5 Depth=1
	s_mul_u64 s[22:23], s[26:27], s[34:35]
	s_and_not1_b32 vcc_lo, exec_lo, s40
	s_lshl_b64 s[22:23], s[22:23], 1
	s_delay_alu instid0(SALU_CYCLE_1)
	s_add_nc_u64 s[22:23], s[14:15], s[22:23]
	s_cbranch_vccnz .LBB443_17
; %bb.13:                               ;   in Loop: Header=BB443_5 Depth=1
	s_and_saveexec_b32 s25, s2
	s_cbranch_execz .LBB443_32
; %bb.14:                               ;   in Loop: Header=BB443_5 Depth=1
	v_lshl_add_u64 v[18:19], v[4:5], 1, s[22:23]
	s_and_saveexec_b32 s28, s3
	s_cbranch_execnz .LBB443_18
; %bb.15:                               ;   in Loop: Header=BB443_5 Depth=1
	s_or_b32 exec_lo, exec_lo, s28
	s_and_saveexec_b32 s28, s4
	s_cbranch_execnz .LBB443_23
.LBB443_16:                             ;   in Loop: Header=BB443_5 Depth=1
	s_or_b32 exec_lo, exec_lo, s28
	s_delay_alu instid0(SALU_CYCLE_1)
	s_and_b32 exec_lo, exec_lo, s5
	s_cbranch_execnz .LBB443_28
	s_branch .LBB443_32
.LBB443_17:                             ;   in Loop: Header=BB443_5 Depth=1
	s_branch .LBB443_33
.LBB443_18:                             ;   in Loop: Header=BB443_5 Depth=1
	v_mul_f32_e32 v20, s38, v16
	s_delay_alu instid0(VALU_DEP_1) | instskip(NEXT) | instid1(VALU_DEP_1)
	v_and_b32_e32 v21, 0x7f800000, v20
	v_cmp_ne_u32_e32 vcc_lo, 0x7f800000, v21
                                        ; implicit-def: $vgpr21
	s_and_saveexec_b32 s29, vcc_lo
	s_delay_alu instid0(SALU_CYCLE_1)
	s_xor_b32 s29, exec_lo, s29
; %bb.19:                               ;   in Loop: Header=BB443_5 Depth=1
	v_bfe_u32 v21, v20, 16, 1
	s_delay_alu instid0(VALU_DEP_1)
	v_add3_u32 v21, v20, v21, 0x7fff
                                        ; implicit-def: $vgpr20
; %bb.20:                               ;   in Loop: Header=BB443_5 Depth=1
	s_and_not1_saveexec_b32 s29, s29
; %bb.21:                               ;   in Loop: Header=BB443_5 Depth=1
	v_and_b32_e32 v21, 0xffff, v20
	v_or_b32_e32 v22, 0x10000, v20
	s_delay_alu instid0(VALU_DEP_2) | instskip(NEXT) | instid1(VALU_DEP_2)
	v_cmp_eq_u32_e32 vcc_lo, 0, v21
	v_cndmask_b32_e32 v21, v22, v20, vcc_lo
; %bb.22:                               ;   in Loop: Header=BB443_5 Depth=1
	s_or_b32 exec_lo, exec_lo, s29
	v_lshl_add_u64 v[22:23], v[6:7], 1, v[18:19]
	global_store_d16_hi_b16 v[22:23], v21, off
	s_wait_xcnt 0x0
	s_or_b32 exec_lo, exec_lo, s28
	s_and_saveexec_b32 s28, s4
	s_cbranch_execz .LBB443_16
.LBB443_23:                             ;   in Loop: Header=BB443_5 Depth=1
	v_mul_f32_e32 v20, s38, v17
	s_delay_alu instid0(VALU_DEP_1) | instskip(NEXT) | instid1(VALU_DEP_1)
	v_and_b32_e32 v21, 0x7f800000, v20
	v_cmp_ne_u32_e32 vcc_lo, 0x7f800000, v21
                                        ; implicit-def: $vgpr21
	s_and_saveexec_b32 s29, vcc_lo
	s_delay_alu instid0(SALU_CYCLE_1)
	s_xor_b32 s29, exec_lo, s29
; %bb.24:                               ;   in Loop: Header=BB443_5 Depth=1
	v_bfe_u32 v21, v20, 16, 1
	s_delay_alu instid0(VALU_DEP_1)
	v_add3_u32 v21, v20, v21, 0x7fff
                                        ; implicit-def: $vgpr20
; %bb.25:                               ;   in Loop: Header=BB443_5 Depth=1
	s_and_not1_saveexec_b32 s29, s29
; %bb.26:                               ;   in Loop: Header=BB443_5 Depth=1
	v_and_b32_e32 v21, 0xffff, v20
	v_or_b32_e32 v22, 0x10000, v20
	s_delay_alu instid0(VALU_DEP_2) | instskip(NEXT) | instid1(VALU_DEP_2)
	v_cmp_eq_u32_e32 vcc_lo, 0, v21
	v_cndmask_b32_e32 v21, v22, v20, vcc_lo
; %bb.27:                               ;   in Loop: Header=BB443_5 Depth=1
	s_or_b32 exec_lo, exec_lo, s29
	v_lshl_add_u64 v[22:23], v[6:7], 1, v[18:19]
	global_store_d16_hi_b16 v[22:23], v21, off offset:32
	s_wait_xcnt 0x0
	s_or_b32 exec_lo, exec_lo, s28
	s_delay_alu instid0(SALU_CYCLE_1)
	s_and_b32 exec_lo, exec_lo, s5
	s_cbranch_execz .LBB443_32
.LBB443_28:                             ;   in Loop: Header=BB443_5 Depth=1
	v_lshl_add_u64 v[18:19], s[6:7], 1, v[18:19]
	s_delay_alu instid0(VALU_DEP_1)
	v_lshl_add_u64 v[18:19], v[6:7], 1, v[18:19]
	s_and_saveexec_b32 s28, s3
	s_cbranch_execz .LBB443_30
; %bb.29:                               ;   in Loop: Header=BB443_5 Depth=1
	v_mul_f32_e32 v20, s38, v14
	s_delay_alu instid0(VALU_DEP_1) | instskip(SKIP_3) | instid1(VALU_DEP_4)
	v_and_b32_e32 v22, 0xffff, v20
	v_bfe_u32 v21, v20, 16, 1
	v_or_b32_e32 v23, 0x10000, v20
	v_and_b32_e32 v28, 0x7f800000, v20
	v_cmp_eq_u32_e32 vcc_lo, 0, v22
	s_delay_alu instid0(VALU_DEP_4) | instskip(NEXT) | instid1(VALU_DEP_4)
	v_add3_u32 v21, v20, v21, 0x7fff
	v_cndmask_b32_e32 v20, v23, v20, vcc_lo
	s_delay_alu instid0(VALU_DEP_4) | instskip(NEXT) | instid1(VALU_DEP_2)
	v_cmp_eq_u32_e32 vcc_lo, 0x7f800000, v28
	v_cndmask_b32_e32 v20, v21, v20, vcc_lo
	global_store_d16_hi_b16 v[18:19], v20, off
.LBB443_30:                             ;   in Loop: Header=BB443_5 Depth=1
	s_wait_xcnt 0x0
	s_or_b32 exec_lo, exec_lo, s28
	s_delay_alu instid0(SALU_CYCLE_1)
	s_and_b32 exec_lo, exec_lo, s4
	s_cbranch_execz .LBB443_32
; %bb.31:                               ;   in Loop: Header=BB443_5 Depth=1
	v_mul_f32_e32 v20, s38, v15
	s_delay_alu instid0(VALU_DEP_1) | instskip(SKIP_3) | instid1(VALU_DEP_4)
	v_and_b32_e32 v22, 0xffff, v20
	v_bfe_u32 v21, v20, 16, 1
	v_or_b32_e32 v23, 0x10000, v20
	v_and_b32_e32 v28, 0x7f800000, v20
	v_cmp_eq_u32_e32 vcc_lo, 0, v22
	s_delay_alu instid0(VALU_DEP_4) | instskip(NEXT) | instid1(VALU_DEP_4)
	v_add3_u32 v21, v20, v21, 0x7fff
	v_cndmask_b32_e32 v20, v23, v20, vcc_lo
	s_delay_alu instid0(VALU_DEP_4) | instskip(NEXT) | instid1(VALU_DEP_2)
	v_cmp_eq_u32_e32 vcc_lo, 0x7f800000, v28
	v_cndmask_b32_e32 v20, v21, v20, vcc_lo
	global_store_d16_hi_b16 v[18:19], v20, off offset:32
.LBB443_32:                             ;   in Loop: Header=BB443_5 Depth=1
	s_wait_xcnt 0x0
	s_or_b32 exec_lo, exec_lo, s25
	s_cbranch_execnz .LBB443_4
.LBB443_33:                             ;   in Loop: Header=BB443_5 Depth=1
	s_and_saveexec_b32 s25, s2
	s_cbranch_execz .LBB443_3
; %bb.34:                               ;   in Loop: Header=BB443_5 Depth=1
	s_mul_u64 s[28:29], s[12:13], s[34:35]
	v_lshl_add_u64 v[20:21], v[4:5], 1, s[22:23]
	v_lshl_add_u64 v[18:19], s[28:29], 1, v[8:9]
	s_delay_alu instid0(VALU_DEP_1)
	v_lshl_add_u64 v[22:23], v[6:7], 1, v[18:19]
	s_and_saveexec_b32 s22, s3
	s_cbranch_execnz .LBB443_37
; %bb.35:                               ;   in Loop: Header=BB443_5 Depth=1
	s_or_b32 exec_lo, exec_lo, s22
	s_and_saveexec_b32 s22, s4
	s_cbranch_execnz .LBB443_46
.LBB443_36:                             ;   in Loop: Header=BB443_5 Depth=1
	s_or_b32 exec_lo, exec_lo, s22
	s_delay_alu instid0(SALU_CYCLE_1)
	s_and_b32 exec_lo, exec_lo, s5
	s_cbranch_execz .LBB443_3
	s_branch .LBB443_55
.LBB443_37:                             ;   in Loop: Header=BB443_5 Depth=1
	global_load_u16 v28, v[22:23], off
	s_wait_loadcnt 0x0
	v_lshlrev_b32_e32 v28, 16, v28
	s_delay_alu instid0(VALU_DEP_1) | instskip(NEXT) | instid1(VALU_DEP_1)
	v_mul_f32_e32 v28, s39, v28
	v_and_b32_e32 v29, 0x7f800000, v28
	s_delay_alu instid0(VALU_DEP_1) | instskip(SKIP_2) | instid1(SALU_CYCLE_1)
	v_cmp_ne_u32_e32 vcc_lo, 0x7f800000, v29
                                        ; implicit-def: $vgpr29
	s_wait_xcnt 0x0
	s_and_saveexec_b32 s23, vcc_lo
	s_xor_b32 s23, exec_lo, s23
; %bb.38:                               ;   in Loop: Header=BB443_5 Depth=1
	v_bfe_u32 v29, v28, 16, 1
	s_delay_alu instid0(VALU_DEP_1)
	v_add3_u32 v29, v28, v29, 0x7fff
                                        ; implicit-def: $vgpr28
; %bb.39:                               ;   in Loop: Header=BB443_5 Depth=1
	s_and_not1_saveexec_b32 s23, s23
; %bb.40:                               ;   in Loop: Header=BB443_5 Depth=1
	v_and_b32_e32 v29, 0xffff, v28
	v_or_b32_e32 v30, 0x10000, v28
	s_delay_alu instid0(VALU_DEP_2) | instskip(NEXT) | instid1(VALU_DEP_2)
	v_cmp_eq_u32_e32 vcc_lo, 0, v29
	v_cndmask_b32_e32 v29, v30, v28, vcc_lo
; %bb.41:                               ;   in Loop: Header=BB443_5 Depth=1
	s_or_b32 exec_lo, exec_lo, s23
	s_delay_alu instid0(VALU_DEP_1) | instskip(NEXT) | instid1(VALU_DEP_1)
	v_fma_mix_f32_bf16 v16, s38, v16, v29 op_sel:[0,0,1] op_sel_hi:[0,0,1]
	v_and_b32_e32 v28, 0x7f800000, v16
	s_delay_alu instid0(VALU_DEP_1) | instskip(SKIP_1) | instid1(SALU_CYCLE_1)
	v_cmp_ne_u32_e32 vcc_lo, 0x7f800000, v28
                                        ; implicit-def: $vgpr28
	s_and_saveexec_b32 s23, vcc_lo
	s_xor_b32 s23, exec_lo, s23
; %bb.42:                               ;   in Loop: Header=BB443_5 Depth=1
	v_bfe_u32 v28, v16, 16, 1
	s_delay_alu instid0(VALU_DEP_1)
	v_add3_u32 v28, v16, v28, 0x7fff
                                        ; implicit-def: $vgpr16
; %bb.43:                               ;   in Loop: Header=BB443_5 Depth=1
	s_and_not1_saveexec_b32 s23, s23
; %bb.44:                               ;   in Loop: Header=BB443_5 Depth=1
	v_and_b32_e32 v28, 0xffff, v16
	v_or_b32_e32 v29, 0x10000, v16
	s_delay_alu instid0(VALU_DEP_2) | instskip(NEXT) | instid1(VALU_DEP_2)
	v_cmp_eq_u32_e32 vcc_lo, 0, v28
	v_cndmask_b32_e32 v28, v29, v16, vcc_lo
; %bb.45:                               ;   in Loop: Header=BB443_5 Depth=1
	s_or_b32 exec_lo, exec_lo, s23
	v_lshl_add_u64 v[30:31], v[6:7], 1, v[20:21]
	global_store_d16_hi_b16 v[30:31], v28, off
	s_wait_xcnt 0x0
	s_or_b32 exec_lo, exec_lo, s22
	s_and_saveexec_b32 s22, s4
	s_cbranch_execz .LBB443_36
.LBB443_46:                             ;   in Loop: Header=BB443_5 Depth=1
	global_load_u16 v16, v[22:23], off offset:32
	s_wait_loadcnt 0x0
	v_lshlrev_b32_e32 v16, 16, v16
	s_delay_alu instid0(VALU_DEP_1) | instskip(SKIP_1) | instid1(VALU_DEP_1)
	v_mul_f32_e32 v16, s39, v16
	s_wait_xcnt 0x0
	v_and_b32_e32 v22, 0x7f800000, v16
	s_delay_alu instid0(VALU_DEP_1) | instskip(SKIP_1) | instid1(SALU_CYCLE_1)
	v_cmp_ne_u32_e32 vcc_lo, 0x7f800000, v22
                                        ; implicit-def: $vgpr22
	s_and_saveexec_b32 s23, vcc_lo
	s_xor_b32 s23, exec_lo, s23
; %bb.47:                               ;   in Loop: Header=BB443_5 Depth=1
	v_bfe_u32 v22, v16, 16, 1
	s_delay_alu instid0(VALU_DEP_1)
	v_add3_u32 v22, v16, v22, 0x7fff
                                        ; implicit-def: $vgpr16
; %bb.48:                               ;   in Loop: Header=BB443_5 Depth=1
	s_and_not1_saveexec_b32 s23, s23
; %bb.49:                               ;   in Loop: Header=BB443_5 Depth=1
	v_and_b32_e32 v22, 0xffff, v16
	v_or_b32_e32 v23, 0x10000, v16
	s_delay_alu instid0(VALU_DEP_2) | instskip(NEXT) | instid1(VALU_DEP_2)
	v_cmp_eq_u32_e32 vcc_lo, 0, v22
	v_cndmask_b32_e32 v22, v23, v16, vcc_lo
; %bb.50:                               ;   in Loop: Header=BB443_5 Depth=1
	s_or_b32 exec_lo, exec_lo, s23
	s_delay_alu instid0(VALU_DEP_1) | instskip(NEXT) | instid1(VALU_DEP_1)
	v_fma_mix_f32_bf16 v16, s38, v17, v22 op_sel:[0,0,1] op_sel_hi:[0,0,1]
	v_and_b32_e32 v17, 0x7f800000, v16
	s_delay_alu instid0(VALU_DEP_1) | instskip(SKIP_1) | instid1(SALU_CYCLE_1)
	v_cmp_ne_u32_e32 vcc_lo, 0x7f800000, v17
                                        ; implicit-def: $vgpr17
	s_and_saveexec_b32 s23, vcc_lo
	s_xor_b32 s23, exec_lo, s23
; %bb.51:                               ;   in Loop: Header=BB443_5 Depth=1
	v_bfe_u32 v17, v16, 16, 1
	s_delay_alu instid0(VALU_DEP_1)
	v_add3_u32 v17, v16, v17, 0x7fff
                                        ; implicit-def: $vgpr16
; %bb.52:                               ;   in Loop: Header=BB443_5 Depth=1
	s_and_not1_saveexec_b32 s23, s23
; %bb.53:                               ;   in Loop: Header=BB443_5 Depth=1
	v_and_b32_e32 v17, 0xffff, v16
	v_or_b32_e32 v22, 0x10000, v16
	s_delay_alu instid0(VALU_DEP_2) | instskip(NEXT) | instid1(VALU_DEP_2)
	v_cmp_eq_u32_e32 vcc_lo, 0, v17
	v_cndmask_b32_e32 v17, v22, v16, vcc_lo
; %bb.54:                               ;   in Loop: Header=BB443_5 Depth=1
	s_or_b32 exec_lo, exec_lo, s23
	v_lshl_add_u64 v[22:23], v[6:7], 1, v[20:21]
	global_store_d16_hi_b16 v[22:23], v17, off offset:32
	s_wait_xcnt 0x0
	s_or_b32 exec_lo, exec_lo, s22
	s_delay_alu instid0(SALU_CYCLE_1)
	s_and_b32 exec_lo, exec_lo, s5
	s_cbranch_execz .LBB443_3
.LBB443_55:                             ;   in Loop: Header=BB443_5 Depth=1
	v_lshlrev_b64_e32 v[16:17], 1, v[6:7]
	v_lshl_add_u64 v[18:19], s[10:11], 1, v[18:19]
	v_lshl_add_u64 v[20:21], s[6:7], 1, v[20:21]
	s_delay_alu instid0(VALU_DEP_2) | instskip(NEXT) | instid1(VALU_DEP_2)
	v_add_nc_u64_e32 v[18:19], v[18:19], v[16:17]
	v_add_nc_u64_e32 v[16:17], v[20:21], v[16:17]
	s_and_saveexec_b32 s22, s3
	s_cbranch_execz .LBB443_65
; %bb.56:                               ;   in Loop: Header=BB443_5 Depth=1
	global_load_u16 v20, v[18:19], off
	s_wait_loadcnt 0x0
	v_lshlrev_b32_e32 v20, 16, v20
	s_delay_alu instid0(VALU_DEP_1) | instskip(NEXT) | instid1(VALU_DEP_1)
	v_mul_f32_e32 v20, s39, v20
	v_and_b32_e32 v21, 0x7f800000, v20
	s_delay_alu instid0(VALU_DEP_1) | instskip(SKIP_2) | instid1(SALU_CYCLE_1)
	v_cmp_ne_u32_e32 vcc_lo, 0x7f800000, v21
                                        ; implicit-def: $vgpr21
	s_wait_xcnt 0x0
	s_and_saveexec_b32 s23, vcc_lo
	s_xor_b32 s23, exec_lo, s23
; %bb.57:                               ;   in Loop: Header=BB443_5 Depth=1
	v_bfe_u32 v21, v20, 16, 1
	s_delay_alu instid0(VALU_DEP_1)
	v_add3_u32 v21, v20, v21, 0x7fff
                                        ; implicit-def: $vgpr20
; %bb.58:                               ;   in Loop: Header=BB443_5 Depth=1
	s_and_not1_saveexec_b32 s23, s23
; %bb.59:                               ;   in Loop: Header=BB443_5 Depth=1
	v_and_b32_e32 v21, 0xffff, v20
	v_or_b32_e32 v22, 0x10000, v20
	s_delay_alu instid0(VALU_DEP_2) | instskip(NEXT) | instid1(VALU_DEP_2)
	v_cmp_eq_u32_e32 vcc_lo, 0, v21
	v_cndmask_b32_e32 v21, v22, v20, vcc_lo
; %bb.60:                               ;   in Loop: Header=BB443_5 Depth=1
	s_or_b32 exec_lo, exec_lo, s23
	s_delay_alu instid0(VALU_DEP_1) | instskip(NEXT) | instid1(VALU_DEP_1)
	v_fma_mix_f32_bf16 v14, s38, v14, v21 op_sel:[0,0,1] op_sel_hi:[0,0,1]
	v_and_b32_e32 v20, 0x7f800000, v14
	s_delay_alu instid0(VALU_DEP_1) | instskip(SKIP_1) | instid1(SALU_CYCLE_1)
	v_cmp_ne_u32_e32 vcc_lo, 0x7f800000, v20
                                        ; implicit-def: $vgpr20
	s_and_saveexec_b32 s23, vcc_lo
	s_xor_b32 s23, exec_lo, s23
; %bb.61:                               ;   in Loop: Header=BB443_5 Depth=1
	v_bfe_u32 v20, v14, 16, 1
	s_delay_alu instid0(VALU_DEP_1)
	v_add3_u32 v20, v14, v20, 0x7fff
                                        ; implicit-def: $vgpr14
; %bb.62:                               ;   in Loop: Header=BB443_5 Depth=1
	s_and_not1_saveexec_b32 s23, s23
; %bb.63:                               ;   in Loop: Header=BB443_5 Depth=1
	v_and_b32_e32 v20, 0xffff, v14
	v_or_b32_e32 v21, 0x10000, v14
	s_delay_alu instid0(VALU_DEP_2) | instskip(NEXT) | instid1(VALU_DEP_2)
	v_cmp_eq_u32_e32 vcc_lo, 0, v20
	v_cndmask_b32_e32 v20, v21, v14, vcc_lo
; %bb.64:                               ;   in Loop: Header=BB443_5 Depth=1
	s_or_b32 exec_lo, exec_lo, s23
	global_store_d16_hi_b16 v[16:17], v20, off
.LBB443_65:                             ;   in Loop: Header=BB443_5 Depth=1
	s_wait_xcnt 0x0
	s_or_b32 exec_lo, exec_lo, s22
	s_delay_alu instid0(SALU_CYCLE_1)
	s_and_b32 exec_lo, exec_lo, s4
	s_cbranch_execz .LBB443_3
; %bb.66:                               ;   in Loop: Header=BB443_5 Depth=1
	global_load_u16 v14, v[18:19], off offset:32
	s_wait_loadcnt 0x0
	v_lshlrev_b32_e32 v14, 16, v14
	s_delay_alu instid0(VALU_DEP_1) | instskip(SKIP_1) | instid1(VALU_DEP_1)
	v_mul_f32_e32 v14, s39, v14
	s_wait_xcnt 0x0
	v_and_b32_e32 v18, 0x7f800000, v14
	s_delay_alu instid0(VALU_DEP_1) | instskip(SKIP_1) | instid1(SALU_CYCLE_1)
	v_cmp_ne_u32_e32 vcc_lo, 0x7f800000, v18
                                        ; implicit-def: $vgpr18
	s_and_saveexec_b32 s22, vcc_lo
	s_xor_b32 s22, exec_lo, s22
; %bb.67:                               ;   in Loop: Header=BB443_5 Depth=1
	v_bfe_u32 v18, v14, 16, 1
	s_delay_alu instid0(VALU_DEP_1)
	v_add3_u32 v18, v14, v18, 0x7fff
                                        ; implicit-def: $vgpr14
; %bb.68:                               ;   in Loop: Header=BB443_5 Depth=1
	s_and_not1_saveexec_b32 s22, s22
; %bb.69:                               ;   in Loop: Header=BB443_5 Depth=1
	v_and_b32_e32 v18, 0xffff, v14
	v_or_b32_e32 v19, 0x10000, v14
	s_delay_alu instid0(VALU_DEP_2) | instskip(NEXT) | instid1(VALU_DEP_2)
	v_cmp_eq_u32_e32 vcc_lo, 0, v18
	v_cndmask_b32_e32 v18, v19, v14, vcc_lo
; %bb.70:                               ;   in Loop: Header=BB443_5 Depth=1
	s_or_b32 exec_lo, exec_lo, s22
	s_delay_alu instid0(VALU_DEP_1) | instskip(NEXT) | instid1(VALU_DEP_1)
	v_fma_mix_f32_bf16 v14, s38, v15, v18 op_sel:[0,0,1] op_sel_hi:[0,0,1]
	v_and_b32_e32 v15, 0x7f800000, v14
	s_delay_alu instid0(VALU_DEP_1) | instskip(SKIP_1) | instid1(SALU_CYCLE_1)
	v_cmp_ne_u32_e32 vcc_lo, 0x7f800000, v15
                                        ; implicit-def: $vgpr15
	s_and_saveexec_b32 s22, vcc_lo
	s_xor_b32 s22, exec_lo, s22
; %bb.71:                               ;   in Loop: Header=BB443_5 Depth=1
	v_bfe_u32 v15, v14, 16, 1
	s_delay_alu instid0(VALU_DEP_1)
	v_add3_u32 v15, v14, v15, 0x7fff
                                        ; implicit-def: $vgpr14
; %bb.72:                               ;   in Loop: Header=BB443_5 Depth=1
	s_and_not1_saveexec_b32 s22, s22
	s_cbranch_execz .LBB443_2
; %bb.73:                               ;   in Loop: Header=BB443_5 Depth=1
	v_and_b32_e32 v15, 0xffff, v14
	v_or_b32_e32 v18, 0x10000, v14
	s_delay_alu instid0(VALU_DEP_2) | instskip(NEXT) | instid1(VALU_DEP_2)
	v_cmp_eq_u32_e32 vcc_lo, 0, v15
	v_cndmask_b32_e32 v15, v18, v14, vcc_lo
	s_branch .LBB443_2
.LBB443_74:
	s_endpgm
	.section	.rodata,"a",@progbits
	.p2align	6, 0x0
	.amdhsa_kernel _ZN12_GLOBAL__N_135rocblas_gemm_batched_general_kernelIfLi16ELi16ELi32ELi32ELi8ELi32ELi8ELi8ELi32ELc78ELc67EK16rocblas_bfloat16S2_S1_EEvlllT_PT11_llS5_llS3_PT12_llPT13_lli
		.amdhsa_group_segment_fixed_size 2048
		.amdhsa_private_segment_fixed_size 0
		.amdhsa_kernarg_size 140
		.amdhsa_user_sgpr_count 2
		.amdhsa_user_sgpr_dispatch_ptr 0
		.amdhsa_user_sgpr_queue_ptr 0
		.amdhsa_user_sgpr_kernarg_segment_ptr 1
		.amdhsa_user_sgpr_dispatch_id 0
		.amdhsa_user_sgpr_kernarg_preload_length 0
		.amdhsa_user_sgpr_kernarg_preload_offset 0
		.amdhsa_user_sgpr_private_segment_size 0
		.amdhsa_wavefront_size32 1
		.amdhsa_uses_dynamic_stack 0
		.amdhsa_enable_private_segment 0
		.amdhsa_system_sgpr_workgroup_id_x 1
		.amdhsa_system_sgpr_workgroup_id_y 1
		.amdhsa_system_sgpr_workgroup_id_z 1
		.amdhsa_system_sgpr_workgroup_info 0
		.amdhsa_system_vgpr_workitem_id 1
		.amdhsa_next_free_vgpr 52
		.amdhsa_next_free_sgpr 45
		.amdhsa_named_barrier_count 0
		.amdhsa_reserve_vcc 1
		.amdhsa_float_round_mode_32 0
		.amdhsa_float_round_mode_16_64 0
		.amdhsa_float_denorm_mode_32 3
		.amdhsa_float_denorm_mode_16_64 3
		.amdhsa_fp16_overflow 0
		.amdhsa_memory_ordered 1
		.amdhsa_forward_progress 1
		.amdhsa_inst_pref_size 23
		.amdhsa_round_robin_scheduling 0
		.amdhsa_exception_fp_ieee_invalid_op 0
		.amdhsa_exception_fp_denorm_src 0
		.amdhsa_exception_fp_ieee_div_zero 0
		.amdhsa_exception_fp_ieee_overflow 0
		.amdhsa_exception_fp_ieee_underflow 0
		.amdhsa_exception_fp_ieee_inexact 0
		.amdhsa_exception_int_div_zero 0
	.end_amdhsa_kernel
	.section	.text._ZN12_GLOBAL__N_135rocblas_gemm_batched_general_kernelIfLi16ELi16ELi32ELi32ELi8ELi32ELi8ELi8ELi32ELc78ELc67EK16rocblas_bfloat16S2_S1_EEvlllT_PT11_llS5_llS3_PT12_llPT13_lli,"axG",@progbits,_ZN12_GLOBAL__N_135rocblas_gemm_batched_general_kernelIfLi16ELi16ELi32ELi32ELi8ELi32ELi8ELi8ELi32ELc78ELc67EK16rocblas_bfloat16S2_S1_EEvlllT_PT11_llS5_llS3_PT12_llPT13_lli,comdat
.Lfunc_end443:
	.size	_ZN12_GLOBAL__N_135rocblas_gemm_batched_general_kernelIfLi16ELi16ELi32ELi32ELi8ELi32ELi8ELi8ELi32ELc78ELc67EK16rocblas_bfloat16S2_S1_EEvlllT_PT11_llS5_llS3_PT12_llPT13_lli, .Lfunc_end443-_ZN12_GLOBAL__N_135rocblas_gemm_batched_general_kernelIfLi16ELi16ELi32ELi32ELi8ELi32ELi8ELi8ELi32ELc78ELc67EK16rocblas_bfloat16S2_S1_EEvlllT_PT11_llS5_llS3_PT12_llPT13_lli
                                        ; -- End function
	.set _ZN12_GLOBAL__N_135rocblas_gemm_batched_general_kernelIfLi16ELi16ELi32ELi32ELi8ELi32ELi8ELi8ELi32ELc78ELc67EK16rocblas_bfloat16S2_S1_EEvlllT_PT11_llS5_llS3_PT12_llPT13_lli.num_vgpr, 52
	.set _ZN12_GLOBAL__N_135rocblas_gemm_batched_general_kernelIfLi16ELi16ELi32ELi32ELi8ELi32ELi8ELi8ELi32ELc78ELc67EK16rocblas_bfloat16S2_S1_EEvlllT_PT11_llS5_llS3_PT12_llPT13_lli.num_agpr, 0
	.set _ZN12_GLOBAL__N_135rocblas_gemm_batched_general_kernelIfLi16ELi16ELi32ELi32ELi8ELi32ELi8ELi8ELi32ELc78ELc67EK16rocblas_bfloat16S2_S1_EEvlllT_PT11_llS5_llS3_PT12_llPT13_lli.numbered_sgpr, 45
	.set _ZN12_GLOBAL__N_135rocblas_gemm_batched_general_kernelIfLi16ELi16ELi32ELi32ELi8ELi32ELi8ELi8ELi32ELc78ELc67EK16rocblas_bfloat16S2_S1_EEvlllT_PT11_llS5_llS3_PT12_llPT13_lli.num_named_barrier, 0
	.set _ZN12_GLOBAL__N_135rocblas_gemm_batched_general_kernelIfLi16ELi16ELi32ELi32ELi8ELi32ELi8ELi8ELi32ELc78ELc67EK16rocblas_bfloat16S2_S1_EEvlllT_PT11_llS5_llS3_PT12_llPT13_lli.private_seg_size, 0
	.set _ZN12_GLOBAL__N_135rocblas_gemm_batched_general_kernelIfLi16ELi16ELi32ELi32ELi8ELi32ELi8ELi8ELi32ELc78ELc67EK16rocblas_bfloat16S2_S1_EEvlllT_PT11_llS5_llS3_PT12_llPT13_lli.uses_vcc, 1
	.set _ZN12_GLOBAL__N_135rocblas_gemm_batched_general_kernelIfLi16ELi16ELi32ELi32ELi8ELi32ELi8ELi8ELi32ELc78ELc67EK16rocblas_bfloat16S2_S1_EEvlllT_PT11_llS5_llS3_PT12_llPT13_lli.uses_flat_scratch, 0
	.set _ZN12_GLOBAL__N_135rocblas_gemm_batched_general_kernelIfLi16ELi16ELi32ELi32ELi8ELi32ELi8ELi8ELi32ELc78ELc67EK16rocblas_bfloat16S2_S1_EEvlllT_PT11_llS5_llS3_PT12_llPT13_lli.has_dyn_sized_stack, 0
	.set _ZN12_GLOBAL__N_135rocblas_gemm_batched_general_kernelIfLi16ELi16ELi32ELi32ELi8ELi32ELi8ELi8ELi32ELc78ELc67EK16rocblas_bfloat16S2_S1_EEvlllT_PT11_llS5_llS3_PT12_llPT13_lli.has_recursion, 0
	.set _ZN12_GLOBAL__N_135rocblas_gemm_batched_general_kernelIfLi16ELi16ELi32ELi32ELi8ELi32ELi8ELi8ELi32ELc78ELc67EK16rocblas_bfloat16S2_S1_EEvlllT_PT11_llS5_llS3_PT12_llPT13_lli.has_indirect_call, 0
	.section	.AMDGPU.csdata,"",@progbits
; Kernel info:
; codeLenInByte = 2852
; TotalNumSgprs: 47
; NumVgprs: 52
; ScratchSize: 0
; MemoryBound: 0
; FloatMode: 240
; IeeeMode: 1
; LDSByteSize: 2048 bytes/workgroup (compile time only)
; SGPRBlocks: 0
; VGPRBlocks: 3
; NumSGPRsForWavesPerEU: 47
; NumVGPRsForWavesPerEU: 52
; NamedBarCnt: 0
; Occupancy: 16
; WaveLimiterHint : 0
; COMPUTE_PGM_RSRC2:SCRATCH_EN: 0
; COMPUTE_PGM_RSRC2:USER_SGPR: 2
; COMPUTE_PGM_RSRC2:TRAP_HANDLER: 0
; COMPUTE_PGM_RSRC2:TGID_X_EN: 1
; COMPUTE_PGM_RSRC2:TGID_Y_EN: 1
; COMPUTE_PGM_RSRC2:TGID_Z_EN: 1
; COMPUTE_PGM_RSRC2:TIDIG_COMP_CNT: 1
	.section	.text._ZN12_GLOBAL__N_135rocblas_gemm_batched_general_kernelIfLi16ELi16ELi32ELi32ELi8ELi32ELi8ELi8ELi32ELc84ELc67EK16rocblas_bfloat16S2_S1_EEvlllT_PT11_llS5_llS3_PT12_llPT13_lli,"axG",@progbits,_ZN12_GLOBAL__N_135rocblas_gemm_batched_general_kernelIfLi16ELi16ELi32ELi32ELi8ELi32ELi8ELi8ELi32ELc84ELc67EK16rocblas_bfloat16S2_S1_EEvlllT_PT11_llS5_llS3_PT12_llPT13_lli,comdat
	.globl	_ZN12_GLOBAL__N_135rocblas_gemm_batched_general_kernelIfLi16ELi16ELi32ELi32ELi8ELi32ELi8ELi8ELi32ELc84ELc67EK16rocblas_bfloat16S2_S1_EEvlllT_PT11_llS5_llS3_PT12_llPT13_lli ; -- Begin function _ZN12_GLOBAL__N_135rocblas_gemm_batched_general_kernelIfLi16ELi16ELi32ELi32ELi8ELi32ELi8ELi8ELi32ELc84ELc67EK16rocblas_bfloat16S2_S1_EEvlllT_PT11_llS5_llS3_PT12_llPT13_lli
	.p2align	8
	.type	_ZN12_GLOBAL__N_135rocblas_gemm_batched_general_kernelIfLi16ELi16ELi32ELi32ELi8ELi32ELi8ELi8ELi32ELc84ELc67EK16rocblas_bfloat16S2_S1_EEvlllT_PT11_llS5_llS3_PT12_llPT13_lli,@function
_ZN12_GLOBAL__N_135rocblas_gemm_batched_general_kernelIfLi16ELi16ELi32ELi32ELi8ELi32ELi8ELi8ELi32ELc84ELc67EK16rocblas_bfloat16S2_S1_EEvlllT_PT11_llS5_llS3_PT12_llPT13_lli: ; @_ZN12_GLOBAL__N_135rocblas_gemm_batched_general_kernelIfLi16ELi16ELi32ELi32ELi8ELi32ELi8ELi8ELi32ELc84ELc67EK16rocblas_bfloat16S2_S1_EEvlllT_PT11_llS5_llS3_PT12_llPT13_lli
; %bb.0:
	s_load_b32 s33, s[0:1], 0x88
	s_bfe_u32 s2, ttmp6, 0x40014
	s_lshr_b32 s3, ttmp7, 16
	s_add_co_i32 s2, s2, 1
	s_bfe_u32 s5, ttmp6, 0x40008
	s_mul_i32 s4, s3, s2
	s_getreg_b32 s2, hwreg(HW_REG_IB_STS2, 6, 4)
	s_add_co_i32 s5, s5, s4
	s_cmp_eq_u32 s2, 0
	s_mov_b32 s35, 0
	s_cselect_b32 s34, s3, s5
	s_wait_kmcnt 0x0
	s_cmp_ge_i32 s34, s33
	s_cbranch_scc1 .LBB444_74
; %bb.1:
	s_clause 0x4
	s_load_b128 s[4:7], s[0:1], 0x0
	s_load_b256 s[16:23], s[0:1], 0x20
	s_load_b128 s[28:31], s[0:1], 0x40
	s_load_b32 s39, s[0:1], 0x50
	s_load_b256 s[8:15], s[0:1], 0x58
	v_bfe_u32 v8, v0, 10, 10
	v_and_b32_e32 v10, 0x3ff, v0
	v_dual_mov_b32 v9, 0 :: v_dual_bitop2_b32 v0, 7, v0 bitop3:0x40
	s_bfe_u32 s3, ttmp6, 0x4000c
	s_bfe_u32 s25, ttmp6, 0x40010
	s_add_co_i32 s3, s3, 1
	s_and_b32 s26, ttmp7, 0xffff
	s_add_co_i32 s25, s25, 1
	s_and_b32 s24, ttmp6, 15
	s_mul_i32 s3, ttmp9, s3
	s_mul_i32 s25, s26, s25
	s_bfe_u32 s27, ttmp6, 0x40004
	v_lshl_add_u32 v2, v8, 4, v10
	v_mov_b32_e32 v1, v9
	s_add_co_i32 s24, s24, s3
	s_add_co_i32 s27, s27, s25
	s_cmp_eq_u32 s2, 0
	v_and_b32_e32 v3, 31, v2
	s_cselect_b32 s2, ttmp9, s24
	s_wait_kmcnt 0x0
	v_mul_u64_e32 v[12:13], s[28:29], v[0:1]
	s_cselect_b32 s42, s26, s27
	s_ashr_i32 s3, s2, 31
	s_clause 0x1
	s_load_b128 s[24:27], s[0:1], 0x78
	s_load_b96 s[36:38], s[0:1], 0x10
	s_lshl_b64 s[2:3], s[2:3], 5
	s_lshl_b32 s40, s42, 5
	v_dual_mov_b32 v5, s3 :: v_dual_bitop2_b32 v4, s2, v3 bitop3:0x54
	s_mov_b32 s41, s35
	v_dual_mov_b32 v17, v9 :: v_dual_lshrrev_b32 v16, 3, v2
	v_add_nc_u64_e32 v[14:15], s[40:41], v[8:9]
	s_delay_alu instid0(VALU_DEP_3)
	v_mul_u64_e32 v[18:19], s[18:19], v[4:5]
	s_wait_xcnt 0x0
	v_cmp_gt_i64_e64 s0, s[4:5], v[4:5]
	v_dual_mov_b32 v11, v9 :: v_dual_lshrrev_b32 v2, 5, v2
	v_add_nc_u64_e32 v[6:7], s[40:41], v[16:17]
	s_cmp_eq_f32 s39, 0
	v_mul_u64_e32 v[20:21], s[10:11], v[14:15]
	v_dual_lshlrev_b32 v17, 2, v0 :: v_dual_lshlrev_b32 v27, 2, v10
	s_cselect_b32 s40, -1, 0
	s_wait_kmcnt 0x0
	v_mul_u64_e32 v[4:5], s[24:25], v[14:15]
	v_cmp_gt_i64_e64 s1, s[6:7], v[6:7]
	v_add_nc_u64_e32 v[6:7], s[2:3], v[10:11]
	s_lshl_b32 s2, s42, 6
	s_mov_b32 s3, s35
	v_lshl_add_u32 v25, v8, 5, 0x400
	v_dual_lshlrev_b32 v8, 1, v16 :: v_dual_lshlrev_b32 v22, 2, v3
	v_mov_b32_e32 v3, v9
	v_lshl_add_u64 v[12:13], v[12:13], 1, s[2:3]
	v_lshl_or_b32 v17, v16, 5, v17
	v_cmp_gt_i64_e64 s2, s[6:7], v[14:15]
	v_lshl_or_b32 v24, v2, 7, v22
	v_add_nc_u64_e32 v[22:23], 16, v[14:15]
	v_add_nc_u64_e32 v[10:11], v[12:13], v[8:9]
	v_lshlrev_b32_e32 v8, 1, v2
	v_add_nc_u32_e32 v26, 0x400, v17
	v_add_nc_u64_e32 v[16:17], 16, v[6:7]
	v_cmp_gt_i64_e64 s3, s[4:5], v[6:7]
	s_lshl_b64 s[10:11], s[10:11], 4
	s_lshl_b64 s[18:19], s[20:21], 1
	v_add_nc_u64_e32 v[10:11], s[22:23], v[10:11]
	v_lshl_add_u64 v[12:13], v[18:19], 1, v[8:9]
	v_cmp_gt_i64_e64 s22, s[36:37], 0
	v_cmp_gt_i64_e64 s4, s[4:5], v[16:17]
	;; [unrolled: 1-line block ×3, first 2 shown]
	s_lshl_b64 s[6:7], s[24:25], 4
	v_add_nc_u64_e32 v[12:13], s[16:17], v[12:13]
	v_lshl_add_u64 v[8:9], v[20:21], 1, s[8:9]
	s_lshl_b64 s[8:9], s[30:31], 1
	s_lshl_b64 s[16:17], s[28:29], 4
	s_branch .LBB444_5
.LBB444_2:                              ;   in Loop: Header=BB444_5 Depth=1
	s_or_b32 exec_lo, exec_lo, s20
	global_store_d16_hi_b16 v[16:17], v15, off offset:32
.LBB444_3:                              ;   in Loop: Header=BB444_5 Depth=1
	s_wait_xcnt 0x0
	s_or_b32 exec_lo, exec_lo, s23
.LBB444_4:                              ;   in Loop: Header=BB444_5 Depth=1
	s_add_co_i32 s34, s34, 0x10000
	s_delay_alu instid0(SALU_CYCLE_1)
	s_cmp_lt_i32 s34, s33
	s_cbranch_scc0 .LBB444_74
.LBB444_5:                              ; =>This Loop Header: Depth=1
                                        ;     Child Loop BB444_8 Depth 2
	v_dual_mov_b32 v17, 0 :: v_dual_mov_b32 v16, 0
	v_dual_mov_b32 v15, 0 :: v_dual_mov_b32 v14, 0
	s_and_not1_b32 vcc_lo, exec_lo, s22
	s_cbranch_vccnz .LBB444_12
; %bb.6:                                ;   in Loop: Header=BB444_5 Depth=1
	v_mad_nc_u64_u32 v[18:19], s8, s34, v[10:11]
	v_mad_nc_u64_u32 v[20:21], s18, s34, v[12:13]
	v_mov_b32_e32 v16, 0
	s_mov_b64 s[20:21], 0
	s_delay_alu instid0(VALU_DEP_1)
	v_dual_mov_b32 v17, v16 :: v_dual_mov_b32 v14, v16
	v_mov_b32_e32 v15, v16
	v_mad_u32 v19, s9, s34, v19
	v_mad_u32 v21, s19, s34, v21
	s_branch .LBB444_8
.LBB444_7:                              ;   in Loop: Header=BB444_8 Depth=2
	s_wait_xcnt 0x0
	s_or_b32 exec_lo, exec_lo, s23
	ds_store_b32 v26, v23
	s_wait_dscnt 0x0
	s_barrier_signal -1
	s_barrier_wait -1
	ds_load_b128 v[28:31], v25
	ds_load_2addr_b32 v[22:23], v27 offset1:16
	ds_load_b128 v[32:35], v25 offset:512
	ds_load_2addr_b32 v[44:45], v27 offset0:32 offset1:48
	ds_load_2addr_b32 v[46:47], v27 offset0:64 offset1:80
	;; [unrolled: 1-line block ×3, first 2 shown]
	ds_load_b128 v[36:39], v25 offset:16
	ds_load_2addr_b32 v[50:51], v27 offset0:128 offset1:144
	ds_load_b128 v[40:43], v25 offset:528
	s_add_nc_u64 s[20:21], s[20:21], 8
	v_add_nc_u64_e32 v[18:19], s[16:17], v[18:19]
	v_cmp_lt_i64_e64 s23, s[20:21], s[36:37]
	v_add_nc_u64_e32 v[20:21], 16, v[20:21]
	s_and_b32 vcc_lo, exec_lo, s23
	s_wait_dscnt 0x7
	v_pk_fma_f32 v[16:17], v[22:23], v[28:29], v[16:17] op_sel_hi:[1,0,1]
	s_wait_dscnt 0x6
	v_pk_fma_f32 v[14:15], v[22:23], v[32:33], v[14:15] op_sel_hi:[1,0,1]
	ds_load_2addr_b32 v[22:23], v27 offset0:160 offset1:176
	s_wait_dscnt 0x6
	v_pk_fma_f32 v[16:17], v[44:45], v[28:29], v[16:17] op_sel:[0,1,0]
	v_pk_fma_f32 v[14:15], v[44:45], v[32:33], v[14:15] op_sel:[0,1,0]
	ds_load_2addr_b32 v[28:29], v27 offset0:192 offset1:208
	v_dual_mov_b32 v32, v31 :: v_dual_mov_b32 v44, v35
	s_wait_dscnt 0x6
	v_pk_fma_f32 v[16:17], v[46:47], v[30:31], v[16:17] op_sel_hi:[1,0,1]
	v_pk_fma_f32 v[14:15], v[46:47], v[34:35], v[14:15] op_sel_hi:[1,0,1]
	ds_load_2addr_b32 v[30:31], v27 offset0:224 offset1:240
	s_wait_dscnt 0x0
	s_barrier_signal -1
	v_pk_fma_f32 v[16:17], v[48:49], v[32:33], v[16:17] op_sel_hi:[1,0,1]
	v_pk_fma_f32 v[14:15], v[48:49], v[44:45], v[14:15] op_sel_hi:[1,0,1]
	s_barrier_wait -1
	v_mov_b32_e32 v32, v43
	s_delay_alu instid0(VALU_DEP_3) | instskip(NEXT) | instid1(VALU_DEP_3)
	v_pk_fma_f32 v[16:17], v[50:51], v[36:37], v[16:17] op_sel_hi:[1,0,1]
	v_pk_fma_f32 v[14:15], v[50:51], v[40:41], v[14:15] op_sel_hi:[1,0,1]
	s_delay_alu instid0(VALU_DEP_2) | instskip(NEXT) | instid1(VALU_DEP_2)
	v_pk_fma_f32 v[16:17], v[22:23], v[36:37], v[16:17] op_sel:[0,1,0]
	v_pk_fma_f32 v[14:15], v[22:23], v[40:41], v[14:15] op_sel:[0,1,0]
	v_mov_b32_e32 v22, v39
	s_delay_alu instid0(VALU_DEP_3) | instskip(NEXT) | instid1(VALU_DEP_3)
	v_pk_fma_f32 v[16:17], v[28:29], v[38:39], v[16:17] op_sel_hi:[1,0,1]
	v_pk_fma_f32 v[14:15], v[28:29], v[42:43], v[14:15] op_sel_hi:[1,0,1]
	s_delay_alu instid0(VALU_DEP_2) | instskip(NEXT) | instid1(VALU_DEP_2)
	v_pk_fma_f32 v[16:17], v[30:31], v[22:23], v[16:17] op_sel_hi:[1,0,1]
	v_pk_fma_f32 v[14:15], v[30:31], v[32:33], v[14:15] op_sel_hi:[1,0,1]
	s_cbranch_vccz .LBB444_12
.LBB444_8:                              ;   Parent Loop BB444_5 Depth=1
                                        ; =>  This Inner Loop Header: Depth=2
	v_add_nc_u64_e32 v[22:23], s[20:21], v[2:3]
	s_delay_alu instid0(VALU_DEP_1) | instskip(SKIP_2) | instid1(SALU_CYCLE_1)
	v_cmp_gt_i64_e32 vcc_lo, s[36:37], v[22:23]
	v_mov_b32_e32 v22, 0
	s_and_b32 s24, s0, vcc_lo
	s_and_saveexec_b32 s23, s24
	s_cbranch_execz .LBB444_10
; %bb.9:                                ;   in Loop: Header=BB444_8 Depth=2
	global_load_u16 v22, v[20:21], off
	s_wait_loadcnt 0x0
	v_lshlrev_b32_e32 v22, 16, v22
.LBB444_10:                             ;   in Loop: Header=BB444_8 Depth=2
	s_wait_xcnt 0x0
	s_or_b32 exec_lo, exec_lo, s23
	v_add_nc_u64_e32 v[28:29], s[20:21], v[0:1]
	v_mov_b32_e32 v23, 0
	ds_store_b32 v24, v22
	v_cmp_gt_i64_e32 vcc_lo, s[36:37], v[28:29]
	s_and_b32 s24, vcc_lo, s1
	s_delay_alu instid0(SALU_CYCLE_1)
	s_and_saveexec_b32 s23, s24
	s_cbranch_execz .LBB444_7
; %bb.11:                               ;   in Loop: Header=BB444_8 Depth=2
	global_load_u16 v22, v[18:19], off
	s_wait_loadcnt 0x0
	v_lshlrev_b32_e32 v23, 16, v22
	s_branch .LBB444_7
.LBB444_12:                             ;   in Loop: Header=BB444_5 Depth=1
	s_mul_u64 s[20:21], s[26:27], s[34:35]
	s_and_not1_b32 vcc_lo, exec_lo, s40
	s_lshl_b64 s[20:21], s[20:21], 1
	s_delay_alu instid0(SALU_CYCLE_1)
	s_add_nc_u64 s[20:21], s[14:15], s[20:21]
	s_cbranch_vccnz .LBB444_17
; %bb.13:                               ;   in Loop: Header=BB444_5 Depth=1
	s_and_saveexec_b32 s23, s2
	s_cbranch_execz .LBB444_32
; %bb.14:                               ;   in Loop: Header=BB444_5 Depth=1
	v_lshl_add_u64 v[18:19], v[4:5], 1, s[20:21]
	s_and_saveexec_b32 s24, s3
	s_cbranch_execnz .LBB444_18
; %bb.15:                               ;   in Loop: Header=BB444_5 Depth=1
	s_or_b32 exec_lo, exec_lo, s24
	s_and_saveexec_b32 s24, s4
	s_cbranch_execnz .LBB444_23
.LBB444_16:                             ;   in Loop: Header=BB444_5 Depth=1
	s_or_b32 exec_lo, exec_lo, s24
	s_delay_alu instid0(SALU_CYCLE_1)
	s_and_b32 exec_lo, exec_lo, s5
	s_cbranch_execnz .LBB444_28
	s_branch .LBB444_32
.LBB444_17:                             ;   in Loop: Header=BB444_5 Depth=1
	s_branch .LBB444_33
.LBB444_18:                             ;   in Loop: Header=BB444_5 Depth=1
	v_mul_f32_e32 v20, s38, v16
	s_delay_alu instid0(VALU_DEP_1) | instskip(NEXT) | instid1(VALU_DEP_1)
	v_and_b32_e32 v21, 0x7f800000, v20
	v_cmp_ne_u32_e32 vcc_lo, 0x7f800000, v21
                                        ; implicit-def: $vgpr21
	s_and_saveexec_b32 s25, vcc_lo
	s_delay_alu instid0(SALU_CYCLE_1)
	s_xor_b32 s25, exec_lo, s25
; %bb.19:                               ;   in Loop: Header=BB444_5 Depth=1
	v_bfe_u32 v21, v20, 16, 1
	s_delay_alu instid0(VALU_DEP_1)
	v_add3_u32 v21, v20, v21, 0x7fff
                                        ; implicit-def: $vgpr20
; %bb.20:                               ;   in Loop: Header=BB444_5 Depth=1
	s_and_not1_saveexec_b32 s25, s25
; %bb.21:                               ;   in Loop: Header=BB444_5 Depth=1
	v_and_b32_e32 v21, 0xffff, v20
	v_or_b32_e32 v22, 0x10000, v20
	s_delay_alu instid0(VALU_DEP_2) | instskip(NEXT) | instid1(VALU_DEP_2)
	v_cmp_eq_u32_e32 vcc_lo, 0, v21
	v_cndmask_b32_e32 v21, v22, v20, vcc_lo
; %bb.22:                               ;   in Loop: Header=BB444_5 Depth=1
	s_or_b32 exec_lo, exec_lo, s25
	v_lshl_add_u64 v[22:23], v[6:7], 1, v[18:19]
	global_store_d16_hi_b16 v[22:23], v21, off
	s_wait_xcnt 0x0
	s_or_b32 exec_lo, exec_lo, s24
	s_and_saveexec_b32 s24, s4
	s_cbranch_execz .LBB444_16
.LBB444_23:                             ;   in Loop: Header=BB444_5 Depth=1
	v_mul_f32_e32 v20, s38, v17
	s_delay_alu instid0(VALU_DEP_1) | instskip(NEXT) | instid1(VALU_DEP_1)
	v_and_b32_e32 v21, 0x7f800000, v20
	v_cmp_ne_u32_e32 vcc_lo, 0x7f800000, v21
                                        ; implicit-def: $vgpr21
	s_and_saveexec_b32 s25, vcc_lo
	s_delay_alu instid0(SALU_CYCLE_1)
	s_xor_b32 s25, exec_lo, s25
; %bb.24:                               ;   in Loop: Header=BB444_5 Depth=1
	v_bfe_u32 v21, v20, 16, 1
	s_delay_alu instid0(VALU_DEP_1)
	v_add3_u32 v21, v20, v21, 0x7fff
                                        ; implicit-def: $vgpr20
; %bb.25:                               ;   in Loop: Header=BB444_5 Depth=1
	s_and_not1_saveexec_b32 s25, s25
; %bb.26:                               ;   in Loop: Header=BB444_5 Depth=1
	v_and_b32_e32 v21, 0xffff, v20
	v_or_b32_e32 v22, 0x10000, v20
	s_delay_alu instid0(VALU_DEP_2) | instskip(NEXT) | instid1(VALU_DEP_2)
	v_cmp_eq_u32_e32 vcc_lo, 0, v21
	v_cndmask_b32_e32 v21, v22, v20, vcc_lo
; %bb.27:                               ;   in Loop: Header=BB444_5 Depth=1
	s_or_b32 exec_lo, exec_lo, s25
	v_lshl_add_u64 v[22:23], v[6:7], 1, v[18:19]
	global_store_d16_hi_b16 v[22:23], v21, off offset:32
	s_wait_xcnt 0x0
	s_or_b32 exec_lo, exec_lo, s24
	s_delay_alu instid0(SALU_CYCLE_1)
	s_and_b32 exec_lo, exec_lo, s5
	s_cbranch_execz .LBB444_32
.LBB444_28:                             ;   in Loop: Header=BB444_5 Depth=1
	v_lshl_add_u64 v[18:19], s[6:7], 1, v[18:19]
	s_delay_alu instid0(VALU_DEP_1)
	v_lshl_add_u64 v[18:19], v[6:7], 1, v[18:19]
	s_and_saveexec_b32 s24, s3
	s_cbranch_execz .LBB444_30
; %bb.29:                               ;   in Loop: Header=BB444_5 Depth=1
	v_mul_f32_e32 v20, s38, v14
	s_delay_alu instid0(VALU_DEP_1) | instskip(SKIP_3) | instid1(VALU_DEP_4)
	v_and_b32_e32 v22, 0xffff, v20
	v_bfe_u32 v21, v20, 16, 1
	v_or_b32_e32 v23, 0x10000, v20
	v_and_b32_e32 v28, 0x7f800000, v20
	v_cmp_eq_u32_e32 vcc_lo, 0, v22
	s_delay_alu instid0(VALU_DEP_4) | instskip(NEXT) | instid1(VALU_DEP_4)
	v_add3_u32 v21, v20, v21, 0x7fff
	v_cndmask_b32_e32 v20, v23, v20, vcc_lo
	s_delay_alu instid0(VALU_DEP_4) | instskip(NEXT) | instid1(VALU_DEP_2)
	v_cmp_eq_u32_e32 vcc_lo, 0x7f800000, v28
	v_cndmask_b32_e32 v20, v21, v20, vcc_lo
	global_store_d16_hi_b16 v[18:19], v20, off
.LBB444_30:                             ;   in Loop: Header=BB444_5 Depth=1
	s_wait_xcnt 0x0
	s_or_b32 exec_lo, exec_lo, s24
	s_delay_alu instid0(SALU_CYCLE_1)
	s_and_b32 exec_lo, exec_lo, s4
	s_cbranch_execz .LBB444_32
; %bb.31:                               ;   in Loop: Header=BB444_5 Depth=1
	v_mul_f32_e32 v20, s38, v15
	s_delay_alu instid0(VALU_DEP_1) | instskip(SKIP_3) | instid1(VALU_DEP_4)
	v_and_b32_e32 v22, 0xffff, v20
	v_bfe_u32 v21, v20, 16, 1
	v_or_b32_e32 v23, 0x10000, v20
	v_and_b32_e32 v28, 0x7f800000, v20
	v_cmp_eq_u32_e32 vcc_lo, 0, v22
	s_delay_alu instid0(VALU_DEP_4) | instskip(NEXT) | instid1(VALU_DEP_4)
	v_add3_u32 v21, v20, v21, 0x7fff
	v_cndmask_b32_e32 v20, v23, v20, vcc_lo
	s_delay_alu instid0(VALU_DEP_4) | instskip(NEXT) | instid1(VALU_DEP_2)
	v_cmp_eq_u32_e32 vcc_lo, 0x7f800000, v28
	v_cndmask_b32_e32 v20, v21, v20, vcc_lo
	global_store_d16_hi_b16 v[18:19], v20, off offset:32
.LBB444_32:                             ;   in Loop: Header=BB444_5 Depth=1
	s_wait_xcnt 0x0
	s_or_b32 exec_lo, exec_lo, s23
	s_cbranch_execnz .LBB444_4
.LBB444_33:                             ;   in Loop: Header=BB444_5 Depth=1
	s_and_saveexec_b32 s23, s2
	s_cbranch_execz .LBB444_3
; %bb.34:                               ;   in Loop: Header=BB444_5 Depth=1
	s_mul_u64 s[24:25], s[12:13], s[34:35]
	v_lshl_add_u64 v[20:21], v[4:5], 1, s[20:21]
	v_lshl_add_u64 v[18:19], s[24:25], 1, v[8:9]
	s_delay_alu instid0(VALU_DEP_1)
	v_lshl_add_u64 v[22:23], v[6:7], 1, v[18:19]
	s_and_saveexec_b32 s20, s3
	s_cbranch_execnz .LBB444_37
; %bb.35:                               ;   in Loop: Header=BB444_5 Depth=1
	s_or_b32 exec_lo, exec_lo, s20
	s_and_saveexec_b32 s20, s4
	s_cbranch_execnz .LBB444_46
.LBB444_36:                             ;   in Loop: Header=BB444_5 Depth=1
	s_or_b32 exec_lo, exec_lo, s20
	s_delay_alu instid0(SALU_CYCLE_1)
	s_and_b32 exec_lo, exec_lo, s5
	s_cbranch_execz .LBB444_3
	s_branch .LBB444_55
.LBB444_37:                             ;   in Loop: Header=BB444_5 Depth=1
	global_load_u16 v28, v[22:23], off
	s_wait_loadcnt 0x0
	v_lshlrev_b32_e32 v28, 16, v28
	s_delay_alu instid0(VALU_DEP_1) | instskip(NEXT) | instid1(VALU_DEP_1)
	v_mul_f32_e32 v28, s39, v28
	v_and_b32_e32 v29, 0x7f800000, v28
	s_delay_alu instid0(VALU_DEP_1) | instskip(SKIP_2) | instid1(SALU_CYCLE_1)
	v_cmp_ne_u32_e32 vcc_lo, 0x7f800000, v29
                                        ; implicit-def: $vgpr29
	s_wait_xcnt 0x0
	s_and_saveexec_b32 s21, vcc_lo
	s_xor_b32 s21, exec_lo, s21
; %bb.38:                               ;   in Loop: Header=BB444_5 Depth=1
	v_bfe_u32 v29, v28, 16, 1
	s_delay_alu instid0(VALU_DEP_1)
	v_add3_u32 v29, v28, v29, 0x7fff
                                        ; implicit-def: $vgpr28
; %bb.39:                               ;   in Loop: Header=BB444_5 Depth=1
	s_and_not1_saveexec_b32 s21, s21
; %bb.40:                               ;   in Loop: Header=BB444_5 Depth=1
	v_and_b32_e32 v29, 0xffff, v28
	v_or_b32_e32 v30, 0x10000, v28
	s_delay_alu instid0(VALU_DEP_2) | instskip(NEXT) | instid1(VALU_DEP_2)
	v_cmp_eq_u32_e32 vcc_lo, 0, v29
	v_cndmask_b32_e32 v29, v30, v28, vcc_lo
; %bb.41:                               ;   in Loop: Header=BB444_5 Depth=1
	s_or_b32 exec_lo, exec_lo, s21
	s_delay_alu instid0(VALU_DEP_1) | instskip(NEXT) | instid1(VALU_DEP_1)
	v_fma_mix_f32_bf16 v16, s38, v16, v29 op_sel:[0,0,1] op_sel_hi:[0,0,1]
	v_and_b32_e32 v28, 0x7f800000, v16
	s_delay_alu instid0(VALU_DEP_1) | instskip(SKIP_1) | instid1(SALU_CYCLE_1)
	v_cmp_ne_u32_e32 vcc_lo, 0x7f800000, v28
                                        ; implicit-def: $vgpr28
	s_and_saveexec_b32 s21, vcc_lo
	s_xor_b32 s21, exec_lo, s21
; %bb.42:                               ;   in Loop: Header=BB444_5 Depth=1
	v_bfe_u32 v28, v16, 16, 1
	s_delay_alu instid0(VALU_DEP_1)
	v_add3_u32 v28, v16, v28, 0x7fff
                                        ; implicit-def: $vgpr16
; %bb.43:                               ;   in Loop: Header=BB444_5 Depth=1
	s_and_not1_saveexec_b32 s21, s21
; %bb.44:                               ;   in Loop: Header=BB444_5 Depth=1
	v_and_b32_e32 v28, 0xffff, v16
	v_or_b32_e32 v29, 0x10000, v16
	s_delay_alu instid0(VALU_DEP_2) | instskip(NEXT) | instid1(VALU_DEP_2)
	v_cmp_eq_u32_e32 vcc_lo, 0, v28
	v_cndmask_b32_e32 v28, v29, v16, vcc_lo
; %bb.45:                               ;   in Loop: Header=BB444_5 Depth=1
	s_or_b32 exec_lo, exec_lo, s21
	v_lshl_add_u64 v[30:31], v[6:7], 1, v[20:21]
	global_store_d16_hi_b16 v[30:31], v28, off
	s_wait_xcnt 0x0
	s_or_b32 exec_lo, exec_lo, s20
	s_and_saveexec_b32 s20, s4
	s_cbranch_execz .LBB444_36
.LBB444_46:                             ;   in Loop: Header=BB444_5 Depth=1
	global_load_u16 v16, v[22:23], off offset:32
	s_wait_loadcnt 0x0
	v_lshlrev_b32_e32 v16, 16, v16
	s_delay_alu instid0(VALU_DEP_1) | instskip(SKIP_1) | instid1(VALU_DEP_1)
	v_mul_f32_e32 v16, s39, v16
	s_wait_xcnt 0x0
	v_and_b32_e32 v22, 0x7f800000, v16
	s_delay_alu instid0(VALU_DEP_1) | instskip(SKIP_1) | instid1(SALU_CYCLE_1)
	v_cmp_ne_u32_e32 vcc_lo, 0x7f800000, v22
                                        ; implicit-def: $vgpr22
	s_and_saveexec_b32 s21, vcc_lo
	s_xor_b32 s21, exec_lo, s21
; %bb.47:                               ;   in Loop: Header=BB444_5 Depth=1
	v_bfe_u32 v22, v16, 16, 1
	s_delay_alu instid0(VALU_DEP_1)
	v_add3_u32 v22, v16, v22, 0x7fff
                                        ; implicit-def: $vgpr16
; %bb.48:                               ;   in Loop: Header=BB444_5 Depth=1
	s_and_not1_saveexec_b32 s21, s21
; %bb.49:                               ;   in Loop: Header=BB444_5 Depth=1
	v_and_b32_e32 v22, 0xffff, v16
	v_or_b32_e32 v23, 0x10000, v16
	s_delay_alu instid0(VALU_DEP_2) | instskip(NEXT) | instid1(VALU_DEP_2)
	v_cmp_eq_u32_e32 vcc_lo, 0, v22
	v_cndmask_b32_e32 v22, v23, v16, vcc_lo
; %bb.50:                               ;   in Loop: Header=BB444_5 Depth=1
	s_or_b32 exec_lo, exec_lo, s21
	s_delay_alu instid0(VALU_DEP_1) | instskip(NEXT) | instid1(VALU_DEP_1)
	v_fma_mix_f32_bf16 v16, s38, v17, v22 op_sel:[0,0,1] op_sel_hi:[0,0,1]
	v_and_b32_e32 v17, 0x7f800000, v16
	s_delay_alu instid0(VALU_DEP_1) | instskip(SKIP_1) | instid1(SALU_CYCLE_1)
	v_cmp_ne_u32_e32 vcc_lo, 0x7f800000, v17
                                        ; implicit-def: $vgpr17
	s_and_saveexec_b32 s21, vcc_lo
	s_xor_b32 s21, exec_lo, s21
; %bb.51:                               ;   in Loop: Header=BB444_5 Depth=1
	v_bfe_u32 v17, v16, 16, 1
	s_delay_alu instid0(VALU_DEP_1)
	v_add3_u32 v17, v16, v17, 0x7fff
                                        ; implicit-def: $vgpr16
; %bb.52:                               ;   in Loop: Header=BB444_5 Depth=1
	s_and_not1_saveexec_b32 s21, s21
; %bb.53:                               ;   in Loop: Header=BB444_5 Depth=1
	v_and_b32_e32 v17, 0xffff, v16
	v_or_b32_e32 v22, 0x10000, v16
	s_delay_alu instid0(VALU_DEP_2) | instskip(NEXT) | instid1(VALU_DEP_2)
	v_cmp_eq_u32_e32 vcc_lo, 0, v17
	v_cndmask_b32_e32 v17, v22, v16, vcc_lo
; %bb.54:                               ;   in Loop: Header=BB444_5 Depth=1
	s_or_b32 exec_lo, exec_lo, s21
	v_lshl_add_u64 v[22:23], v[6:7], 1, v[20:21]
	global_store_d16_hi_b16 v[22:23], v17, off offset:32
	s_wait_xcnt 0x0
	s_or_b32 exec_lo, exec_lo, s20
	s_delay_alu instid0(SALU_CYCLE_1)
	s_and_b32 exec_lo, exec_lo, s5
	s_cbranch_execz .LBB444_3
.LBB444_55:                             ;   in Loop: Header=BB444_5 Depth=1
	v_lshlrev_b64_e32 v[16:17], 1, v[6:7]
	v_lshl_add_u64 v[18:19], s[10:11], 1, v[18:19]
	v_lshl_add_u64 v[20:21], s[6:7], 1, v[20:21]
	s_delay_alu instid0(VALU_DEP_2) | instskip(NEXT) | instid1(VALU_DEP_2)
	v_add_nc_u64_e32 v[18:19], v[18:19], v[16:17]
	v_add_nc_u64_e32 v[16:17], v[20:21], v[16:17]
	s_and_saveexec_b32 s20, s3
	s_cbranch_execz .LBB444_65
; %bb.56:                               ;   in Loop: Header=BB444_5 Depth=1
	global_load_u16 v20, v[18:19], off
	s_wait_loadcnt 0x0
	v_lshlrev_b32_e32 v20, 16, v20
	s_delay_alu instid0(VALU_DEP_1) | instskip(NEXT) | instid1(VALU_DEP_1)
	v_mul_f32_e32 v20, s39, v20
	v_and_b32_e32 v21, 0x7f800000, v20
	s_delay_alu instid0(VALU_DEP_1) | instskip(SKIP_2) | instid1(SALU_CYCLE_1)
	v_cmp_ne_u32_e32 vcc_lo, 0x7f800000, v21
                                        ; implicit-def: $vgpr21
	s_wait_xcnt 0x0
	s_and_saveexec_b32 s21, vcc_lo
	s_xor_b32 s21, exec_lo, s21
; %bb.57:                               ;   in Loop: Header=BB444_5 Depth=1
	v_bfe_u32 v21, v20, 16, 1
	s_delay_alu instid0(VALU_DEP_1)
	v_add3_u32 v21, v20, v21, 0x7fff
                                        ; implicit-def: $vgpr20
; %bb.58:                               ;   in Loop: Header=BB444_5 Depth=1
	s_and_not1_saveexec_b32 s21, s21
; %bb.59:                               ;   in Loop: Header=BB444_5 Depth=1
	v_and_b32_e32 v21, 0xffff, v20
	v_or_b32_e32 v22, 0x10000, v20
	s_delay_alu instid0(VALU_DEP_2) | instskip(NEXT) | instid1(VALU_DEP_2)
	v_cmp_eq_u32_e32 vcc_lo, 0, v21
	v_cndmask_b32_e32 v21, v22, v20, vcc_lo
; %bb.60:                               ;   in Loop: Header=BB444_5 Depth=1
	s_or_b32 exec_lo, exec_lo, s21
	s_delay_alu instid0(VALU_DEP_1) | instskip(NEXT) | instid1(VALU_DEP_1)
	v_fma_mix_f32_bf16 v14, s38, v14, v21 op_sel:[0,0,1] op_sel_hi:[0,0,1]
	v_and_b32_e32 v20, 0x7f800000, v14
	s_delay_alu instid0(VALU_DEP_1) | instskip(SKIP_1) | instid1(SALU_CYCLE_1)
	v_cmp_ne_u32_e32 vcc_lo, 0x7f800000, v20
                                        ; implicit-def: $vgpr20
	s_and_saveexec_b32 s21, vcc_lo
	s_xor_b32 s21, exec_lo, s21
; %bb.61:                               ;   in Loop: Header=BB444_5 Depth=1
	v_bfe_u32 v20, v14, 16, 1
	s_delay_alu instid0(VALU_DEP_1)
	v_add3_u32 v20, v14, v20, 0x7fff
                                        ; implicit-def: $vgpr14
; %bb.62:                               ;   in Loop: Header=BB444_5 Depth=1
	s_and_not1_saveexec_b32 s21, s21
; %bb.63:                               ;   in Loop: Header=BB444_5 Depth=1
	v_and_b32_e32 v20, 0xffff, v14
	v_or_b32_e32 v21, 0x10000, v14
	s_delay_alu instid0(VALU_DEP_2) | instskip(NEXT) | instid1(VALU_DEP_2)
	v_cmp_eq_u32_e32 vcc_lo, 0, v20
	v_cndmask_b32_e32 v20, v21, v14, vcc_lo
; %bb.64:                               ;   in Loop: Header=BB444_5 Depth=1
	s_or_b32 exec_lo, exec_lo, s21
	global_store_d16_hi_b16 v[16:17], v20, off
.LBB444_65:                             ;   in Loop: Header=BB444_5 Depth=1
	s_wait_xcnt 0x0
	s_or_b32 exec_lo, exec_lo, s20
	s_delay_alu instid0(SALU_CYCLE_1)
	s_and_b32 exec_lo, exec_lo, s4
	s_cbranch_execz .LBB444_3
; %bb.66:                               ;   in Loop: Header=BB444_5 Depth=1
	global_load_u16 v14, v[18:19], off offset:32
	s_wait_loadcnt 0x0
	v_lshlrev_b32_e32 v14, 16, v14
	s_delay_alu instid0(VALU_DEP_1) | instskip(SKIP_1) | instid1(VALU_DEP_1)
	v_mul_f32_e32 v14, s39, v14
	s_wait_xcnt 0x0
	v_and_b32_e32 v18, 0x7f800000, v14
	s_delay_alu instid0(VALU_DEP_1) | instskip(SKIP_1) | instid1(SALU_CYCLE_1)
	v_cmp_ne_u32_e32 vcc_lo, 0x7f800000, v18
                                        ; implicit-def: $vgpr18
	s_and_saveexec_b32 s20, vcc_lo
	s_xor_b32 s20, exec_lo, s20
; %bb.67:                               ;   in Loop: Header=BB444_5 Depth=1
	v_bfe_u32 v18, v14, 16, 1
	s_delay_alu instid0(VALU_DEP_1)
	v_add3_u32 v18, v14, v18, 0x7fff
                                        ; implicit-def: $vgpr14
; %bb.68:                               ;   in Loop: Header=BB444_5 Depth=1
	s_and_not1_saveexec_b32 s20, s20
; %bb.69:                               ;   in Loop: Header=BB444_5 Depth=1
	v_and_b32_e32 v18, 0xffff, v14
	v_or_b32_e32 v19, 0x10000, v14
	s_delay_alu instid0(VALU_DEP_2) | instskip(NEXT) | instid1(VALU_DEP_2)
	v_cmp_eq_u32_e32 vcc_lo, 0, v18
	v_cndmask_b32_e32 v18, v19, v14, vcc_lo
; %bb.70:                               ;   in Loop: Header=BB444_5 Depth=1
	s_or_b32 exec_lo, exec_lo, s20
	s_delay_alu instid0(VALU_DEP_1) | instskip(NEXT) | instid1(VALU_DEP_1)
	v_fma_mix_f32_bf16 v14, s38, v15, v18 op_sel:[0,0,1] op_sel_hi:[0,0,1]
	v_and_b32_e32 v15, 0x7f800000, v14
	s_delay_alu instid0(VALU_DEP_1) | instskip(SKIP_1) | instid1(SALU_CYCLE_1)
	v_cmp_ne_u32_e32 vcc_lo, 0x7f800000, v15
                                        ; implicit-def: $vgpr15
	s_and_saveexec_b32 s20, vcc_lo
	s_xor_b32 s20, exec_lo, s20
; %bb.71:                               ;   in Loop: Header=BB444_5 Depth=1
	v_bfe_u32 v15, v14, 16, 1
	s_delay_alu instid0(VALU_DEP_1)
	v_add3_u32 v15, v14, v15, 0x7fff
                                        ; implicit-def: $vgpr14
; %bb.72:                               ;   in Loop: Header=BB444_5 Depth=1
	s_and_not1_saveexec_b32 s20, s20
	s_cbranch_execz .LBB444_2
; %bb.73:                               ;   in Loop: Header=BB444_5 Depth=1
	v_and_b32_e32 v15, 0xffff, v14
	v_or_b32_e32 v18, 0x10000, v14
	s_delay_alu instid0(VALU_DEP_2) | instskip(NEXT) | instid1(VALU_DEP_2)
	v_cmp_eq_u32_e32 vcc_lo, 0, v15
	v_cndmask_b32_e32 v15, v18, v14, vcc_lo
	s_branch .LBB444_2
.LBB444_74:
	s_endpgm
	.section	.rodata,"a",@progbits
	.p2align	6, 0x0
	.amdhsa_kernel _ZN12_GLOBAL__N_135rocblas_gemm_batched_general_kernelIfLi16ELi16ELi32ELi32ELi8ELi32ELi8ELi8ELi32ELc84ELc67EK16rocblas_bfloat16S2_S1_EEvlllT_PT11_llS5_llS3_PT12_llPT13_lli
		.amdhsa_group_segment_fixed_size 2048
		.amdhsa_private_segment_fixed_size 0
		.amdhsa_kernarg_size 140
		.amdhsa_user_sgpr_count 2
		.amdhsa_user_sgpr_dispatch_ptr 0
		.amdhsa_user_sgpr_queue_ptr 0
		.amdhsa_user_sgpr_kernarg_segment_ptr 1
		.amdhsa_user_sgpr_dispatch_id 0
		.amdhsa_user_sgpr_kernarg_preload_length 0
		.amdhsa_user_sgpr_kernarg_preload_offset 0
		.amdhsa_user_sgpr_private_segment_size 0
		.amdhsa_wavefront_size32 1
		.amdhsa_uses_dynamic_stack 0
		.amdhsa_enable_private_segment 0
		.amdhsa_system_sgpr_workgroup_id_x 1
		.amdhsa_system_sgpr_workgroup_id_y 1
		.amdhsa_system_sgpr_workgroup_id_z 1
		.amdhsa_system_sgpr_workgroup_info 0
		.amdhsa_system_vgpr_workitem_id 1
		.amdhsa_next_free_vgpr 52
		.amdhsa_next_free_sgpr 43
		.amdhsa_named_barrier_count 0
		.amdhsa_reserve_vcc 1
		.amdhsa_float_round_mode_32 0
		.amdhsa_float_round_mode_16_64 0
		.amdhsa_float_denorm_mode_32 3
		.amdhsa_float_denorm_mode_16_64 3
		.amdhsa_fp16_overflow 0
		.amdhsa_memory_ordered 1
		.amdhsa_forward_progress 1
		.amdhsa_inst_pref_size 23
		.amdhsa_round_robin_scheduling 0
		.amdhsa_exception_fp_ieee_invalid_op 0
		.amdhsa_exception_fp_denorm_src 0
		.amdhsa_exception_fp_ieee_div_zero 0
		.amdhsa_exception_fp_ieee_overflow 0
		.amdhsa_exception_fp_ieee_underflow 0
		.amdhsa_exception_fp_ieee_inexact 0
		.amdhsa_exception_int_div_zero 0
	.end_amdhsa_kernel
	.section	.text._ZN12_GLOBAL__N_135rocblas_gemm_batched_general_kernelIfLi16ELi16ELi32ELi32ELi8ELi32ELi8ELi8ELi32ELc84ELc67EK16rocblas_bfloat16S2_S1_EEvlllT_PT11_llS5_llS3_PT12_llPT13_lli,"axG",@progbits,_ZN12_GLOBAL__N_135rocblas_gemm_batched_general_kernelIfLi16ELi16ELi32ELi32ELi8ELi32ELi8ELi8ELi32ELc84ELc67EK16rocblas_bfloat16S2_S1_EEvlllT_PT11_llS5_llS3_PT12_llPT13_lli,comdat
.Lfunc_end444:
	.size	_ZN12_GLOBAL__N_135rocblas_gemm_batched_general_kernelIfLi16ELi16ELi32ELi32ELi8ELi32ELi8ELi8ELi32ELc84ELc67EK16rocblas_bfloat16S2_S1_EEvlllT_PT11_llS5_llS3_PT12_llPT13_lli, .Lfunc_end444-_ZN12_GLOBAL__N_135rocblas_gemm_batched_general_kernelIfLi16ELi16ELi32ELi32ELi8ELi32ELi8ELi8ELi32ELc84ELc67EK16rocblas_bfloat16S2_S1_EEvlllT_PT11_llS5_llS3_PT12_llPT13_lli
                                        ; -- End function
	.set _ZN12_GLOBAL__N_135rocblas_gemm_batched_general_kernelIfLi16ELi16ELi32ELi32ELi8ELi32ELi8ELi8ELi32ELc84ELc67EK16rocblas_bfloat16S2_S1_EEvlllT_PT11_llS5_llS3_PT12_llPT13_lli.num_vgpr, 52
	.set _ZN12_GLOBAL__N_135rocblas_gemm_batched_general_kernelIfLi16ELi16ELi32ELi32ELi8ELi32ELi8ELi8ELi32ELc84ELc67EK16rocblas_bfloat16S2_S1_EEvlllT_PT11_llS5_llS3_PT12_llPT13_lli.num_agpr, 0
	.set _ZN12_GLOBAL__N_135rocblas_gemm_batched_general_kernelIfLi16ELi16ELi32ELi32ELi8ELi32ELi8ELi8ELi32ELc84ELc67EK16rocblas_bfloat16S2_S1_EEvlllT_PT11_llS5_llS3_PT12_llPT13_lli.numbered_sgpr, 43
	.set _ZN12_GLOBAL__N_135rocblas_gemm_batched_general_kernelIfLi16ELi16ELi32ELi32ELi8ELi32ELi8ELi8ELi32ELc84ELc67EK16rocblas_bfloat16S2_S1_EEvlllT_PT11_llS5_llS3_PT12_llPT13_lli.num_named_barrier, 0
	.set _ZN12_GLOBAL__N_135rocblas_gemm_batched_general_kernelIfLi16ELi16ELi32ELi32ELi8ELi32ELi8ELi8ELi32ELc84ELc67EK16rocblas_bfloat16S2_S1_EEvlllT_PT11_llS5_llS3_PT12_llPT13_lli.private_seg_size, 0
	.set _ZN12_GLOBAL__N_135rocblas_gemm_batched_general_kernelIfLi16ELi16ELi32ELi32ELi8ELi32ELi8ELi8ELi32ELc84ELc67EK16rocblas_bfloat16S2_S1_EEvlllT_PT11_llS5_llS3_PT12_llPT13_lli.uses_vcc, 1
	.set _ZN12_GLOBAL__N_135rocblas_gemm_batched_general_kernelIfLi16ELi16ELi32ELi32ELi8ELi32ELi8ELi8ELi32ELc84ELc67EK16rocblas_bfloat16S2_S1_EEvlllT_PT11_llS5_llS3_PT12_llPT13_lli.uses_flat_scratch, 0
	.set _ZN12_GLOBAL__N_135rocblas_gemm_batched_general_kernelIfLi16ELi16ELi32ELi32ELi8ELi32ELi8ELi8ELi32ELc84ELc67EK16rocblas_bfloat16S2_S1_EEvlllT_PT11_llS5_llS3_PT12_llPT13_lli.has_dyn_sized_stack, 0
	.set _ZN12_GLOBAL__N_135rocblas_gemm_batched_general_kernelIfLi16ELi16ELi32ELi32ELi8ELi32ELi8ELi8ELi32ELc84ELc67EK16rocblas_bfloat16S2_S1_EEvlllT_PT11_llS5_llS3_PT12_llPT13_lli.has_recursion, 0
	.set _ZN12_GLOBAL__N_135rocblas_gemm_batched_general_kernelIfLi16ELi16ELi32ELi32ELi8ELi32ELi8ELi8ELi32ELc84ELc67EK16rocblas_bfloat16S2_S1_EEvlllT_PT11_llS5_llS3_PT12_llPT13_lli.has_indirect_call, 0
	.section	.AMDGPU.csdata,"",@progbits
; Kernel info:
; codeLenInByte = 2844
; TotalNumSgprs: 45
; NumVgprs: 52
; ScratchSize: 0
; MemoryBound: 0
; FloatMode: 240
; IeeeMode: 1
; LDSByteSize: 2048 bytes/workgroup (compile time only)
; SGPRBlocks: 0
; VGPRBlocks: 3
; NumSGPRsForWavesPerEU: 45
; NumVGPRsForWavesPerEU: 52
; NamedBarCnt: 0
; Occupancy: 16
; WaveLimiterHint : 0
; COMPUTE_PGM_RSRC2:SCRATCH_EN: 0
; COMPUTE_PGM_RSRC2:USER_SGPR: 2
; COMPUTE_PGM_RSRC2:TRAP_HANDLER: 0
; COMPUTE_PGM_RSRC2:TGID_X_EN: 1
; COMPUTE_PGM_RSRC2:TGID_Y_EN: 1
; COMPUTE_PGM_RSRC2:TGID_Z_EN: 1
; COMPUTE_PGM_RSRC2:TIDIG_COMP_CNT: 1
	.section	.text._ZN12_GLOBAL__N_127rocblas_gemm_batched_kernelIfLi16ELi16ELi64ELi64ELi4ELi64ELi4ELi4ELi64ELc78ELc78EK16rocblas_bfloat16KffEEvlllT_PT11_llS6_llS4_PT12_llPT13_lli,"axG",@progbits,_ZN12_GLOBAL__N_127rocblas_gemm_batched_kernelIfLi16ELi16ELi64ELi64ELi4ELi64ELi4ELi4ELi64ELc78ELc78EK16rocblas_bfloat16KffEEvlllT_PT11_llS6_llS4_PT12_llPT13_lli,comdat
	.globl	_ZN12_GLOBAL__N_127rocblas_gemm_batched_kernelIfLi16ELi16ELi64ELi64ELi4ELi64ELi4ELi4ELi64ELc78ELc78EK16rocblas_bfloat16KffEEvlllT_PT11_llS6_llS4_PT12_llPT13_lli ; -- Begin function _ZN12_GLOBAL__N_127rocblas_gemm_batched_kernelIfLi16ELi16ELi64ELi64ELi4ELi64ELi4ELi4ELi64ELc78ELc78EK16rocblas_bfloat16KffEEvlllT_PT11_llS6_llS4_PT12_llPT13_lli
	.p2align	8
	.type	_ZN12_GLOBAL__N_127rocblas_gemm_batched_kernelIfLi16ELi16ELi64ELi64ELi4ELi64ELi4ELi4ELi64ELc78ELc78EK16rocblas_bfloat16KffEEvlllT_PT11_llS6_llS4_PT12_llPT13_lli,@function
_ZN12_GLOBAL__N_127rocblas_gemm_batched_kernelIfLi16ELi16ELi64ELi64ELi4ELi64ELi4ELi4ELi64ELc78ELc78EK16rocblas_bfloat16KffEEvlllT_PT11_llS6_llS4_PT12_llPT13_lli: ; @_ZN12_GLOBAL__N_127rocblas_gemm_batched_kernelIfLi16ELi16ELi64ELi64ELi4ELi64ELi4ELi4ELi64ELc78ELc78EK16rocblas_bfloat16KffEEvlllT_PT11_llS6_llS4_PT12_llPT13_lli
; %bb.0:
	s_load_b32 s31, s[0:1], 0x88
	s_bfe_u32 s2, ttmp6, 0x40014
	s_lshr_b32 s3, ttmp7, 16
	s_add_co_i32 s2, s2, 1
	s_bfe_u32 s4, ttmp6, 0x40008
	s_mul_i32 s2, s3, s2
	s_getreg_b32 s20, hwreg(HW_REG_IB_STS2, 6, 4)
	s_add_co_i32 s4, s4, s2
	s_cmp_eq_u32 s20, 0
	s_cselect_b32 s2, s3, s4
	s_mov_b32 s3, 0
	s_wait_kmcnt 0x0
	s_cmp_ge_i32 s2, s31
	s_cbranch_scc1 .LBB445_10
; %bb.1:
	v_bfe_u32 v2, v0, 10, 10
	v_and_b32_e32 v4, 0x3ff, v0
	s_bfe_u32 s22, ttmp6, 0x4000c
	s_bfe_u32 s28, ttmp6, 0x40010
	s_clause 0x2
	s_load_b256 s[12:19], s[0:1], 0x20
	s_load_b128 s[24:27], s[0:1], 0x40
	s_load_b256 s[4:11], s[0:1], 0x58
	v_dual_mov_b32 v3, 0 :: v_dual_lshlrev_b32 v16, 4, v2
	s_and_b32 s23, ttmp7, 0xffff
	s_add_co_i32 s22, s22, 1
	s_add_co_i32 s28, s28, 1
	s_delay_alu instid0(VALU_DEP_1)
	v_dual_add_nc_u32 v17, v16, v4 :: v_dual_mov_b32 v7, v3
	s_and_b32 s21, ttmp6, 15
	s_mul_i32 s22, ttmp9, s22
	s_mul_i32 s28, s23, s28
	s_bfe_u32 s29, ttmp6, 0x40004
	s_add_co_i32 s21, s21, s22
	s_add_co_i32 s29, s29, s28
	s_cmp_eq_u32 s20, 0
	v_dual_lshrrev_b32 v6, 2, v17 :: v_dual_lshrrev_b32 v18, 6, v17
	s_cselect_b32 s20, s23, s29
	s_cselect_b32 s28, ttmp9, s21
	s_lshl_b32 s34, s20, 6
	s_mov_b32 s35, s3
	s_load_b128 s[20:23], s[0:1], 0x78
	v_add_nc_u64_e32 v[8:9], s[34:35], v[6:7]
	v_add_nc_u64_e32 v[10:11], s[34:35], v[2:3]
	s_ashr_i32 s29, s28, 31
	s_load_b32 s33, s[0:1], 0x50
	v_dual_mov_b32 v5, v3 :: v_dual_bitop2_b32 v2, 3, v0 bitop3:0x40
	v_add_nc_u32_e32 v31, 0x400, v16
	s_wait_kmcnt 0x0
	v_mul_u64_e32 v[8:9], s[24:25], v[8:9]
	s_lshl_b64 s[24:25], s[28:29], 6
	v_mul_u64_e32 v[12:13], s[6:7], v[10:11]
	s_load_b96 s[28:30], s[0:1], 0x10
	v_mad_nc_u64_u32 v[14:15], s14, v18, s[24:25]
	v_dual_lshlrev_b32 v7, 2, v2 :: v_dual_lshlrev_b32 v2, 1, v2
	v_lshlrev_b32_e32 v30, 2, v4
	s_delay_alu instid0(VALU_DEP_2)
	v_lshl_or_b32 v20, v6, 4, v7
	v_mul_u64_e32 v[0:1], s[20:21], v[10:11]
	v_dual_mov_b32 v11, v3 :: v_dual_bitop2_b32 v10, 63, v17 bitop3:0x40
	v_mad_u32 v15, s15, v18, v15
	v_add_nc_u64_e32 v[16:17], s[24:25], v[4:5]
	s_cmp_eq_f32 s33, 0
	v_add_nc_u32_e32 v33, 0x400, v20
	v_lshlrev_b32_e32 v19, 2, v10
	s_wait_xcnt 0x0
	s_cselect_b32 s1, -1, 0
	s_lshl_b64 s[20:21], s[20:21], 4
	s_wait_kmcnt 0x0
	v_cmp_gt_i64_e64 s0, s[28:29], 0
	v_lshl_or_b32 v32, v18, 8, v19
	s_lshl_b64 s[24:25], s[6:7], 4
	v_add_nc_u64_e32 v[4:5], v[14:15], v[10:11]
	s_lshl_b64 s[6:7], s[26:27], 1
	v_cndmask_b32_e64 v21, 0, 1, s0
	v_lshl_add_u64 v[6:7], v[8:9], 1, v[2:3]
	v_lshlrev_b64_e32 v[8:9], 2, v[16:17]
	s_delay_alu instid0(VALU_DEP_4)
	v_lshl_add_u64 v[2:3], v[4:5], 1, s[12:13]
	v_lshl_add_u64 v[4:5], v[12:13], 2, s[4:5]
	v_cmp_ne_u32_e64 s0, 1, v21
	v_add_nc_u64_e32 v[6:7], s[18:19], v[6:7]
	s_lshl_b64 s[4:5], s[16:17], 1
	s_lshl_b64 s[12:13], s[14:15], 3
	;; [unrolled: 1-line block ×4, first 2 shown]
	s_branch .LBB445_3
.LBB445_2:                              ;   in Loop: Header=BB445_3 Depth=1
	s_add_co_i32 s2, s2, 0x10000
	s_delay_alu instid0(SALU_CYCLE_1)
	s_cmp_lt_i32 s2, s31
	s_cbranch_scc0 .LBB445_10
.LBB445_3:                              ; =>This Loop Header: Depth=1
                                        ;     Child Loop BB445_5 Depth 2
	v_dual_mov_b32 v25, 0 :: v_dual_mov_b32 v24, 0
	v_dual_mov_b32 v23, 0 :: v_dual_mov_b32 v22, 0
	;; [unrolled: 1-line block ×3, first 2 shown]
	s_wait_xcnt 0x6
	v_dual_mov_b32 v19, 0 :: v_dual_mov_b32 v18, 0
	s_wait_xcnt 0x1
	v_dual_mov_b32 v17, 0 :: v_dual_mov_b32 v16, 0
	;; [unrolled: 2-line block ×3, first 2 shown]
	v_dual_mov_b32 v13, 0 :: v_dual_mov_b32 v12, 0
	v_dual_mov_b32 v11, 0 :: v_dual_mov_b32 v10, 0
	s_and_b32 vcc_lo, exec_lo, s0
	s_cbranch_vccnz .LBB445_6
; %bb.4:                                ;   in Loop: Header=BB445_3 Depth=1
	v_mad_nc_u64_u32 v[26:27], s6, s2, v[6:7]
	v_mad_nc_u64_u32 v[28:29], s4, s2, v[2:3]
	v_mov_b32_e32 v10, 0
	s_mov_b64 s[18:19], 0
	s_delay_alu instid0(VALU_DEP_1)
	v_dual_mov_b32 v11, v10 :: v_dual_mov_b32 v12, v10
	v_dual_mov_b32 v13, v10 :: v_dual_mov_b32 v14, v10
	v_mad_u32 v27, s7, s2, v27
	v_mad_u32 v29, s5, s2, v29
	v_dual_mov_b32 v15, v10 :: v_dual_mov_b32 v16, v10
	v_dual_mov_b32 v17, v10 :: v_dual_mov_b32 v18, v10
	v_dual_mov_b32 v19, v10 :: v_dual_mov_b32 v20, v10
	v_dual_mov_b32 v21, v10 :: v_dual_mov_b32 v22, v10
	v_dual_mov_b32 v23, v10 :: v_dual_mov_b32 v24, v10
	v_mov_b32_e32 v25, v10
.LBB445_5:                              ;   Parent Loop BB445_3 Depth=1
                                        ; =>  This Inner Loop Header: Depth=2
	global_load_u16 v34, v[28:29], off
	global_load_u16 v35, v[26:27], off
	s_add_nc_u64 s[18:19], s[18:19], 4
	s_wait_xcnt 0x0
	v_add_nc_u64_e32 v[26:27], 8, v[26:27]
	v_cmp_lt_i64_e64 s20, s[18:19], s[28:29]
	v_add_nc_u64_e32 v[28:29], s[12:13], v[28:29]
	s_and_b32 vcc_lo, exec_lo, s20
	s_wait_loadcnt 0x0
	v_dual_lshlrev_b32 v34, 16, v34 :: v_dual_lshlrev_b32 v35, 16, v35
	ds_store_b32 v32, v34
	ds_store_b32 v33, v35
	s_wait_dscnt 0x0
	s_barrier_signal -1
	s_barrier_wait -1
	ds_load_2addr_b32 v[50:51], v30 offset1:16
	ds_load_2addr_b32 v[52:53], v30 offset0:64 offset1:80
	ds_load_2addr_b32 v[54:55], v30 offset0:128 offset1:144
	;; [unrolled: 1-line block ×6, first 2 shown]
	ds_load_b128 v[34:37], v31
	ds_load_b128 v[38:41], v31 offset:256
	ds_load_2addr_b32 v[64:65], v30 offset0:224 offset1:240
	ds_load_b128 v[42:45], v31 offset:512
	ds_load_b128 v[46:49], v31 offset:768
	s_wait_dscnt 0x0
	s_barrier_signal -1
	s_barrier_wait -1
	v_dual_mov_b32 v66, v51 :: v_dual_mov_b32 v67, v50
	v_dual_mov_b32 v50, v53 :: v_dual_mov_b32 v51, v52
	;; [unrolled: 1-line block ×6, first 2 shown]
	v_pk_fma_f32 v[24:25], v[66:67], v[34:35], v[24:25] op_sel_hi:[1,0,1]
	v_pk_fma_f32 v[20:21], v[66:67], v[38:39], v[20:21] op_sel_hi:[1,0,1]
	s_delay_alu instid0(VALU_DEP_4)
	v_pk_fma_f32 v[22:23], v[56:57], v[34:35], v[22:23] op_sel_hi:[1,0,1]
	v_pk_fma_f32 v[16:17], v[66:67], v[42:43], v[16:17] op_sel_hi:[1,0,1]
	;; [unrolled: 1-line block ×6, first 2 shown]
	v_dual_mov_b32 v60, v63 :: v_dual_mov_b32 v61, v62
	v_pk_fma_f32 v[24:25], v[50:51], v[34:35], v[24:25] op_sel:[0,1,0]
	v_pk_fma_f32 v[22:23], v[58:59], v[34:35], v[22:23] op_sel:[0,1,0]
	;; [unrolled: 1-line block ×8, first 2 shown]
	v_dual_mov_b32 v62, v37 :: v_dual_mov_b32 v68, v65
	v_dual_mov_b32 v69, v64 :: v_dual_mov_b32 v64, v41
	v_dual_mov_b32 v70, v45 :: v_dual_mov_b32 v72, v49
	v_pk_fma_f32 v[24:25], v[52:53], v[36:37], v[24:25] op_sel_hi:[1,0,1]
	v_pk_fma_f32 v[22:23], v[60:61], v[36:37], v[22:23] op_sel_hi:[1,0,1]
	v_pk_fma_f32 v[20:21], v[52:53], v[40:41], v[20:21] op_sel_hi:[1,0,1]
	v_pk_fma_f32 v[18:19], v[60:61], v[40:41], v[18:19] op_sel_hi:[1,0,1]
	v_pk_fma_f32 v[16:17], v[52:53], v[44:45], v[16:17] op_sel_hi:[1,0,1]
	v_pk_fma_f32 v[14:15], v[60:61], v[44:45], v[14:15] op_sel_hi:[1,0,1]
	v_pk_fma_f32 v[12:13], v[52:53], v[48:49], v[12:13] op_sel_hi:[1,0,1]
	v_pk_fma_f32 v[10:11], v[60:61], v[48:49], v[10:11] op_sel_hi:[1,0,1]
	v_pk_fma_f32 v[24:25], v[54:55], v[62:63], v[24:25] op_sel_hi:[1,0,1]
	v_pk_fma_f32 v[22:23], v[68:69], v[62:63], v[22:23] op_sel_hi:[1,0,1]
	v_pk_fma_f32 v[20:21], v[54:55], v[64:65], v[20:21] op_sel_hi:[1,0,1]
	v_pk_fma_f32 v[18:19], v[68:69], v[64:65], v[18:19] op_sel_hi:[1,0,1]
	v_pk_fma_f32 v[16:17], v[54:55], v[70:71], v[16:17] op_sel_hi:[1,0,1]
	v_pk_fma_f32 v[14:15], v[68:69], v[70:71], v[14:15] op_sel_hi:[1,0,1]
	v_pk_fma_f32 v[12:13], v[54:55], v[72:73], v[12:13] op_sel_hi:[1,0,1]
	v_pk_fma_f32 v[10:11], v[68:69], v[72:73], v[10:11] op_sel_hi:[1,0,1]
	s_cbranch_vccnz .LBB445_5
.LBB445_6:                              ;   in Loop: Header=BB445_3 Depth=1
	s_mul_u64 s[18:19], s[22:23], s[2:3]
	s_and_not1_b32 vcc_lo, exec_lo, s1
	s_lshl_b64 s[18:19], s[18:19], 2
	s_delay_alu instid0(SALU_CYCLE_1) | instskip(NEXT) | instid1(SALU_CYCLE_1)
	s_add_nc_u64 s[18:19], s[10:11], s[18:19]
	v_lshl_add_u64 v[26:27], v[0:1], 2, s[18:19]
	s_delay_alu instid0(VALU_DEP_1)
	v_add_nc_u64_e32 v[28:29], v[26:27], v[8:9]
	v_add_nc_u64_e32 v[26:27], s[14:15], v[26:27]
	s_cbranch_vccnz .LBB445_8
; %bb.7:                                ;   in Loop: Header=BB445_3 Depth=1
	v_dual_mul_f32 v36, s30, v25 :: v_dual_mul_f32 v37, s30, v24
	s_delay_alu instid0(VALU_DEP_2)
	v_add_nc_u64_e32 v[34:35], s[14:15], v[26:27]
	v_dual_mul_f32 v38, s30, v23 :: v_dual_mul_f32 v39, s30, v22
	s_clause 0x3
	global_store_b32 v[28:29], v36, off
	global_store_b32 v[28:29], v37, off offset:64
	global_store_b32 v[28:29], v38, off offset:128
	;; [unrolled: 1-line block ×3, first 2 shown]
	s_wait_xcnt 0x2
	v_add_nc_u64_e32 v[36:37], v[26:27], v[8:9]
	v_dual_mul_f32 v40, s30, v21 :: v_dual_mul_f32 v41, s30, v20
	s_wait_xcnt 0x0
	v_add_nc_u64_e32 v[38:39], v[34:35], v[8:9]
	v_add_nc_u64_e32 v[34:35], s[14:15], v[34:35]
	v_dual_mul_f32 v42, s30, v19 :: v_dual_mul_f32 v43, s30, v18
	s_clause 0x3
	global_store_b32 v[36:37], v40, off
	global_store_b32 v[36:37], v41, off offset:64
	global_store_b32 v[36:37], v42, off offset:128
	;; [unrolled: 1-line block ×3, first 2 shown]
	s_wait_xcnt 0x0
	v_dual_mul_f32 v36, s30, v17 :: v_dual_mul_f32 v37, s30, v16
	v_dual_mul_f32 v40, s30, v15 :: v_dual_mul_f32 v41, s30, v14
	v_add_nc_u64_e32 v[34:35], v[34:35], v[8:9]
	s_clause 0x3
	global_store_b32 v[38:39], v36, off
	global_store_b32 v[38:39], v37, off offset:64
	global_store_b32 v[38:39], v40, off offset:128
	;; [unrolled: 1-line block ×3, first 2 shown]
	s_wait_xcnt 0x2
	v_dual_mul_f32 v36, s30, v13 :: v_dual_mul_f32 v37, s30, v12
	s_wait_xcnt 0x0
	v_dual_mul_f32 v38, s30, v11 :: v_dual_mul_f32 v39, s30, v10
	s_clause 0x3
	global_store_b32 v[34:35], v36, off
	global_store_b32 v[34:35], v37, off offset:64
	global_store_b32 v[34:35], v38, off offset:128
	;; [unrolled: 1-line block ×3, first 2 shown]
	s_cbranch_execnz .LBB445_2
	s_branch .LBB445_9
.LBB445_8:                              ;   in Loop: Header=BB445_3 Depth=1
.LBB445_9:                              ;   in Loop: Header=BB445_3 Depth=1
	s_mul_u64 s[18:19], s[8:9], s[2:3]
	s_wait_xcnt 0x0
	v_lshl_add_u64 v[34:35], s[18:19], 2, v[4:5]
	s_delay_alu instid0(VALU_DEP_1) | instskip(SKIP_3) | instid1(VALU_DEP_1)
	v_add_nc_u64_e32 v[36:37], v[34:35], v[8:9]
	global_load_b32 v38, v[36:37], off
	s_wait_loadcnt 0x0
	v_mul_f32_e32 v38, s33, v38
	v_fmac_f32_e32 v38, s30, v25
	global_store_b32 v[28:29], v38, off
	global_load_b32 v25, v[36:37], off offset:64
	s_wait_loadcnt 0x0
	v_mul_f32_e32 v25, s33, v25
	s_delay_alu instid0(VALU_DEP_1) | instskip(SKIP_4) | instid1(VALU_DEP_1)
	v_fmac_f32_e32 v25, s30, v24
	global_store_b32 v[28:29], v25, off offset:64
	global_load_b32 v24, v[36:37], off offset:128
	s_wait_loadcnt 0x0
	v_mul_f32_e32 v24, s33, v24
	v_fmac_f32_e32 v24, s30, v23
	global_store_b32 v[28:29], v24, off offset:128
	global_load_b32 v23, v[36:37], off offset:192
	s_wait_xcnt 0x1
	v_add_nc_u64_e32 v[24:25], s[16:17], v[34:35]
	s_delay_alu instid0(VALU_DEP_1) | instskip(SKIP_2) | instid1(VALU_DEP_1)
	v_add_nc_u64_e32 v[34:35], v[24:25], v[8:9]
	s_wait_loadcnt 0x0
	v_mul_f32_e32 v23, s33, v23
	v_fmac_f32_e32 v23, s30, v22
	global_store_b32 v[28:29], v23, off offset:192
	global_load_b32 v22, v[34:35], off
	s_wait_loadcnt 0x0
	s_wait_xcnt 0x1
	v_mul_f32_e32 v28, s33, v22
	v_add_nc_u64_e32 v[22:23], v[26:27], v[8:9]
	s_delay_alu instid0(VALU_DEP_2) | instskip(SKIP_4) | instid1(VALU_DEP_1)
	v_fmac_f32_e32 v28, s30, v21
	global_store_b32 v[22:23], v28, off
	global_load_b32 v21, v[34:35], off offset:64
	s_wait_loadcnt 0x0
	v_mul_f32_e32 v21, s33, v21
	v_fmac_f32_e32 v21, s30, v20
	global_store_b32 v[22:23], v21, off offset:64
	global_load_b32 v20, v[34:35], off offset:128
	s_wait_loadcnt 0x0
	v_mul_f32_e32 v20, s33, v20
	s_delay_alu instid0(VALU_DEP_1) | instskip(SKIP_4) | instid1(VALU_DEP_1)
	v_fmac_f32_e32 v20, s30, v19
	global_store_b32 v[22:23], v20, off offset:128
	global_load_b32 v19, v[34:35], off offset:192
	s_wait_xcnt 0x1
	v_add_nc_u64_e32 v[20:21], s[16:17], v[24:25]
	v_add_nc_u64_e32 v[24:25], v[20:21], v[8:9]
	s_wait_loadcnt 0x0
	v_mul_f32_e32 v19, s33, v19
	s_delay_alu instid0(VALU_DEP_1)
	v_fmac_f32_e32 v19, s30, v18
	global_store_b32 v[22:23], v19, off offset:192
	global_load_b32 v22, v[24:25], off
	v_add_nc_u64_e32 v[18:19], s[14:15], v[26:27]
	s_wait_loadcnt 0x0
	v_mul_f32_e32 v26, s33, v22
	s_delay_alu instid0(VALU_DEP_2) | instskip(NEXT) | instid1(VALU_DEP_2)
	v_add_nc_u64_e32 v[22:23], v[18:19], v[8:9]
	v_fmac_f32_e32 v26, s30, v17
	global_store_b32 v[22:23], v26, off
	global_load_b32 v17, v[24:25], off offset:64
	s_wait_loadcnt 0x0
	v_mul_f32_e32 v17, s33, v17
	s_delay_alu instid0(VALU_DEP_1) | instskip(SKIP_4) | instid1(VALU_DEP_1)
	v_fmac_f32_e32 v17, s30, v16
	global_store_b32 v[22:23], v17, off offset:64
	global_load_b32 v16, v[24:25], off offset:128
	s_wait_loadcnt 0x0
	v_mul_f32_e32 v16, s33, v16
	v_fmac_f32_e32 v16, s30, v15
	global_store_b32 v[22:23], v16, off offset:128
	global_load_b32 v15, v[24:25], off offset:192
	s_wait_xcnt 0x1
	v_add_nc_u64_e32 v[16:17], s[16:17], v[20:21]
	s_delay_alu instid0(VALU_DEP_1) | instskip(SKIP_2) | instid1(VALU_DEP_1)
	v_add_nc_u64_e32 v[16:17], v[16:17], v[8:9]
	s_wait_loadcnt 0x0
	v_mul_f32_e32 v15, s33, v15
	v_fmac_f32_e32 v15, s30, v14
	global_store_b32 v[22:23], v15, off offset:192
	global_load_b32 v20, v[16:17], off
	s_wait_xcnt 0x1
	v_add_nc_u64_e32 v[14:15], s[14:15], v[18:19]
	s_delay_alu instid0(VALU_DEP_1) | instskip(SKIP_2) | instid1(VALU_DEP_1)
	v_add_nc_u64_e32 v[14:15], v[14:15], v[8:9]
	s_wait_loadcnt 0x0
	v_mul_f32_e32 v18, s33, v20
	v_fmac_f32_e32 v18, s30, v13
	global_store_b32 v[14:15], v18, off
	global_load_b32 v13, v[16:17], off offset:64
	s_wait_loadcnt 0x0
	v_mul_f32_e32 v13, s33, v13
	s_delay_alu instid0(VALU_DEP_1) | instskip(SKIP_4) | instid1(VALU_DEP_1)
	v_fmac_f32_e32 v13, s30, v12
	global_store_b32 v[14:15], v13, off offset:64
	global_load_b32 v12, v[16:17], off offset:128
	s_wait_loadcnt 0x0
	v_mul_f32_e32 v12, s33, v12
	v_fmac_f32_e32 v12, s30, v11
	global_store_b32 v[14:15], v12, off offset:128
	global_load_b32 v11, v[16:17], off offset:192
	s_wait_loadcnt 0x0
	v_mul_f32_e32 v11, s33, v11
	s_delay_alu instid0(VALU_DEP_1)
	v_fmac_f32_e32 v11, s30, v10
	global_store_b32 v[14:15], v11, off offset:192
	s_branch .LBB445_2
.LBB445_10:
	s_sendmsg sendmsg(MSG_DEALLOC_VGPRS)
	s_endpgm
	.section	.rodata,"a",@progbits
	.p2align	6, 0x0
	.amdhsa_kernel _ZN12_GLOBAL__N_127rocblas_gemm_batched_kernelIfLi16ELi16ELi64ELi64ELi4ELi64ELi4ELi4ELi64ELc78ELc78EK16rocblas_bfloat16KffEEvlllT_PT11_llS6_llS4_PT12_llPT13_lli
		.amdhsa_group_segment_fixed_size 2048
		.amdhsa_private_segment_fixed_size 0
		.amdhsa_kernarg_size 140
		.amdhsa_user_sgpr_count 2
		.amdhsa_user_sgpr_dispatch_ptr 0
		.amdhsa_user_sgpr_queue_ptr 0
		.amdhsa_user_sgpr_kernarg_segment_ptr 1
		.amdhsa_user_sgpr_dispatch_id 0
		.amdhsa_user_sgpr_kernarg_preload_length 0
		.amdhsa_user_sgpr_kernarg_preload_offset 0
		.amdhsa_user_sgpr_private_segment_size 0
		.amdhsa_wavefront_size32 1
		.amdhsa_uses_dynamic_stack 0
		.amdhsa_enable_private_segment 0
		.amdhsa_system_sgpr_workgroup_id_x 1
		.amdhsa_system_sgpr_workgroup_id_y 1
		.amdhsa_system_sgpr_workgroup_id_z 1
		.amdhsa_system_sgpr_workgroup_info 0
		.amdhsa_system_vgpr_workitem_id 1
		.amdhsa_next_free_vgpr 74
		.amdhsa_next_free_sgpr 36
		.amdhsa_named_barrier_count 0
		.amdhsa_reserve_vcc 1
		.amdhsa_float_round_mode_32 0
		.amdhsa_float_round_mode_16_64 0
		.amdhsa_float_denorm_mode_32 3
		.amdhsa_float_denorm_mode_16_64 3
		.amdhsa_fp16_overflow 0
		.amdhsa_memory_ordered 1
		.amdhsa_forward_progress 1
		.amdhsa_inst_pref_size 19
		.amdhsa_round_robin_scheduling 0
		.amdhsa_exception_fp_ieee_invalid_op 0
		.amdhsa_exception_fp_denorm_src 0
		.amdhsa_exception_fp_ieee_div_zero 0
		.amdhsa_exception_fp_ieee_overflow 0
		.amdhsa_exception_fp_ieee_underflow 0
		.amdhsa_exception_fp_ieee_inexact 0
		.amdhsa_exception_int_div_zero 0
	.end_amdhsa_kernel
	.section	.text._ZN12_GLOBAL__N_127rocblas_gemm_batched_kernelIfLi16ELi16ELi64ELi64ELi4ELi64ELi4ELi4ELi64ELc78ELc78EK16rocblas_bfloat16KffEEvlllT_PT11_llS6_llS4_PT12_llPT13_lli,"axG",@progbits,_ZN12_GLOBAL__N_127rocblas_gemm_batched_kernelIfLi16ELi16ELi64ELi64ELi4ELi64ELi4ELi4ELi64ELc78ELc78EK16rocblas_bfloat16KffEEvlllT_PT11_llS6_llS4_PT12_llPT13_lli,comdat
.Lfunc_end445:
	.size	_ZN12_GLOBAL__N_127rocblas_gemm_batched_kernelIfLi16ELi16ELi64ELi64ELi4ELi64ELi4ELi4ELi64ELc78ELc78EK16rocblas_bfloat16KffEEvlllT_PT11_llS6_llS4_PT12_llPT13_lli, .Lfunc_end445-_ZN12_GLOBAL__N_127rocblas_gemm_batched_kernelIfLi16ELi16ELi64ELi64ELi4ELi64ELi4ELi4ELi64ELc78ELc78EK16rocblas_bfloat16KffEEvlllT_PT11_llS6_llS4_PT12_llPT13_lli
                                        ; -- End function
	.set _ZN12_GLOBAL__N_127rocblas_gemm_batched_kernelIfLi16ELi16ELi64ELi64ELi4ELi64ELi4ELi4ELi64ELc78ELc78EK16rocblas_bfloat16KffEEvlllT_PT11_llS6_llS4_PT12_llPT13_lli.num_vgpr, 74
	.set _ZN12_GLOBAL__N_127rocblas_gemm_batched_kernelIfLi16ELi16ELi64ELi64ELi4ELi64ELi4ELi4ELi64ELc78ELc78EK16rocblas_bfloat16KffEEvlllT_PT11_llS6_llS4_PT12_llPT13_lli.num_agpr, 0
	.set _ZN12_GLOBAL__N_127rocblas_gemm_batched_kernelIfLi16ELi16ELi64ELi64ELi4ELi64ELi4ELi4ELi64ELc78ELc78EK16rocblas_bfloat16KffEEvlllT_PT11_llS6_llS4_PT12_llPT13_lli.numbered_sgpr, 36
	.set _ZN12_GLOBAL__N_127rocblas_gemm_batched_kernelIfLi16ELi16ELi64ELi64ELi4ELi64ELi4ELi4ELi64ELc78ELc78EK16rocblas_bfloat16KffEEvlllT_PT11_llS6_llS4_PT12_llPT13_lli.num_named_barrier, 0
	.set _ZN12_GLOBAL__N_127rocblas_gemm_batched_kernelIfLi16ELi16ELi64ELi64ELi4ELi64ELi4ELi4ELi64ELc78ELc78EK16rocblas_bfloat16KffEEvlllT_PT11_llS6_llS4_PT12_llPT13_lli.private_seg_size, 0
	.set _ZN12_GLOBAL__N_127rocblas_gemm_batched_kernelIfLi16ELi16ELi64ELi64ELi4ELi64ELi4ELi4ELi64ELc78ELc78EK16rocblas_bfloat16KffEEvlllT_PT11_llS6_llS4_PT12_llPT13_lli.uses_vcc, 1
	.set _ZN12_GLOBAL__N_127rocblas_gemm_batched_kernelIfLi16ELi16ELi64ELi64ELi4ELi64ELi4ELi4ELi64ELc78ELc78EK16rocblas_bfloat16KffEEvlllT_PT11_llS6_llS4_PT12_llPT13_lli.uses_flat_scratch, 0
	.set _ZN12_GLOBAL__N_127rocblas_gemm_batched_kernelIfLi16ELi16ELi64ELi64ELi4ELi64ELi4ELi4ELi64ELc78ELc78EK16rocblas_bfloat16KffEEvlllT_PT11_llS6_llS4_PT12_llPT13_lli.has_dyn_sized_stack, 0
	.set _ZN12_GLOBAL__N_127rocblas_gemm_batched_kernelIfLi16ELi16ELi64ELi64ELi4ELi64ELi4ELi4ELi64ELc78ELc78EK16rocblas_bfloat16KffEEvlllT_PT11_llS6_llS4_PT12_llPT13_lli.has_recursion, 0
	.set _ZN12_GLOBAL__N_127rocblas_gemm_batched_kernelIfLi16ELi16ELi64ELi64ELi4ELi64ELi4ELi4ELi64ELc78ELc78EK16rocblas_bfloat16KffEEvlllT_PT11_llS6_llS4_PT12_llPT13_lli.has_indirect_call, 0
	.section	.AMDGPU.csdata,"",@progbits
; Kernel info:
; codeLenInByte = 2348
; TotalNumSgprs: 38
; NumVgprs: 74
; ScratchSize: 0
; MemoryBound: 0
; FloatMode: 240
; IeeeMode: 1
; LDSByteSize: 2048 bytes/workgroup (compile time only)
; SGPRBlocks: 0
; VGPRBlocks: 4
; NumSGPRsForWavesPerEU: 38
; NumVGPRsForWavesPerEU: 74
; NamedBarCnt: 0
; Occupancy: 12
; WaveLimiterHint : 0
; COMPUTE_PGM_RSRC2:SCRATCH_EN: 0
; COMPUTE_PGM_RSRC2:USER_SGPR: 2
; COMPUTE_PGM_RSRC2:TRAP_HANDLER: 0
; COMPUTE_PGM_RSRC2:TGID_X_EN: 1
; COMPUTE_PGM_RSRC2:TGID_Y_EN: 1
; COMPUTE_PGM_RSRC2:TGID_Z_EN: 1
; COMPUTE_PGM_RSRC2:TIDIG_COMP_CNT: 1
	.section	.text._ZN12_GLOBAL__N_127rocblas_gemm_batched_kernelIfLi16ELi16ELi64ELi64ELi4ELi64ELi4ELi4ELi64ELc84ELc78EK16rocblas_bfloat16KffEEvlllT_PT11_llS6_llS4_PT12_llPT13_lli,"axG",@progbits,_ZN12_GLOBAL__N_127rocblas_gemm_batched_kernelIfLi16ELi16ELi64ELi64ELi4ELi64ELi4ELi4ELi64ELc84ELc78EK16rocblas_bfloat16KffEEvlllT_PT11_llS6_llS4_PT12_llPT13_lli,comdat
	.globl	_ZN12_GLOBAL__N_127rocblas_gemm_batched_kernelIfLi16ELi16ELi64ELi64ELi4ELi64ELi4ELi4ELi64ELc84ELc78EK16rocblas_bfloat16KffEEvlllT_PT11_llS6_llS4_PT12_llPT13_lli ; -- Begin function _ZN12_GLOBAL__N_127rocblas_gemm_batched_kernelIfLi16ELi16ELi64ELi64ELi4ELi64ELi4ELi4ELi64ELc84ELc78EK16rocblas_bfloat16KffEEvlllT_PT11_llS6_llS4_PT12_llPT13_lli
	.p2align	8
	.type	_ZN12_GLOBAL__N_127rocblas_gemm_batched_kernelIfLi16ELi16ELi64ELi64ELi4ELi64ELi4ELi4ELi64ELc84ELc78EK16rocblas_bfloat16KffEEvlllT_PT11_llS6_llS4_PT12_llPT13_lli,@function
_ZN12_GLOBAL__N_127rocblas_gemm_batched_kernelIfLi16ELi16ELi64ELi64ELi4ELi64ELi4ELi4ELi64ELc84ELc78EK16rocblas_bfloat16KffEEvlllT_PT11_llS6_llS4_PT12_llPT13_lli: ; @_ZN12_GLOBAL__N_127rocblas_gemm_batched_kernelIfLi16ELi16ELi64ELi64ELi4ELi64ELi4ELi4ELi64ELc84ELc78EK16rocblas_bfloat16KffEEvlllT_PT11_llS6_llS4_PT12_llPT13_lli
; %bb.0:
	s_load_b32 s31, s[0:1], 0x88
	s_bfe_u32 s2, ttmp6, 0x40014
	s_lshr_b32 s3, ttmp7, 16
	s_add_co_i32 s2, s2, 1
	s_bfe_u32 s4, ttmp6, 0x40008
	s_mul_i32 s2, s3, s2
	s_getreg_b32 s20, hwreg(HW_REG_IB_STS2, 6, 4)
	s_add_co_i32 s4, s4, s2
	s_cmp_eq_u32 s20, 0
	s_cselect_b32 s2, s3, s4
	s_mov_b32 s3, 0
	s_wait_kmcnt 0x0
	s_cmp_ge_i32 s2, s31
	s_cbranch_scc1 .LBB446_10
; %bb.1:
	v_bfe_u32 v2, v0, 10, 10
	v_and_b32_e32 v4, 0x3ff, v0
	s_bfe_u32 s22, ttmp6, 0x4000c
	s_bfe_u32 s28, ttmp6, 0x40010
	s_clause 0x2
	s_load_b256 s[12:19], s[0:1], 0x20
	s_load_b128 s[24:27], s[0:1], 0x40
	s_load_b256 s[4:11], s[0:1], 0x58
	v_dual_mov_b32 v3, 0 :: v_dual_lshlrev_b32 v16, 4, v2
	s_and_b32 s23, ttmp7, 0xffff
	s_add_co_i32 s22, s22, 1
	s_add_co_i32 s28, s28, 1
	s_delay_alu instid0(VALU_DEP_1)
	v_dual_add_nc_u32 v17, v16, v4 :: v_dual_mov_b32 v7, v3
	s_and_b32 s21, ttmp6, 15
	s_mul_i32 s22, ttmp9, s22
	s_mul_i32 s28, s23, s28
	s_bfe_u32 s29, ttmp6, 0x40004
	s_add_co_i32 s21, s21, s22
	s_add_co_i32 s29, s29, s28
	s_cmp_eq_u32 s20, 0
	v_lshrrev_b32_e32 v6, 2, v17
	s_cselect_b32 s20, s23, s29
	s_cselect_b32 s28, ttmp9, s21
	s_lshl_b32 s34, s20, 6
	s_mov_b32 s35, s3
	s_ashr_i32 s29, s28, 31
	v_add_nc_u64_e32 v[8:9], s[34:35], v[6:7]
	v_and_b32_e32 v7, 63, v17
	s_load_b128 s[20:23], s[0:1], 0x78
	s_lshl_b64 s[36:37], s[28:29], 6
	v_add_nc_u64_e32 v[12:13], s[34:35], v[2:3]
	s_delay_alu instid0(VALU_DEP_2)
	v_dual_mov_b32 v11, s37 :: v_dual_bitop2_b32 v10, s36, v7 bitop3:0x54
	s_wait_kmcnt 0x0
	v_mul_u64_e32 v[8:9], s[24:25], v[8:9]
	s_clause 0x1
	s_load_b32 s33, s[0:1], 0x50
	s_load_b96 s[28:30], s[0:1], 0x10
	v_dual_mov_b32 v5, v3 :: v_dual_bitop2_b32 v2, 3, v0 bitop3:0x40
	v_mul_u64_e32 v[10:11], s[14:15], v[10:11]
	v_mul_u64_e32 v[14:15], s[6:7], v[12:13]
	v_add_nc_u32_e32 v31, 0x400, v16
	s_delay_alu instid0(VALU_DEP_4) | instskip(SKIP_2) | instid1(VALU_DEP_3)
	v_dual_lshlrev_b32 v18, 2, v2 :: v_dual_lshlrev_b32 v30, 2, v4
	v_dual_lshlrev_b32 v2, 1, v2 :: v_dual_lshrrev_b32 v16, 6, v17
	v_lshlrev_b32_e32 v17, 2, v7
	v_lshl_or_b32 v18, v6, 4, v18
	v_mul_u64_e32 v[0:1], s[20:21], v[12:13]
	v_add_nc_u64_e32 v[12:13], s[36:37], v[4:5]
	s_delay_alu instid0(VALU_DEP_3)
	v_add_nc_u32_e32 v33, 0x400, v18
	s_wait_kmcnt 0x0
	s_cmp_eq_f32 s33, 0
	v_cmp_gt_i64_e64 s0, s[28:29], 0
	s_cselect_b32 s1, -1, 0
	s_lshl_b64 s[14:15], s[20:21], 4
	s_lshl_b64 s[20:21], s[6:7], 4
	;; [unrolled: 1-line block ×3, first 2 shown]
	v_cndmask_b32_e64 v19, 0, 1, s0
	v_lshl_add_u64 v[4:5], v[8:9], 1, v[2:3]
	v_lshlrev_b32_e32 v2, 1, v16
	v_lshlrev_b64_e32 v[8:9], 2, v[12:13]
	v_lshl_or_b32 v32, v16, 8, v17
	v_cmp_ne_u32_e64 s0, 1, v19
	v_add_nc_u64_e32 v[4:5], s[18:19], v[4:5]
	v_lshl_add_u64 v[6:7], v[10:11], 1, v[2:3]
	v_lshl_add_u64 v[2:3], v[14:15], 2, s[4:5]
	s_lshl_b64 s[4:5], s[26:27], 1
	s_delay_alu instid0(VALU_DEP_2)
	v_add_nc_u64_e32 v[6:7], s[12:13], v[6:7]
	s_lshl_b64 s[12:13], s[14:15], 2
	s_lshl_b64 s[14:15], s[20:21], 2
	s_branch .LBB446_3
.LBB446_2:                              ;   in Loop: Header=BB446_3 Depth=1
	s_add_co_i32 s2, s2, 0x10000
	s_delay_alu instid0(SALU_CYCLE_1)
	s_cmp_lt_i32 s2, s31
	s_cbranch_scc0 .LBB446_10
.LBB446_3:                              ; =>This Loop Header: Depth=1
                                        ;     Child Loop BB446_5 Depth 2
	v_dual_mov_b32 v25, 0 :: v_dual_mov_b32 v24, 0
	v_dual_mov_b32 v23, 0 :: v_dual_mov_b32 v22, 0
	;; [unrolled: 1-line block ×3, first 2 shown]
	s_wait_xcnt 0x6
	v_dual_mov_b32 v19, 0 :: v_dual_mov_b32 v18, 0
	s_wait_xcnt 0x1
	v_dual_mov_b32 v17, 0 :: v_dual_mov_b32 v16, 0
	;; [unrolled: 2-line block ×3, first 2 shown]
	v_dual_mov_b32 v13, 0 :: v_dual_mov_b32 v12, 0
	v_dual_mov_b32 v11, 0 :: v_dual_mov_b32 v10, 0
	s_and_b32 vcc_lo, exec_lo, s0
	s_cbranch_vccnz .LBB446_6
; %bb.4:                                ;   in Loop: Header=BB446_3 Depth=1
	v_mad_nc_u64_u32 v[26:27], s4, s2, v[4:5]
	v_mad_nc_u64_u32 v[28:29], s6, s2, v[6:7]
	v_mov_b32_e32 v10, 0
	s_mov_b64 s[16:17], 0
	s_delay_alu instid0(VALU_DEP_1)
	v_dual_mov_b32 v11, v10 :: v_dual_mov_b32 v12, v10
	v_dual_mov_b32 v13, v10 :: v_dual_mov_b32 v14, v10
	v_mad_u32 v27, s5, s2, v27
	v_mad_u32 v29, s7, s2, v29
	v_dual_mov_b32 v15, v10 :: v_dual_mov_b32 v16, v10
	v_dual_mov_b32 v17, v10 :: v_dual_mov_b32 v18, v10
	;; [unrolled: 1-line block ×5, first 2 shown]
	v_mov_b32_e32 v25, v10
.LBB446_5:                              ;   Parent Loop BB446_3 Depth=1
                                        ; =>  This Inner Loop Header: Depth=2
	global_load_u16 v34, v[28:29], off
	global_load_u16 v35, v[26:27], off
	s_add_nc_u64 s[16:17], s[16:17], 4
	s_wait_xcnt 0x0
	v_add_nc_u64_e32 v[26:27], 8, v[26:27]
	v_cmp_lt_i64_e64 s18, s[16:17], s[28:29]
	v_add_nc_u64_e32 v[28:29], 8, v[28:29]
	s_and_b32 vcc_lo, exec_lo, s18
	s_wait_loadcnt 0x0
	v_dual_lshlrev_b32 v34, 16, v34 :: v_dual_lshlrev_b32 v35, 16, v35
	ds_store_b32 v32, v34
	ds_store_b32 v33, v35
	s_wait_dscnt 0x0
	s_barrier_signal -1
	s_barrier_wait -1
	ds_load_2addr_b32 v[50:51], v30 offset1:16
	ds_load_2addr_b32 v[52:53], v30 offset0:64 offset1:80
	ds_load_2addr_b32 v[54:55], v30 offset0:128 offset1:144
	;; [unrolled: 1-line block ×6, first 2 shown]
	ds_load_b128 v[34:37], v31
	ds_load_b128 v[38:41], v31 offset:256
	ds_load_2addr_b32 v[64:65], v30 offset0:224 offset1:240
	ds_load_b128 v[42:45], v31 offset:512
	ds_load_b128 v[46:49], v31 offset:768
	s_wait_dscnt 0x0
	s_barrier_signal -1
	s_barrier_wait -1
	v_dual_mov_b32 v66, v51 :: v_dual_mov_b32 v67, v50
	v_dual_mov_b32 v50, v53 :: v_dual_mov_b32 v51, v52
	;; [unrolled: 1-line block ×6, first 2 shown]
	v_pk_fma_f32 v[24:25], v[66:67], v[34:35], v[24:25] op_sel_hi:[1,0,1]
	v_pk_fma_f32 v[20:21], v[66:67], v[38:39], v[20:21] op_sel_hi:[1,0,1]
	s_delay_alu instid0(VALU_DEP_4)
	v_pk_fma_f32 v[22:23], v[56:57], v[34:35], v[22:23] op_sel_hi:[1,0,1]
	v_pk_fma_f32 v[16:17], v[66:67], v[42:43], v[16:17] op_sel_hi:[1,0,1]
	;; [unrolled: 1-line block ×6, first 2 shown]
	v_dual_mov_b32 v60, v63 :: v_dual_mov_b32 v61, v62
	v_pk_fma_f32 v[24:25], v[50:51], v[34:35], v[24:25] op_sel:[0,1,0]
	v_pk_fma_f32 v[22:23], v[58:59], v[34:35], v[22:23] op_sel:[0,1,0]
	v_pk_fma_f32 v[20:21], v[50:51], v[38:39], v[20:21] op_sel:[0,1,0]
	v_pk_fma_f32 v[16:17], v[50:51], v[42:43], v[16:17] op_sel:[0,1,0]
	v_pk_fma_f32 v[12:13], v[50:51], v[46:47], v[12:13] op_sel:[0,1,0]
	v_pk_fma_f32 v[18:19], v[58:59], v[38:39], v[18:19] op_sel:[0,1,0]
	v_pk_fma_f32 v[14:15], v[58:59], v[42:43], v[14:15] op_sel:[0,1,0]
	v_pk_fma_f32 v[10:11], v[58:59], v[46:47], v[10:11] op_sel:[0,1,0]
	v_dual_mov_b32 v62, v37 :: v_dual_mov_b32 v68, v65
	v_dual_mov_b32 v69, v64 :: v_dual_mov_b32 v64, v41
	;; [unrolled: 1-line block ×3, first 2 shown]
	v_pk_fma_f32 v[24:25], v[52:53], v[36:37], v[24:25] op_sel_hi:[1,0,1]
	v_pk_fma_f32 v[22:23], v[60:61], v[36:37], v[22:23] op_sel_hi:[1,0,1]
	;; [unrolled: 1-line block ×16, first 2 shown]
	s_cbranch_vccnz .LBB446_5
.LBB446_6:                              ;   in Loop: Header=BB446_3 Depth=1
	s_mul_u64 s[16:17], s[22:23], s[2:3]
	s_and_not1_b32 vcc_lo, exec_lo, s1
	s_lshl_b64 s[16:17], s[16:17], 2
	s_delay_alu instid0(SALU_CYCLE_1) | instskip(NEXT) | instid1(SALU_CYCLE_1)
	s_add_nc_u64 s[16:17], s[10:11], s[16:17]
	v_lshl_add_u64 v[26:27], v[0:1], 2, s[16:17]
	s_delay_alu instid0(VALU_DEP_1)
	v_add_nc_u64_e32 v[28:29], v[26:27], v[8:9]
	v_add_nc_u64_e32 v[26:27], s[12:13], v[26:27]
	s_cbranch_vccnz .LBB446_8
; %bb.7:                                ;   in Loop: Header=BB446_3 Depth=1
	v_dual_mul_f32 v36, s30, v25 :: v_dual_mul_f32 v37, s30, v24
	s_delay_alu instid0(VALU_DEP_2)
	v_add_nc_u64_e32 v[34:35], s[12:13], v[26:27]
	v_dual_mul_f32 v38, s30, v23 :: v_dual_mul_f32 v39, s30, v22
	s_clause 0x3
	global_store_b32 v[28:29], v36, off
	global_store_b32 v[28:29], v37, off offset:64
	global_store_b32 v[28:29], v38, off offset:128
	;; [unrolled: 1-line block ×3, first 2 shown]
	s_wait_xcnt 0x2
	v_add_nc_u64_e32 v[36:37], v[26:27], v[8:9]
	v_dual_mul_f32 v40, s30, v21 :: v_dual_mul_f32 v41, s30, v20
	s_wait_xcnt 0x0
	v_add_nc_u64_e32 v[38:39], v[34:35], v[8:9]
	v_add_nc_u64_e32 v[34:35], s[12:13], v[34:35]
	v_dual_mul_f32 v42, s30, v19 :: v_dual_mul_f32 v43, s30, v18
	s_clause 0x3
	global_store_b32 v[36:37], v40, off
	global_store_b32 v[36:37], v41, off offset:64
	global_store_b32 v[36:37], v42, off offset:128
	;; [unrolled: 1-line block ×3, first 2 shown]
	s_wait_xcnt 0x0
	v_dual_mul_f32 v36, s30, v17 :: v_dual_mul_f32 v37, s30, v16
	v_dual_mul_f32 v40, s30, v15 :: v_dual_mul_f32 v41, s30, v14
	v_add_nc_u64_e32 v[34:35], v[34:35], v[8:9]
	s_clause 0x3
	global_store_b32 v[38:39], v36, off
	global_store_b32 v[38:39], v37, off offset:64
	global_store_b32 v[38:39], v40, off offset:128
	;; [unrolled: 1-line block ×3, first 2 shown]
	s_wait_xcnt 0x2
	v_dual_mul_f32 v36, s30, v13 :: v_dual_mul_f32 v37, s30, v12
	s_wait_xcnt 0x0
	v_dual_mul_f32 v38, s30, v11 :: v_dual_mul_f32 v39, s30, v10
	s_clause 0x3
	global_store_b32 v[34:35], v36, off
	global_store_b32 v[34:35], v37, off offset:64
	global_store_b32 v[34:35], v38, off offset:128
	;; [unrolled: 1-line block ×3, first 2 shown]
	s_cbranch_execnz .LBB446_2
	s_branch .LBB446_9
.LBB446_8:                              ;   in Loop: Header=BB446_3 Depth=1
.LBB446_9:                              ;   in Loop: Header=BB446_3 Depth=1
	s_mul_u64 s[16:17], s[8:9], s[2:3]
	s_wait_xcnt 0x0
	v_lshl_add_u64 v[34:35], s[16:17], 2, v[2:3]
	s_delay_alu instid0(VALU_DEP_1) | instskip(SKIP_3) | instid1(VALU_DEP_1)
	v_add_nc_u64_e32 v[36:37], v[34:35], v[8:9]
	global_load_b32 v38, v[36:37], off
	s_wait_loadcnt 0x0
	v_mul_f32_e32 v38, s33, v38
	v_fmac_f32_e32 v38, s30, v25
	global_store_b32 v[28:29], v38, off
	global_load_b32 v25, v[36:37], off offset:64
	s_wait_loadcnt 0x0
	v_mul_f32_e32 v25, s33, v25
	s_delay_alu instid0(VALU_DEP_1) | instskip(SKIP_4) | instid1(VALU_DEP_1)
	v_fmac_f32_e32 v25, s30, v24
	global_store_b32 v[28:29], v25, off offset:64
	global_load_b32 v24, v[36:37], off offset:128
	s_wait_loadcnt 0x0
	v_mul_f32_e32 v24, s33, v24
	v_fmac_f32_e32 v24, s30, v23
	global_store_b32 v[28:29], v24, off offset:128
	global_load_b32 v23, v[36:37], off offset:192
	s_wait_xcnt 0x1
	v_add_nc_u64_e32 v[24:25], s[14:15], v[34:35]
	s_delay_alu instid0(VALU_DEP_1) | instskip(SKIP_2) | instid1(VALU_DEP_1)
	v_add_nc_u64_e32 v[34:35], v[24:25], v[8:9]
	s_wait_loadcnt 0x0
	v_mul_f32_e32 v23, s33, v23
	v_fmac_f32_e32 v23, s30, v22
	global_store_b32 v[28:29], v23, off offset:192
	global_load_b32 v22, v[34:35], off
	s_wait_loadcnt 0x0
	s_wait_xcnt 0x1
	v_mul_f32_e32 v28, s33, v22
	v_add_nc_u64_e32 v[22:23], v[26:27], v[8:9]
	s_delay_alu instid0(VALU_DEP_2) | instskip(SKIP_4) | instid1(VALU_DEP_1)
	v_fmac_f32_e32 v28, s30, v21
	global_store_b32 v[22:23], v28, off
	global_load_b32 v21, v[34:35], off offset:64
	s_wait_loadcnt 0x0
	v_mul_f32_e32 v21, s33, v21
	v_fmac_f32_e32 v21, s30, v20
	global_store_b32 v[22:23], v21, off offset:64
	global_load_b32 v20, v[34:35], off offset:128
	s_wait_loadcnt 0x0
	v_mul_f32_e32 v20, s33, v20
	s_delay_alu instid0(VALU_DEP_1) | instskip(SKIP_4) | instid1(VALU_DEP_1)
	v_fmac_f32_e32 v20, s30, v19
	global_store_b32 v[22:23], v20, off offset:128
	global_load_b32 v19, v[34:35], off offset:192
	s_wait_xcnt 0x1
	v_add_nc_u64_e32 v[20:21], s[14:15], v[24:25]
	v_add_nc_u64_e32 v[24:25], v[20:21], v[8:9]
	s_wait_loadcnt 0x0
	v_mul_f32_e32 v19, s33, v19
	s_delay_alu instid0(VALU_DEP_1)
	v_fmac_f32_e32 v19, s30, v18
	global_store_b32 v[22:23], v19, off offset:192
	global_load_b32 v22, v[24:25], off
	v_add_nc_u64_e32 v[18:19], s[12:13], v[26:27]
	s_wait_loadcnt 0x0
	v_mul_f32_e32 v26, s33, v22
	s_delay_alu instid0(VALU_DEP_2) | instskip(NEXT) | instid1(VALU_DEP_2)
	v_add_nc_u64_e32 v[22:23], v[18:19], v[8:9]
	v_fmac_f32_e32 v26, s30, v17
	global_store_b32 v[22:23], v26, off
	global_load_b32 v17, v[24:25], off offset:64
	s_wait_loadcnt 0x0
	v_mul_f32_e32 v17, s33, v17
	s_delay_alu instid0(VALU_DEP_1) | instskip(SKIP_4) | instid1(VALU_DEP_1)
	v_fmac_f32_e32 v17, s30, v16
	global_store_b32 v[22:23], v17, off offset:64
	global_load_b32 v16, v[24:25], off offset:128
	s_wait_loadcnt 0x0
	v_mul_f32_e32 v16, s33, v16
	v_fmac_f32_e32 v16, s30, v15
	global_store_b32 v[22:23], v16, off offset:128
	global_load_b32 v15, v[24:25], off offset:192
	s_wait_xcnt 0x1
	v_add_nc_u64_e32 v[16:17], s[14:15], v[20:21]
	s_delay_alu instid0(VALU_DEP_1) | instskip(SKIP_2) | instid1(VALU_DEP_1)
	v_add_nc_u64_e32 v[16:17], v[16:17], v[8:9]
	s_wait_loadcnt 0x0
	v_mul_f32_e32 v15, s33, v15
	v_fmac_f32_e32 v15, s30, v14
	global_store_b32 v[22:23], v15, off offset:192
	global_load_b32 v20, v[16:17], off
	s_wait_xcnt 0x1
	v_add_nc_u64_e32 v[14:15], s[12:13], v[18:19]
	s_delay_alu instid0(VALU_DEP_1) | instskip(SKIP_2) | instid1(VALU_DEP_1)
	v_add_nc_u64_e32 v[14:15], v[14:15], v[8:9]
	s_wait_loadcnt 0x0
	v_mul_f32_e32 v18, s33, v20
	v_fmac_f32_e32 v18, s30, v13
	global_store_b32 v[14:15], v18, off
	global_load_b32 v13, v[16:17], off offset:64
	s_wait_loadcnt 0x0
	v_mul_f32_e32 v13, s33, v13
	s_delay_alu instid0(VALU_DEP_1) | instskip(SKIP_4) | instid1(VALU_DEP_1)
	v_fmac_f32_e32 v13, s30, v12
	global_store_b32 v[14:15], v13, off offset:64
	global_load_b32 v12, v[16:17], off offset:128
	s_wait_loadcnt 0x0
	v_mul_f32_e32 v12, s33, v12
	v_fmac_f32_e32 v12, s30, v11
	global_store_b32 v[14:15], v12, off offset:128
	global_load_b32 v11, v[16:17], off offset:192
	s_wait_loadcnt 0x0
	v_mul_f32_e32 v11, s33, v11
	s_delay_alu instid0(VALU_DEP_1)
	v_fmac_f32_e32 v11, s30, v10
	global_store_b32 v[14:15], v11, off offset:192
	s_branch .LBB446_2
.LBB446_10:
	s_sendmsg sendmsg(MSG_DEALLOC_VGPRS)
	s_endpgm
	.section	.rodata,"a",@progbits
	.p2align	6, 0x0
	.amdhsa_kernel _ZN12_GLOBAL__N_127rocblas_gemm_batched_kernelIfLi16ELi16ELi64ELi64ELi4ELi64ELi4ELi4ELi64ELc84ELc78EK16rocblas_bfloat16KffEEvlllT_PT11_llS6_llS4_PT12_llPT13_lli
		.amdhsa_group_segment_fixed_size 2048
		.amdhsa_private_segment_fixed_size 0
		.amdhsa_kernarg_size 140
		.amdhsa_user_sgpr_count 2
		.amdhsa_user_sgpr_dispatch_ptr 0
		.amdhsa_user_sgpr_queue_ptr 0
		.amdhsa_user_sgpr_kernarg_segment_ptr 1
		.amdhsa_user_sgpr_dispatch_id 0
		.amdhsa_user_sgpr_kernarg_preload_length 0
		.amdhsa_user_sgpr_kernarg_preload_offset 0
		.amdhsa_user_sgpr_private_segment_size 0
		.amdhsa_wavefront_size32 1
		.amdhsa_uses_dynamic_stack 0
		.amdhsa_enable_private_segment 0
		.amdhsa_system_sgpr_workgroup_id_x 1
		.amdhsa_system_sgpr_workgroup_id_y 1
		.amdhsa_system_sgpr_workgroup_id_z 1
		.amdhsa_system_sgpr_workgroup_info 0
		.amdhsa_system_vgpr_workitem_id 1
		.amdhsa_next_free_vgpr 74
		.amdhsa_next_free_sgpr 38
		.amdhsa_named_barrier_count 0
		.amdhsa_reserve_vcc 1
		.amdhsa_float_round_mode_32 0
		.amdhsa_float_round_mode_16_64 0
		.amdhsa_float_denorm_mode_32 3
		.amdhsa_float_denorm_mode_16_64 3
		.amdhsa_fp16_overflow 0
		.amdhsa_memory_ordered 1
		.amdhsa_forward_progress 1
		.amdhsa_inst_pref_size 19
		.amdhsa_round_robin_scheduling 0
		.amdhsa_exception_fp_ieee_invalid_op 0
		.amdhsa_exception_fp_denorm_src 0
		.amdhsa_exception_fp_ieee_div_zero 0
		.amdhsa_exception_fp_ieee_overflow 0
		.amdhsa_exception_fp_ieee_underflow 0
		.amdhsa_exception_fp_ieee_inexact 0
		.amdhsa_exception_int_div_zero 0
	.end_amdhsa_kernel
	.section	.text._ZN12_GLOBAL__N_127rocblas_gemm_batched_kernelIfLi16ELi16ELi64ELi64ELi4ELi64ELi4ELi4ELi64ELc84ELc78EK16rocblas_bfloat16KffEEvlllT_PT11_llS6_llS4_PT12_llPT13_lli,"axG",@progbits,_ZN12_GLOBAL__N_127rocblas_gemm_batched_kernelIfLi16ELi16ELi64ELi64ELi4ELi64ELi4ELi4ELi64ELc84ELc78EK16rocblas_bfloat16KffEEvlllT_PT11_llS6_llS4_PT12_llPT13_lli,comdat
.Lfunc_end446:
	.size	_ZN12_GLOBAL__N_127rocblas_gemm_batched_kernelIfLi16ELi16ELi64ELi64ELi4ELi64ELi4ELi4ELi64ELc84ELc78EK16rocblas_bfloat16KffEEvlllT_PT11_llS6_llS4_PT12_llPT13_lli, .Lfunc_end446-_ZN12_GLOBAL__N_127rocblas_gemm_batched_kernelIfLi16ELi16ELi64ELi64ELi4ELi64ELi4ELi4ELi64ELc84ELc78EK16rocblas_bfloat16KffEEvlllT_PT11_llS6_llS4_PT12_llPT13_lli
                                        ; -- End function
	.set _ZN12_GLOBAL__N_127rocblas_gemm_batched_kernelIfLi16ELi16ELi64ELi64ELi4ELi64ELi4ELi4ELi64ELc84ELc78EK16rocblas_bfloat16KffEEvlllT_PT11_llS6_llS4_PT12_llPT13_lli.num_vgpr, 74
	.set _ZN12_GLOBAL__N_127rocblas_gemm_batched_kernelIfLi16ELi16ELi64ELi64ELi4ELi64ELi4ELi4ELi64ELc84ELc78EK16rocblas_bfloat16KffEEvlllT_PT11_llS6_llS4_PT12_llPT13_lli.num_agpr, 0
	.set _ZN12_GLOBAL__N_127rocblas_gemm_batched_kernelIfLi16ELi16ELi64ELi64ELi4ELi64ELi4ELi4ELi64ELc84ELc78EK16rocblas_bfloat16KffEEvlllT_PT11_llS6_llS4_PT12_llPT13_lli.numbered_sgpr, 38
	.set _ZN12_GLOBAL__N_127rocblas_gemm_batched_kernelIfLi16ELi16ELi64ELi64ELi4ELi64ELi4ELi4ELi64ELc84ELc78EK16rocblas_bfloat16KffEEvlllT_PT11_llS6_llS4_PT12_llPT13_lli.num_named_barrier, 0
	.set _ZN12_GLOBAL__N_127rocblas_gemm_batched_kernelIfLi16ELi16ELi64ELi64ELi4ELi64ELi4ELi4ELi64ELc84ELc78EK16rocblas_bfloat16KffEEvlllT_PT11_llS6_llS4_PT12_llPT13_lli.private_seg_size, 0
	.set _ZN12_GLOBAL__N_127rocblas_gemm_batched_kernelIfLi16ELi16ELi64ELi64ELi4ELi64ELi4ELi4ELi64ELc84ELc78EK16rocblas_bfloat16KffEEvlllT_PT11_llS6_llS4_PT12_llPT13_lli.uses_vcc, 1
	.set _ZN12_GLOBAL__N_127rocblas_gemm_batched_kernelIfLi16ELi16ELi64ELi64ELi4ELi64ELi4ELi4ELi64ELc84ELc78EK16rocblas_bfloat16KffEEvlllT_PT11_llS6_llS4_PT12_llPT13_lli.uses_flat_scratch, 0
	.set _ZN12_GLOBAL__N_127rocblas_gemm_batched_kernelIfLi16ELi16ELi64ELi64ELi4ELi64ELi4ELi4ELi64ELc84ELc78EK16rocblas_bfloat16KffEEvlllT_PT11_llS6_llS4_PT12_llPT13_lli.has_dyn_sized_stack, 0
	.set _ZN12_GLOBAL__N_127rocblas_gemm_batched_kernelIfLi16ELi16ELi64ELi64ELi4ELi64ELi4ELi4ELi64ELc84ELc78EK16rocblas_bfloat16KffEEvlllT_PT11_llS6_llS4_PT12_llPT13_lli.has_recursion, 0
	.set _ZN12_GLOBAL__N_127rocblas_gemm_batched_kernelIfLi16ELi16ELi64ELi64ELi4ELi64ELi4ELi4ELi64ELc84ELc78EK16rocblas_bfloat16KffEEvlllT_PT11_llS6_llS4_PT12_llPT13_lli.has_indirect_call, 0
	.section	.AMDGPU.csdata,"",@progbits
; Kernel info:
; codeLenInByte = 2348
; TotalNumSgprs: 40
; NumVgprs: 74
; ScratchSize: 0
; MemoryBound: 0
; FloatMode: 240
; IeeeMode: 1
; LDSByteSize: 2048 bytes/workgroup (compile time only)
; SGPRBlocks: 0
; VGPRBlocks: 4
; NumSGPRsForWavesPerEU: 40
; NumVGPRsForWavesPerEU: 74
; NamedBarCnt: 0
; Occupancy: 12
; WaveLimiterHint : 0
; COMPUTE_PGM_RSRC2:SCRATCH_EN: 0
; COMPUTE_PGM_RSRC2:USER_SGPR: 2
; COMPUTE_PGM_RSRC2:TRAP_HANDLER: 0
; COMPUTE_PGM_RSRC2:TGID_X_EN: 1
; COMPUTE_PGM_RSRC2:TGID_Y_EN: 1
; COMPUTE_PGM_RSRC2:TGID_Z_EN: 1
; COMPUTE_PGM_RSRC2:TIDIG_COMP_CNT: 1
	.section	.text._ZN12_GLOBAL__N_127rocblas_gemm_batched_kernelIfLi16ELi16ELi64ELi64ELi4ELi64ELi4ELi4ELi64ELc78ELc84EK16rocblas_bfloat16KffEEvlllT_PT11_llS6_llS4_PT12_llPT13_lli,"axG",@progbits,_ZN12_GLOBAL__N_127rocblas_gemm_batched_kernelIfLi16ELi16ELi64ELi64ELi4ELi64ELi4ELi4ELi64ELc78ELc84EK16rocblas_bfloat16KffEEvlllT_PT11_llS6_llS4_PT12_llPT13_lli,comdat
	.globl	_ZN12_GLOBAL__N_127rocblas_gemm_batched_kernelIfLi16ELi16ELi64ELi64ELi4ELi64ELi4ELi4ELi64ELc78ELc84EK16rocblas_bfloat16KffEEvlllT_PT11_llS6_llS4_PT12_llPT13_lli ; -- Begin function _ZN12_GLOBAL__N_127rocblas_gemm_batched_kernelIfLi16ELi16ELi64ELi64ELi4ELi64ELi4ELi4ELi64ELc78ELc84EK16rocblas_bfloat16KffEEvlllT_PT11_llS6_llS4_PT12_llPT13_lli
	.p2align	8
	.type	_ZN12_GLOBAL__N_127rocblas_gemm_batched_kernelIfLi16ELi16ELi64ELi64ELi4ELi64ELi4ELi4ELi64ELc78ELc84EK16rocblas_bfloat16KffEEvlllT_PT11_llS6_llS4_PT12_llPT13_lli,@function
_ZN12_GLOBAL__N_127rocblas_gemm_batched_kernelIfLi16ELi16ELi64ELi64ELi4ELi64ELi4ELi4ELi64ELc78ELc84EK16rocblas_bfloat16KffEEvlllT_PT11_llS6_llS4_PT12_llPT13_lli: ; @_ZN12_GLOBAL__N_127rocblas_gemm_batched_kernelIfLi16ELi16ELi64ELi64ELi4ELi64ELi4ELi4ELi64ELc78ELc84EK16rocblas_bfloat16KffEEvlllT_PT11_llS6_llS4_PT12_llPT13_lli
; %bb.0:
	s_load_b32 s31, s[0:1], 0x88
	s_bfe_u32 s2, ttmp6, 0x40014
	s_lshr_b32 s3, ttmp7, 16
	s_add_co_i32 s2, s2, 1
	s_bfe_u32 s4, ttmp6, 0x40008
	s_mul_i32 s2, s3, s2
	s_getreg_b32 s20, hwreg(HW_REG_IB_STS2, 6, 4)
	s_add_co_i32 s4, s4, s2
	s_cmp_eq_u32 s20, 0
	s_cselect_b32 s2, s3, s4
	s_mov_b32 s3, 0
	s_wait_kmcnt 0x0
	s_cmp_ge_i32 s2, s31
	s_cbranch_scc1 .LBB447_10
; %bb.1:
	s_bfe_u32 s21, ttmp6, 0x4000c
	s_bfe_u32 s23, ttmp6, 0x40010
	s_clause 0x2
	s_load_b256 s[12:19], s[0:1], 0x20
	s_load_b128 s[24:27], s[0:1], 0x40
	s_load_b256 s[4:11], s[0:1], 0x58
	s_add_co_i32 s21, s21, 1
	s_and_b32 s28, ttmp7, 0xffff
	s_add_co_i32 s23, s23, 1
	s_and_b32 s22, ttmp6, 15
	s_mul_i32 s21, ttmp9, s21
	s_mul_i32 s23, s28, s23
	s_bfe_u32 s29, ttmp6, 0x40004
	s_add_co_i32 s22, s22, s21
	s_add_co_i32 s29, s29, s23
	s_cmp_eq_u32 s20, 0
	v_bfe_u32 v2, v0, 10, 10
	v_mov_b32_e32 v3, 0
	s_cselect_b32 s20, s28, s29
	s_cselect_b32 s28, ttmp9, s22
	s_lshl_b32 s34, s20, 6
	s_load_b128 s[20:23], s[0:1], 0x78
	s_mov_b32 s35, s3
	v_and_b32_e32 v4, 0x3ff, v0
	v_lshlrev_b32_e32 v16, 4, v2
	v_add_nc_u64_e32 v[6:7], s[34:35], v[2:3]
	v_mov_b32_e32 v9, v3
	s_ashr_i32 s29, s28, 31
	s_load_b32 s33, s[0:1], 0x50
	v_add_nc_u32_e32 v1, v16, v4
	v_and_b32_e32 v5, 3, v0
	s_lshl_b64 s[36:37], s[28:29], 6
	s_wait_kmcnt 0x0
	v_mul_u64_e32 v[10:11], s[6:7], v[6:7]
	s_load_b96 s[28:30], s[0:1], 0x10
	v_dual_lshrrev_b32 v8, 2, v1 :: v_dual_lshrrev_b32 v17, 6, v1
	v_dual_lshlrev_b32 v32, 2, v4 :: v_dual_bitop2_b32 v2, 63, v1 bitop3:0x40
	v_add_nc_u32_e32 v33, 0x400, v16
	s_delay_alu instid0(VALU_DEP_3) | instskip(NEXT) | instid1(VALU_DEP_4)
	v_mad_nc_u64_u32 v[12:13], s24, v5, v[8:9]
	v_mad_nc_u64_u32 v[14:15], s14, v17, s[36:37]
	v_mul_u64_e32 v[0:1], s[20:21], v[6:7]
	v_dual_lshlrev_b32 v9, 2, v5 :: v_dual_lshlrev_b32 v6, 2, v2
	s_delay_alu instid0(VALU_DEP_1) | instskip(NEXT) | instid1(VALU_DEP_2)
	v_lshl_or_b32 v7, v8, 4, v9
	v_lshl_or_b32 v30, v17, 8, v6
	s_cmp_eq_f32 s33, 0
	v_mad_u32 v13, s25, v5, v13
	v_mad_u32 v15, s15, v17, v15
	v_mov_b32_e32 v5, v3
	s_wait_kmcnt 0x0
	v_cmp_gt_i64_e64 s0, s[28:29], 0
	v_add_nc_u32_e32 v31, 0x400, v7
	s_cselect_b32 s1, -1, 0
	s_lshl_b64 s[20:21], s[20:21], 4
	v_add_nc_u64_e32 v[8:9], s[36:37], v[4:5]
	s_lshl_b64 s[14:15], s[14:15], 3
	v_add_nc_u64_e32 v[6:7], s[34:35], v[12:13]
	v_add_nc_u64_e32 v[12:13], v[14:15], v[2:3]
	s_lshl_b64 s[34:35], s[6:7], 4
	v_lshl_add_u64 v[2:3], v[10:11], 2, s[4:5]
	v_cndmask_b32_e64 v10, 0, 1, s0
	v_lshlrev_b64_e32 v[8:9], 2, v[8:9]
	s_lshl_b64 s[4:5], s[26:27], 1
	v_lshl_add_u64 v[4:5], v[6:7], 1, s[18:19]
	v_lshl_add_u64 v[6:7], v[12:13], 1, s[12:13]
	v_cmp_ne_u32_e64 s0, 1, v10
	s_lshl_b64 s[6:7], s[24:25], 3
	s_lshl_b64 s[12:13], s[16:17], 1
	;; [unrolled: 1-line block ×4, first 2 shown]
	s_branch .LBB447_3
.LBB447_2:                              ;   in Loop: Header=BB447_3 Depth=1
	s_add_co_i32 s2, s2, 0x10000
	s_delay_alu instid0(SALU_CYCLE_1)
	s_cmp_lt_i32 s2, s31
	s_cbranch_scc0 .LBB447_10
.LBB447_3:                              ; =>This Loop Header: Depth=1
                                        ;     Child Loop BB447_5 Depth 2
	v_dual_mov_b32 v25, 0 :: v_dual_mov_b32 v24, 0
	v_dual_mov_b32 v23, 0 :: v_dual_mov_b32 v22, 0
	;; [unrolled: 1-line block ×3, first 2 shown]
	s_wait_xcnt 0x6
	v_dual_mov_b32 v19, 0 :: v_dual_mov_b32 v18, 0
	s_wait_xcnt 0x1
	v_dual_mov_b32 v17, 0 :: v_dual_mov_b32 v16, 0
	;; [unrolled: 2-line block ×3, first 2 shown]
	v_dual_mov_b32 v13, 0 :: v_dual_mov_b32 v12, 0
	v_dual_mov_b32 v11, 0 :: v_dual_mov_b32 v10, 0
	s_and_b32 vcc_lo, exec_lo, s0
	s_cbranch_vccnz .LBB447_6
; %bb.4:                                ;   in Loop: Header=BB447_3 Depth=1
	v_mad_nc_u64_u32 v[26:27], s4, s2, v[4:5]
	v_mad_nc_u64_u32 v[28:29], s12, s2, v[6:7]
	v_mov_b32_e32 v10, 0
	s_mov_b64 s[20:21], 0
	s_delay_alu instid0(VALU_DEP_1)
	v_dual_mov_b32 v11, v10 :: v_dual_mov_b32 v12, v10
	v_dual_mov_b32 v13, v10 :: v_dual_mov_b32 v14, v10
	v_mad_u32 v27, s5, s2, v27
	v_mad_u32 v29, s13, s2, v29
	v_dual_mov_b32 v15, v10 :: v_dual_mov_b32 v16, v10
	v_dual_mov_b32 v17, v10 :: v_dual_mov_b32 v18, v10
	v_dual_mov_b32 v19, v10 :: v_dual_mov_b32 v20, v10
	v_dual_mov_b32 v21, v10 :: v_dual_mov_b32 v22, v10
	v_dual_mov_b32 v23, v10 :: v_dual_mov_b32 v24, v10
	v_mov_b32_e32 v25, v10
.LBB447_5:                              ;   Parent Loop BB447_3 Depth=1
                                        ; =>  This Inner Loop Header: Depth=2
	global_load_u16 v34, v[28:29], off
	global_load_u16 v35, v[26:27], off
	s_add_nc_u64 s[20:21], s[20:21], 4
	s_wait_xcnt 0x0
	v_add_nc_u64_e32 v[26:27], s[6:7], v[26:27]
	v_cmp_lt_i64_e64 s24, s[20:21], s[28:29]
	v_add_nc_u64_e32 v[28:29], s[14:15], v[28:29]
	s_and_b32 vcc_lo, exec_lo, s24
	s_wait_loadcnt 0x0
	v_dual_lshlrev_b32 v34, 16, v34 :: v_dual_lshlrev_b32 v35, 16, v35
	ds_store_b32 v30, v34
	ds_store_b32 v31, v35
	s_wait_dscnt 0x0
	s_barrier_signal -1
	s_barrier_wait -1
	ds_load_2addr_b32 v[50:51], v32 offset1:16
	ds_load_2addr_b32 v[52:53], v32 offset0:64 offset1:80
	ds_load_2addr_b32 v[54:55], v32 offset0:128 offset1:144
	;; [unrolled: 1-line block ×6, first 2 shown]
	ds_load_b128 v[34:37], v33
	ds_load_b128 v[38:41], v33 offset:256
	ds_load_2addr_b32 v[64:65], v32 offset0:224 offset1:240
	ds_load_b128 v[42:45], v33 offset:512
	ds_load_b128 v[46:49], v33 offset:768
	s_wait_dscnt 0x0
	s_barrier_signal -1
	s_barrier_wait -1
	v_dual_mov_b32 v66, v51 :: v_dual_mov_b32 v67, v50
	v_dual_mov_b32 v50, v53 :: v_dual_mov_b32 v51, v52
	;; [unrolled: 1-line block ×6, first 2 shown]
	v_pk_fma_f32 v[24:25], v[66:67], v[34:35], v[24:25] op_sel_hi:[1,0,1]
	v_pk_fma_f32 v[20:21], v[66:67], v[38:39], v[20:21] op_sel_hi:[1,0,1]
	s_delay_alu instid0(VALU_DEP_4)
	v_pk_fma_f32 v[22:23], v[56:57], v[34:35], v[22:23] op_sel_hi:[1,0,1]
	v_pk_fma_f32 v[16:17], v[66:67], v[42:43], v[16:17] op_sel_hi:[1,0,1]
	;; [unrolled: 1-line block ×6, first 2 shown]
	v_dual_mov_b32 v60, v63 :: v_dual_mov_b32 v61, v62
	v_pk_fma_f32 v[24:25], v[50:51], v[34:35], v[24:25] op_sel:[0,1,0]
	v_pk_fma_f32 v[22:23], v[58:59], v[34:35], v[22:23] op_sel:[0,1,0]
	;; [unrolled: 1-line block ×8, first 2 shown]
	v_dual_mov_b32 v62, v37 :: v_dual_mov_b32 v68, v65
	v_dual_mov_b32 v69, v64 :: v_dual_mov_b32 v64, v41
	;; [unrolled: 1-line block ×3, first 2 shown]
	v_pk_fma_f32 v[24:25], v[52:53], v[36:37], v[24:25] op_sel_hi:[1,0,1]
	v_pk_fma_f32 v[22:23], v[60:61], v[36:37], v[22:23] op_sel_hi:[1,0,1]
	;; [unrolled: 1-line block ×16, first 2 shown]
	s_cbranch_vccnz .LBB447_5
.LBB447_6:                              ;   in Loop: Header=BB447_3 Depth=1
	s_mul_u64 s[20:21], s[22:23], s[2:3]
	s_and_not1_b32 vcc_lo, exec_lo, s1
	s_lshl_b64 s[20:21], s[20:21], 2
	s_delay_alu instid0(SALU_CYCLE_1) | instskip(NEXT) | instid1(SALU_CYCLE_1)
	s_add_nc_u64 s[20:21], s[10:11], s[20:21]
	v_lshl_add_u64 v[26:27], v[0:1], 2, s[20:21]
	s_delay_alu instid0(VALU_DEP_1)
	v_add_nc_u64_e32 v[28:29], v[26:27], v[8:9]
	v_add_nc_u64_e32 v[26:27], s[16:17], v[26:27]
	s_cbranch_vccnz .LBB447_8
; %bb.7:                                ;   in Loop: Header=BB447_3 Depth=1
	v_dual_mul_f32 v36, s30, v25 :: v_dual_mul_f32 v37, s30, v24
	s_delay_alu instid0(VALU_DEP_2)
	v_add_nc_u64_e32 v[34:35], s[16:17], v[26:27]
	v_dual_mul_f32 v38, s30, v23 :: v_dual_mul_f32 v39, s30, v22
	s_clause 0x3
	global_store_b32 v[28:29], v36, off
	global_store_b32 v[28:29], v37, off offset:64
	global_store_b32 v[28:29], v38, off offset:128
	;; [unrolled: 1-line block ×3, first 2 shown]
	s_wait_xcnt 0x2
	v_add_nc_u64_e32 v[36:37], v[26:27], v[8:9]
	v_dual_mul_f32 v40, s30, v21 :: v_dual_mul_f32 v41, s30, v20
	s_wait_xcnt 0x0
	v_add_nc_u64_e32 v[38:39], v[34:35], v[8:9]
	v_add_nc_u64_e32 v[34:35], s[16:17], v[34:35]
	v_dual_mul_f32 v42, s30, v19 :: v_dual_mul_f32 v43, s30, v18
	s_clause 0x3
	global_store_b32 v[36:37], v40, off
	global_store_b32 v[36:37], v41, off offset:64
	global_store_b32 v[36:37], v42, off offset:128
	;; [unrolled: 1-line block ×3, first 2 shown]
	s_wait_xcnt 0x0
	v_dual_mul_f32 v36, s30, v17 :: v_dual_mul_f32 v37, s30, v16
	v_dual_mul_f32 v40, s30, v15 :: v_dual_mul_f32 v41, s30, v14
	v_add_nc_u64_e32 v[34:35], v[34:35], v[8:9]
	s_clause 0x3
	global_store_b32 v[38:39], v36, off
	global_store_b32 v[38:39], v37, off offset:64
	global_store_b32 v[38:39], v40, off offset:128
	;; [unrolled: 1-line block ×3, first 2 shown]
	s_wait_xcnt 0x2
	v_dual_mul_f32 v36, s30, v13 :: v_dual_mul_f32 v37, s30, v12
	s_wait_xcnt 0x0
	v_dual_mul_f32 v38, s30, v11 :: v_dual_mul_f32 v39, s30, v10
	s_clause 0x3
	global_store_b32 v[34:35], v36, off
	global_store_b32 v[34:35], v37, off offset:64
	global_store_b32 v[34:35], v38, off offset:128
	;; [unrolled: 1-line block ×3, first 2 shown]
	s_cbranch_execnz .LBB447_2
	s_branch .LBB447_9
.LBB447_8:                              ;   in Loop: Header=BB447_3 Depth=1
.LBB447_9:                              ;   in Loop: Header=BB447_3 Depth=1
	s_mul_u64 s[20:21], s[8:9], s[2:3]
	s_wait_xcnt 0x0
	v_lshl_add_u64 v[34:35], s[20:21], 2, v[2:3]
	s_delay_alu instid0(VALU_DEP_1) | instskip(SKIP_3) | instid1(VALU_DEP_1)
	v_add_nc_u64_e32 v[36:37], v[34:35], v[8:9]
	global_load_b32 v38, v[36:37], off
	s_wait_loadcnt 0x0
	v_mul_f32_e32 v38, s33, v38
	v_fmac_f32_e32 v38, s30, v25
	global_store_b32 v[28:29], v38, off
	global_load_b32 v25, v[36:37], off offset:64
	s_wait_loadcnt 0x0
	v_mul_f32_e32 v25, s33, v25
	s_delay_alu instid0(VALU_DEP_1) | instskip(SKIP_4) | instid1(VALU_DEP_1)
	v_fmac_f32_e32 v25, s30, v24
	global_store_b32 v[28:29], v25, off offset:64
	global_load_b32 v24, v[36:37], off offset:128
	s_wait_loadcnt 0x0
	v_mul_f32_e32 v24, s33, v24
	v_fmac_f32_e32 v24, s30, v23
	global_store_b32 v[28:29], v24, off offset:128
	global_load_b32 v23, v[36:37], off offset:192
	s_wait_xcnt 0x1
	v_add_nc_u64_e32 v[24:25], s[18:19], v[34:35]
	s_delay_alu instid0(VALU_DEP_1) | instskip(SKIP_2) | instid1(VALU_DEP_1)
	v_add_nc_u64_e32 v[34:35], v[24:25], v[8:9]
	s_wait_loadcnt 0x0
	v_mul_f32_e32 v23, s33, v23
	v_fmac_f32_e32 v23, s30, v22
	global_store_b32 v[28:29], v23, off offset:192
	global_load_b32 v22, v[34:35], off
	s_wait_loadcnt 0x0
	s_wait_xcnt 0x1
	v_mul_f32_e32 v28, s33, v22
	v_add_nc_u64_e32 v[22:23], v[26:27], v[8:9]
	s_delay_alu instid0(VALU_DEP_2) | instskip(SKIP_4) | instid1(VALU_DEP_1)
	v_fmac_f32_e32 v28, s30, v21
	global_store_b32 v[22:23], v28, off
	global_load_b32 v21, v[34:35], off offset:64
	s_wait_loadcnt 0x0
	v_mul_f32_e32 v21, s33, v21
	v_fmac_f32_e32 v21, s30, v20
	global_store_b32 v[22:23], v21, off offset:64
	global_load_b32 v20, v[34:35], off offset:128
	s_wait_loadcnt 0x0
	v_mul_f32_e32 v20, s33, v20
	s_delay_alu instid0(VALU_DEP_1) | instskip(SKIP_4) | instid1(VALU_DEP_1)
	v_fmac_f32_e32 v20, s30, v19
	global_store_b32 v[22:23], v20, off offset:128
	global_load_b32 v19, v[34:35], off offset:192
	s_wait_xcnt 0x1
	v_add_nc_u64_e32 v[20:21], s[18:19], v[24:25]
	v_add_nc_u64_e32 v[24:25], v[20:21], v[8:9]
	s_wait_loadcnt 0x0
	v_mul_f32_e32 v19, s33, v19
	s_delay_alu instid0(VALU_DEP_1)
	v_fmac_f32_e32 v19, s30, v18
	global_store_b32 v[22:23], v19, off offset:192
	global_load_b32 v22, v[24:25], off
	v_add_nc_u64_e32 v[18:19], s[16:17], v[26:27]
	s_wait_loadcnt 0x0
	v_mul_f32_e32 v26, s33, v22
	s_delay_alu instid0(VALU_DEP_2) | instskip(NEXT) | instid1(VALU_DEP_2)
	v_add_nc_u64_e32 v[22:23], v[18:19], v[8:9]
	v_fmac_f32_e32 v26, s30, v17
	global_store_b32 v[22:23], v26, off
	global_load_b32 v17, v[24:25], off offset:64
	s_wait_loadcnt 0x0
	v_mul_f32_e32 v17, s33, v17
	s_delay_alu instid0(VALU_DEP_1) | instskip(SKIP_4) | instid1(VALU_DEP_1)
	v_fmac_f32_e32 v17, s30, v16
	global_store_b32 v[22:23], v17, off offset:64
	global_load_b32 v16, v[24:25], off offset:128
	s_wait_loadcnt 0x0
	v_mul_f32_e32 v16, s33, v16
	v_fmac_f32_e32 v16, s30, v15
	global_store_b32 v[22:23], v16, off offset:128
	global_load_b32 v15, v[24:25], off offset:192
	s_wait_xcnt 0x1
	v_add_nc_u64_e32 v[16:17], s[18:19], v[20:21]
	s_delay_alu instid0(VALU_DEP_1) | instskip(SKIP_2) | instid1(VALU_DEP_1)
	v_add_nc_u64_e32 v[16:17], v[16:17], v[8:9]
	s_wait_loadcnt 0x0
	v_mul_f32_e32 v15, s33, v15
	v_fmac_f32_e32 v15, s30, v14
	global_store_b32 v[22:23], v15, off offset:192
	global_load_b32 v20, v[16:17], off
	s_wait_xcnt 0x1
	v_add_nc_u64_e32 v[14:15], s[16:17], v[18:19]
	s_delay_alu instid0(VALU_DEP_1) | instskip(SKIP_2) | instid1(VALU_DEP_1)
	v_add_nc_u64_e32 v[14:15], v[14:15], v[8:9]
	s_wait_loadcnt 0x0
	v_mul_f32_e32 v18, s33, v20
	v_fmac_f32_e32 v18, s30, v13
	global_store_b32 v[14:15], v18, off
	global_load_b32 v13, v[16:17], off offset:64
	s_wait_loadcnt 0x0
	v_mul_f32_e32 v13, s33, v13
	s_delay_alu instid0(VALU_DEP_1) | instskip(SKIP_4) | instid1(VALU_DEP_1)
	v_fmac_f32_e32 v13, s30, v12
	global_store_b32 v[14:15], v13, off offset:64
	global_load_b32 v12, v[16:17], off offset:128
	s_wait_loadcnt 0x0
	v_mul_f32_e32 v12, s33, v12
	v_fmac_f32_e32 v12, s30, v11
	global_store_b32 v[14:15], v12, off offset:128
	global_load_b32 v11, v[16:17], off offset:192
	s_wait_loadcnt 0x0
	v_mul_f32_e32 v11, s33, v11
	s_delay_alu instid0(VALU_DEP_1)
	v_fmac_f32_e32 v11, s30, v10
	global_store_b32 v[14:15], v11, off offset:192
	s_branch .LBB447_2
.LBB447_10:
	s_sendmsg sendmsg(MSG_DEALLOC_VGPRS)
	s_endpgm
	.section	.rodata,"a",@progbits
	.p2align	6, 0x0
	.amdhsa_kernel _ZN12_GLOBAL__N_127rocblas_gemm_batched_kernelIfLi16ELi16ELi64ELi64ELi4ELi64ELi4ELi4ELi64ELc78ELc84EK16rocblas_bfloat16KffEEvlllT_PT11_llS6_llS4_PT12_llPT13_lli
		.amdhsa_group_segment_fixed_size 2048
		.amdhsa_private_segment_fixed_size 0
		.amdhsa_kernarg_size 140
		.amdhsa_user_sgpr_count 2
		.amdhsa_user_sgpr_dispatch_ptr 0
		.amdhsa_user_sgpr_queue_ptr 0
		.amdhsa_user_sgpr_kernarg_segment_ptr 1
		.amdhsa_user_sgpr_dispatch_id 0
		.amdhsa_user_sgpr_kernarg_preload_length 0
		.amdhsa_user_sgpr_kernarg_preload_offset 0
		.amdhsa_user_sgpr_private_segment_size 0
		.amdhsa_wavefront_size32 1
		.amdhsa_uses_dynamic_stack 0
		.amdhsa_enable_private_segment 0
		.amdhsa_system_sgpr_workgroup_id_x 1
		.amdhsa_system_sgpr_workgroup_id_y 1
		.amdhsa_system_sgpr_workgroup_id_z 1
		.amdhsa_system_sgpr_workgroup_info 0
		.amdhsa_system_vgpr_workitem_id 1
		.amdhsa_next_free_vgpr 74
		.amdhsa_next_free_sgpr 38
		.amdhsa_named_barrier_count 0
		.amdhsa_reserve_vcc 1
		.amdhsa_float_round_mode_32 0
		.amdhsa_float_round_mode_16_64 0
		.amdhsa_float_denorm_mode_32 3
		.amdhsa_float_denorm_mode_16_64 3
		.amdhsa_fp16_overflow 0
		.amdhsa_memory_ordered 1
		.amdhsa_forward_progress 1
		.amdhsa_inst_pref_size 19
		.amdhsa_round_robin_scheduling 0
		.amdhsa_exception_fp_ieee_invalid_op 0
		.amdhsa_exception_fp_denorm_src 0
		.amdhsa_exception_fp_ieee_div_zero 0
		.amdhsa_exception_fp_ieee_overflow 0
		.amdhsa_exception_fp_ieee_underflow 0
		.amdhsa_exception_fp_ieee_inexact 0
		.amdhsa_exception_int_div_zero 0
	.end_amdhsa_kernel
	.section	.text._ZN12_GLOBAL__N_127rocblas_gemm_batched_kernelIfLi16ELi16ELi64ELi64ELi4ELi64ELi4ELi4ELi64ELc78ELc84EK16rocblas_bfloat16KffEEvlllT_PT11_llS6_llS4_PT12_llPT13_lli,"axG",@progbits,_ZN12_GLOBAL__N_127rocblas_gemm_batched_kernelIfLi16ELi16ELi64ELi64ELi4ELi64ELi4ELi4ELi64ELc78ELc84EK16rocblas_bfloat16KffEEvlllT_PT11_llS6_llS4_PT12_llPT13_lli,comdat
.Lfunc_end447:
	.size	_ZN12_GLOBAL__N_127rocblas_gemm_batched_kernelIfLi16ELi16ELi64ELi64ELi4ELi64ELi4ELi4ELi64ELc78ELc84EK16rocblas_bfloat16KffEEvlllT_PT11_llS6_llS4_PT12_llPT13_lli, .Lfunc_end447-_ZN12_GLOBAL__N_127rocblas_gemm_batched_kernelIfLi16ELi16ELi64ELi64ELi4ELi64ELi4ELi4ELi64ELc78ELc84EK16rocblas_bfloat16KffEEvlllT_PT11_llS6_llS4_PT12_llPT13_lli
                                        ; -- End function
	.set _ZN12_GLOBAL__N_127rocblas_gemm_batched_kernelIfLi16ELi16ELi64ELi64ELi4ELi64ELi4ELi4ELi64ELc78ELc84EK16rocblas_bfloat16KffEEvlllT_PT11_llS6_llS4_PT12_llPT13_lli.num_vgpr, 74
	.set _ZN12_GLOBAL__N_127rocblas_gemm_batched_kernelIfLi16ELi16ELi64ELi64ELi4ELi64ELi4ELi4ELi64ELc78ELc84EK16rocblas_bfloat16KffEEvlllT_PT11_llS6_llS4_PT12_llPT13_lli.num_agpr, 0
	.set _ZN12_GLOBAL__N_127rocblas_gemm_batched_kernelIfLi16ELi16ELi64ELi64ELi4ELi64ELi4ELi4ELi64ELc78ELc84EK16rocblas_bfloat16KffEEvlllT_PT11_llS6_llS4_PT12_llPT13_lli.numbered_sgpr, 38
	.set _ZN12_GLOBAL__N_127rocblas_gemm_batched_kernelIfLi16ELi16ELi64ELi64ELi4ELi64ELi4ELi4ELi64ELc78ELc84EK16rocblas_bfloat16KffEEvlllT_PT11_llS6_llS4_PT12_llPT13_lli.num_named_barrier, 0
	.set _ZN12_GLOBAL__N_127rocblas_gemm_batched_kernelIfLi16ELi16ELi64ELi64ELi4ELi64ELi4ELi4ELi64ELc78ELc84EK16rocblas_bfloat16KffEEvlllT_PT11_llS6_llS4_PT12_llPT13_lli.private_seg_size, 0
	.set _ZN12_GLOBAL__N_127rocblas_gemm_batched_kernelIfLi16ELi16ELi64ELi64ELi4ELi64ELi4ELi4ELi64ELc78ELc84EK16rocblas_bfloat16KffEEvlllT_PT11_llS6_llS4_PT12_llPT13_lli.uses_vcc, 1
	.set _ZN12_GLOBAL__N_127rocblas_gemm_batched_kernelIfLi16ELi16ELi64ELi64ELi4ELi64ELi4ELi4ELi64ELc78ELc84EK16rocblas_bfloat16KffEEvlllT_PT11_llS6_llS4_PT12_llPT13_lli.uses_flat_scratch, 0
	.set _ZN12_GLOBAL__N_127rocblas_gemm_batched_kernelIfLi16ELi16ELi64ELi64ELi4ELi64ELi4ELi4ELi64ELc78ELc84EK16rocblas_bfloat16KffEEvlllT_PT11_llS6_llS4_PT12_llPT13_lli.has_dyn_sized_stack, 0
	.set _ZN12_GLOBAL__N_127rocblas_gemm_batched_kernelIfLi16ELi16ELi64ELi64ELi4ELi64ELi4ELi4ELi64ELc78ELc84EK16rocblas_bfloat16KffEEvlllT_PT11_llS6_llS4_PT12_llPT13_lli.has_recursion, 0
	.set _ZN12_GLOBAL__N_127rocblas_gemm_batched_kernelIfLi16ELi16ELi64ELi64ELi4ELi64ELi4ELi4ELi64ELc78ELc84EK16rocblas_bfloat16KffEEvlllT_PT11_llS6_llS4_PT12_llPT13_lli.has_indirect_call, 0
	.section	.AMDGPU.csdata,"",@progbits
; Kernel info:
; codeLenInByte = 2336
; TotalNumSgprs: 40
; NumVgprs: 74
; ScratchSize: 0
; MemoryBound: 0
; FloatMode: 240
; IeeeMode: 1
; LDSByteSize: 2048 bytes/workgroup (compile time only)
; SGPRBlocks: 0
; VGPRBlocks: 4
; NumSGPRsForWavesPerEU: 40
; NumVGPRsForWavesPerEU: 74
; NamedBarCnt: 0
; Occupancy: 12
; WaveLimiterHint : 0
; COMPUTE_PGM_RSRC2:SCRATCH_EN: 0
; COMPUTE_PGM_RSRC2:USER_SGPR: 2
; COMPUTE_PGM_RSRC2:TRAP_HANDLER: 0
; COMPUTE_PGM_RSRC2:TGID_X_EN: 1
; COMPUTE_PGM_RSRC2:TGID_Y_EN: 1
; COMPUTE_PGM_RSRC2:TGID_Z_EN: 1
; COMPUTE_PGM_RSRC2:TIDIG_COMP_CNT: 1
	.section	.text._ZN12_GLOBAL__N_127rocblas_gemm_batched_kernelIfLi16ELi16ELi64ELi64ELi4ELi64ELi4ELi4ELi64ELc84ELc84EK16rocblas_bfloat16KffEEvlllT_PT11_llS6_llS4_PT12_llPT13_lli,"axG",@progbits,_ZN12_GLOBAL__N_127rocblas_gemm_batched_kernelIfLi16ELi16ELi64ELi64ELi4ELi64ELi4ELi4ELi64ELc84ELc84EK16rocblas_bfloat16KffEEvlllT_PT11_llS6_llS4_PT12_llPT13_lli,comdat
	.globl	_ZN12_GLOBAL__N_127rocblas_gemm_batched_kernelIfLi16ELi16ELi64ELi64ELi4ELi64ELi4ELi4ELi64ELc84ELc84EK16rocblas_bfloat16KffEEvlllT_PT11_llS6_llS4_PT12_llPT13_lli ; -- Begin function _ZN12_GLOBAL__N_127rocblas_gemm_batched_kernelIfLi16ELi16ELi64ELi64ELi4ELi64ELi4ELi4ELi64ELc84ELc84EK16rocblas_bfloat16KffEEvlllT_PT11_llS6_llS4_PT12_llPT13_lli
	.p2align	8
	.type	_ZN12_GLOBAL__N_127rocblas_gemm_batched_kernelIfLi16ELi16ELi64ELi64ELi4ELi64ELi4ELi4ELi64ELc84ELc84EK16rocblas_bfloat16KffEEvlllT_PT11_llS6_llS4_PT12_llPT13_lli,@function
_ZN12_GLOBAL__N_127rocblas_gemm_batched_kernelIfLi16ELi16ELi64ELi64ELi4ELi64ELi4ELi4ELi64ELc84ELc84EK16rocblas_bfloat16KffEEvlllT_PT11_llS6_llS4_PT12_llPT13_lli: ; @_ZN12_GLOBAL__N_127rocblas_gemm_batched_kernelIfLi16ELi16ELi64ELi64ELi4ELi64ELi4ELi4ELi64ELc84ELc84EK16rocblas_bfloat16KffEEvlllT_PT11_llS6_llS4_PT12_llPT13_lli
; %bb.0:
	s_load_b32 s31, s[0:1], 0x88
	s_bfe_u32 s2, ttmp6, 0x40014
	s_lshr_b32 s3, ttmp7, 16
	s_add_co_i32 s2, s2, 1
	s_bfe_u32 s4, ttmp6, 0x40008
	s_mul_i32 s2, s3, s2
	s_getreg_b32 s20, hwreg(HW_REG_IB_STS2, 6, 4)
	s_add_co_i32 s4, s4, s2
	s_cmp_eq_u32 s20, 0
	s_cselect_b32 s2, s3, s4
	s_mov_b32 s3, 0
	s_wait_kmcnt 0x0
	s_cmp_ge_i32 s2, s31
	s_cbranch_scc1 .LBB448_10
; %bb.1:
	s_bfe_u32 s21, ttmp6, 0x4000c
	s_bfe_u32 s23, ttmp6, 0x40010
	s_add_co_i32 s21, s21, 1
	s_and_b32 s28, ttmp7, 0xffff
	s_add_co_i32 s23, s23, 1
	v_bfe_u32 v4, v0, 10, 10
	s_and_b32 s22, ttmp6, 15
	s_mul_i32 s21, ttmp9, s21
	s_mul_i32 s23, s28, s23
	s_bfe_u32 s29, ttmp6, 0x40004
	s_add_co_i32 s22, s22, s21
	s_add_co_i32 s29, s29, s23
	s_cmp_eq_u32 s20, 0
	v_and_b32_e32 v2, 0x3ff, v0
	v_dual_mov_b32 v5, 0 :: v_dual_lshlrev_b32 v16, 4, v4
	s_cselect_b32 s20, ttmp9, s22
	s_clause 0x2
	s_load_b256 s[12:19], s[0:1], 0x20
	s_load_b128 s[24:27], s[0:1], 0x40
	s_load_b256 s[4:11], s[0:1], 0x58
	s_cselect_b32 s22, s28, s29
	s_ashr_i32 s21, s20, 31
	s_lshl_b32 s34, s22, 6
	s_lshl_b64 s[36:37], s[20:21], 6
	v_add_nc_u32_e32 v1, v16, v2
	s_load_b128 s[20:23], s[0:1], 0x78
	s_mov_b32 s35, s3
	v_mov_b32_e32 v9, s37
	v_add_nc_u64_e32 v[6:7], s[34:35], v[4:5]
	v_and_b32_e32 v3, 63, v1
	s_clause 0x1
	s_load_b32 s33, s[0:1], 0x50
	s_load_b96 s[28:30], s[0:1], 0x10
	v_add_nc_u32_e32 v33, 0x400, v16
	v_dual_lshlrev_b32 v32, 2, v2 :: v_dual_bitop2_b32 v8, s36, v3 bitop3:0x54
	v_dual_lshrrev_b32 v10, 2, v1 :: v_dual_bitop2_b32 v4, 3, v0 bitop3:0x40
	v_mov_b32_e32 v11, v5
	s_wait_kmcnt 0x0
	s_delay_alu instid0(VALU_DEP_3)
	v_mul_u64_e32 v[8:9], s[14:15], v[8:9]
	v_mul_u64_e32 v[12:13], s[6:7], v[6:7]
	v_lshlrev_b32_e32 v17, 2, v4
	v_mad_nc_u64_u32 v[14:15], s24, v4, v[10:11]
	v_lshrrev_b32_e32 v11, 6, v1
	v_mul_u64_e32 v[0:1], s[20:21], v[6:7]
	v_dual_mov_b32 v3, v5 :: v_dual_lshlrev_b32 v6, 2, v3
	s_cmp_eq_f32 s33, 0
	v_cmp_gt_i64_e64 s0, s[28:29], 0
	s_delay_alu instid0(VALU_DEP_2)
	v_lshl_or_b32 v30, v11, 8, v6
	v_mad_u32 v15, s25, v4, v15
	v_lshl_or_b32 v4, v10, 4, v17
	s_cselect_b32 s1, -1, 0
	s_lshl_b64 s[14:15], s[20:21], 4
	s_lshl_b64 s[20:21], s[6:7], 4
	;; [unrolled: 1-line block ×3, first 2 shown]
	v_add_nc_u32_e32 v31, 0x400, v4
	v_lshlrev_b32_e32 v4, 1, v11
	v_add_nc_u64_e32 v[10:11], s[36:37], v[2:3]
	s_lshl_b64 s[14:15], s[14:15], 2
	v_add_nc_u64_e32 v[6:7], s[34:35], v[14:15]
	s_delay_alu instid0(VALU_DEP_3) | instskip(SKIP_2) | instid1(VALU_DEP_4)
	v_lshl_add_u64 v[8:9], v[8:9], 1, v[4:5]
	v_lshl_add_u64 v[2:3], v[12:13], 2, s[4:5]
	v_cndmask_b32_e64 v12, 0, 1, s0
	v_lshl_add_u64 v[4:5], v[6:7], 1, s[18:19]
	s_lshl_b64 s[4:5], s[26:27], 1
	v_add_nc_u64_e32 v[6:7], s[12:13], v[8:9]
	v_lshlrev_b64_e32 v[8:9], 2, v[10:11]
	v_cmp_ne_u32_e64 s0, 1, v12
	s_lshl_b64 s[12:13], s[16:17], 1
	s_lshl_b64 s[16:17], s[20:21], 2
	s_branch .LBB448_3
.LBB448_2:                              ;   in Loop: Header=BB448_3 Depth=1
	s_add_co_i32 s2, s2, 0x10000
	s_delay_alu instid0(SALU_CYCLE_1)
	s_cmp_lt_i32 s2, s31
	s_cbranch_scc0 .LBB448_10
.LBB448_3:                              ; =>This Loop Header: Depth=1
                                        ;     Child Loop BB448_5 Depth 2
	v_dual_mov_b32 v25, 0 :: v_dual_mov_b32 v24, 0
	v_dual_mov_b32 v23, 0 :: v_dual_mov_b32 v22, 0
	;; [unrolled: 1-line block ×3, first 2 shown]
	s_wait_xcnt 0x6
	v_dual_mov_b32 v19, 0 :: v_dual_mov_b32 v18, 0
	s_wait_xcnt 0x1
	v_dual_mov_b32 v17, 0 :: v_dual_mov_b32 v16, 0
	;; [unrolled: 2-line block ×3, first 2 shown]
	v_dual_mov_b32 v13, 0 :: v_dual_mov_b32 v12, 0
	v_dual_mov_b32 v11, 0 :: v_dual_mov_b32 v10, 0
	s_and_b32 vcc_lo, exec_lo, s0
	s_cbranch_vccnz .LBB448_6
; %bb.4:                                ;   in Loop: Header=BB448_3 Depth=1
	v_mad_nc_u64_u32 v[26:27], s4, s2, v[4:5]
	v_mad_nc_u64_u32 v[28:29], s12, s2, v[6:7]
	v_mov_b32_e32 v10, 0
	s_mov_b64 s[18:19], 0
	s_delay_alu instid0(VALU_DEP_1)
	v_dual_mov_b32 v11, v10 :: v_dual_mov_b32 v12, v10
	v_dual_mov_b32 v13, v10 :: v_dual_mov_b32 v14, v10
	v_mad_u32 v27, s5, s2, v27
	v_mad_u32 v29, s13, s2, v29
	v_dual_mov_b32 v15, v10 :: v_dual_mov_b32 v16, v10
	v_dual_mov_b32 v17, v10 :: v_dual_mov_b32 v18, v10
	;; [unrolled: 1-line block ×5, first 2 shown]
	v_mov_b32_e32 v25, v10
.LBB448_5:                              ;   Parent Loop BB448_3 Depth=1
                                        ; =>  This Inner Loop Header: Depth=2
	global_load_u16 v34, v[28:29], off
	global_load_u16 v35, v[26:27], off
	s_add_nc_u64 s[18:19], s[18:19], 4
	s_wait_xcnt 0x0
	v_add_nc_u64_e32 v[26:27], s[6:7], v[26:27]
	v_cmp_lt_i64_e64 s20, s[18:19], s[28:29]
	v_add_nc_u64_e32 v[28:29], 8, v[28:29]
	s_and_b32 vcc_lo, exec_lo, s20
	s_wait_loadcnt 0x0
	v_dual_lshlrev_b32 v34, 16, v34 :: v_dual_lshlrev_b32 v35, 16, v35
	ds_store_b32 v30, v34
	ds_store_b32 v31, v35
	s_wait_dscnt 0x0
	s_barrier_signal -1
	s_barrier_wait -1
	ds_load_2addr_b32 v[50:51], v32 offset1:16
	ds_load_2addr_b32 v[52:53], v32 offset0:64 offset1:80
	ds_load_2addr_b32 v[54:55], v32 offset0:128 offset1:144
	;; [unrolled: 1-line block ×6, first 2 shown]
	ds_load_b128 v[34:37], v33
	ds_load_b128 v[38:41], v33 offset:256
	ds_load_2addr_b32 v[64:65], v32 offset0:224 offset1:240
	ds_load_b128 v[42:45], v33 offset:512
	ds_load_b128 v[46:49], v33 offset:768
	s_wait_dscnt 0x0
	s_barrier_signal -1
	s_barrier_wait -1
	v_dual_mov_b32 v66, v51 :: v_dual_mov_b32 v67, v50
	v_dual_mov_b32 v50, v53 :: v_dual_mov_b32 v51, v52
	;; [unrolled: 1-line block ×6, first 2 shown]
	v_pk_fma_f32 v[24:25], v[66:67], v[34:35], v[24:25] op_sel_hi:[1,0,1]
	v_pk_fma_f32 v[20:21], v[66:67], v[38:39], v[20:21] op_sel_hi:[1,0,1]
	s_delay_alu instid0(VALU_DEP_4)
	v_pk_fma_f32 v[22:23], v[56:57], v[34:35], v[22:23] op_sel_hi:[1,0,1]
	v_pk_fma_f32 v[16:17], v[66:67], v[42:43], v[16:17] op_sel_hi:[1,0,1]
	;; [unrolled: 1-line block ×6, first 2 shown]
	v_dual_mov_b32 v60, v63 :: v_dual_mov_b32 v61, v62
	v_pk_fma_f32 v[24:25], v[50:51], v[34:35], v[24:25] op_sel:[0,1,0]
	v_pk_fma_f32 v[22:23], v[58:59], v[34:35], v[22:23] op_sel:[0,1,0]
	;; [unrolled: 1-line block ×8, first 2 shown]
	v_dual_mov_b32 v62, v37 :: v_dual_mov_b32 v68, v65
	v_dual_mov_b32 v69, v64 :: v_dual_mov_b32 v64, v41
	;; [unrolled: 1-line block ×3, first 2 shown]
	v_pk_fma_f32 v[24:25], v[52:53], v[36:37], v[24:25] op_sel_hi:[1,0,1]
	v_pk_fma_f32 v[22:23], v[60:61], v[36:37], v[22:23] op_sel_hi:[1,0,1]
	;; [unrolled: 1-line block ×16, first 2 shown]
	s_cbranch_vccnz .LBB448_5
.LBB448_6:                              ;   in Loop: Header=BB448_3 Depth=1
	s_mul_u64 s[18:19], s[22:23], s[2:3]
	s_and_not1_b32 vcc_lo, exec_lo, s1
	s_lshl_b64 s[18:19], s[18:19], 2
	s_delay_alu instid0(SALU_CYCLE_1) | instskip(NEXT) | instid1(SALU_CYCLE_1)
	s_add_nc_u64 s[18:19], s[10:11], s[18:19]
	v_lshl_add_u64 v[26:27], v[0:1], 2, s[18:19]
	s_delay_alu instid0(VALU_DEP_1)
	v_add_nc_u64_e32 v[28:29], v[26:27], v[8:9]
	v_add_nc_u64_e32 v[26:27], s[14:15], v[26:27]
	s_cbranch_vccnz .LBB448_8
; %bb.7:                                ;   in Loop: Header=BB448_3 Depth=1
	v_dual_mul_f32 v36, s30, v25 :: v_dual_mul_f32 v37, s30, v24
	s_delay_alu instid0(VALU_DEP_2)
	v_add_nc_u64_e32 v[34:35], s[14:15], v[26:27]
	v_dual_mul_f32 v38, s30, v23 :: v_dual_mul_f32 v39, s30, v22
	s_clause 0x3
	global_store_b32 v[28:29], v36, off
	global_store_b32 v[28:29], v37, off offset:64
	global_store_b32 v[28:29], v38, off offset:128
	;; [unrolled: 1-line block ×3, first 2 shown]
	s_wait_xcnt 0x2
	v_add_nc_u64_e32 v[36:37], v[26:27], v[8:9]
	v_dual_mul_f32 v40, s30, v21 :: v_dual_mul_f32 v41, s30, v20
	s_wait_xcnt 0x0
	v_add_nc_u64_e32 v[38:39], v[34:35], v[8:9]
	v_add_nc_u64_e32 v[34:35], s[14:15], v[34:35]
	v_dual_mul_f32 v42, s30, v19 :: v_dual_mul_f32 v43, s30, v18
	s_clause 0x3
	global_store_b32 v[36:37], v40, off
	global_store_b32 v[36:37], v41, off offset:64
	global_store_b32 v[36:37], v42, off offset:128
	;; [unrolled: 1-line block ×3, first 2 shown]
	s_wait_xcnt 0x0
	v_dual_mul_f32 v36, s30, v17 :: v_dual_mul_f32 v37, s30, v16
	v_dual_mul_f32 v40, s30, v15 :: v_dual_mul_f32 v41, s30, v14
	v_add_nc_u64_e32 v[34:35], v[34:35], v[8:9]
	s_clause 0x3
	global_store_b32 v[38:39], v36, off
	global_store_b32 v[38:39], v37, off offset:64
	global_store_b32 v[38:39], v40, off offset:128
	;; [unrolled: 1-line block ×3, first 2 shown]
	s_wait_xcnt 0x2
	v_dual_mul_f32 v36, s30, v13 :: v_dual_mul_f32 v37, s30, v12
	s_wait_xcnt 0x0
	v_dual_mul_f32 v38, s30, v11 :: v_dual_mul_f32 v39, s30, v10
	s_clause 0x3
	global_store_b32 v[34:35], v36, off
	global_store_b32 v[34:35], v37, off offset:64
	global_store_b32 v[34:35], v38, off offset:128
	;; [unrolled: 1-line block ×3, first 2 shown]
	s_cbranch_execnz .LBB448_2
	s_branch .LBB448_9
.LBB448_8:                              ;   in Loop: Header=BB448_3 Depth=1
.LBB448_9:                              ;   in Loop: Header=BB448_3 Depth=1
	s_mul_u64 s[18:19], s[8:9], s[2:3]
	s_wait_xcnt 0x0
	v_lshl_add_u64 v[34:35], s[18:19], 2, v[2:3]
	s_delay_alu instid0(VALU_DEP_1) | instskip(SKIP_3) | instid1(VALU_DEP_1)
	v_add_nc_u64_e32 v[36:37], v[34:35], v[8:9]
	global_load_b32 v38, v[36:37], off
	s_wait_loadcnt 0x0
	v_mul_f32_e32 v38, s33, v38
	v_fmac_f32_e32 v38, s30, v25
	global_store_b32 v[28:29], v38, off
	global_load_b32 v25, v[36:37], off offset:64
	s_wait_loadcnt 0x0
	v_mul_f32_e32 v25, s33, v25
	s_delay_alu instid0(VALU_DEP_1) | instskip(SKIP_4) | instid1(VALU_DEP_1)
	v_fmac_f32_e32 v25, s30, v24
	global_store_b32 v[28:29], v25, off offset:64
	global_load_b32 v24, v[36:37], off offset:128
	s_wait_loadcnt 0x0
	v_mul_f32_e32 v24, s33, v24
	v_fmac_f32_e32 v24, s30, v23
	global_store_b32 v[28:29], v24, off offset:128
	global_load_b32 v23, v[36:37], off offset:192
	s_wait_xcnt 0x1
	v_add_nc_u64_e32 v[24:25], s[16:17], v[34:35]
	s_delay_alu instid0(VALU_DEP_1) | instskip(SKIP_2) | instid1(VALU_DEP_1)
	v_add_nc_u64_e32 v[34:35], v[24:25], v[8:9]
	s_wait_loadcnt 0x0
	v_mul_f32_e32 v23, s33, v23
	v_fmac_f32_e32 v23, s30, v22
	global_store_b32 v[28:29], v23, off offset:192
	global_load_b32 v22, v[34:35], off
	s_wait_loadcnt 0x0
	s_wait_xcnt 0x1
	v_mul_f32_e32 v28, s33, v22
	v_add_nc_u64_e32 v[22:23], v[26:27], v[8:9]
	s_delay_alu instid0(VALU_DEP_2) | instskip(SKIP_4) | instid1(VALU_DEP_1)
	v_fmac_f32_e32 v28, s30, v21
	global_store_b32 v[22:23], v28, off
	global_load_b32 v21, v[34:35], off offset:64
	s_wait_loadcnt 0x0
	v_mul_f32_e32 v21, s33, v21
	v_fmac_f32_e32 v21, s30, v20
	global_store_b32 v[22:23], v21, off offset:64
	global_load_b32 v20, v[34:35], off offset:128
	s_wait_loadcnt 0x0
	v_mul_f32_e32 v20, s33, v20
	s_delay_alu instid0(VALU_DEP_1) | instskip(SKIP_4) | instid1(VALU_DEP_1)
	v_fmac_f32_e32 v20, s30, v19
	global_store_b32 v[22:23], v20, off offset:128
	global_load_b32 v19, v[34:35], off offset:192
	s_wait_xcnt 0x1
	v_add_nc_u64_e32 v[20:21], s[16:17], v[24:25]
	v_add_nc_u64_e32 v[24:25], v[20:21], v[8:9]
	s_wait_loadcnt 0x0
	v_mul_f32_e32 v19, s33, v19
	s_delay_alu instid0(VALU_DEP_1)
	v_fmac_f32_e32 v19, s30, v18
	global_store_b32 v[22:23], v19, off offset:192
	global_load_b32 v22, v[24:25], off
	v_add_nc_u64_e32 v[18:19], s[14:15], v[26:27]
	s_wait_loadcnt 0x0
	v_mul_f32_e32 v26, s33, v22
	s_delay_alu instid0(VALU_DEP_2) | instskip(NEXT) | instid1(VALU_DEP_2)
	v_add_nc_u64_e32 v[22:23], v[18:19], v[8:9]
	v_fmac_f32_e32 v26, s30, v17
	global_store_b32 v[22:23], v26, off
	global_load_b32 v17, v[24:25], off offset:64
	s_wait_loadcnt 0x0
	v_mul_f32_e32 v17, s33, v17
	s_delay_alu instid0(VALU_DEP_1) | instskip(SKIP_4) | instid1(VALU_DEP_1)
	v_fmac_f32_e32 v17, s30, v16
	global_store_b32 v[22:23], v17, off offset:64
	global_load_b32 v16, v[24:25], off offset:128
	s_wait_loadcnt 0x0
	v_mul_f32_e32 v16, s33, v16
	v_fmac_f32_e32 v16, s30, v15
	global_store_b32 v[22:23], v16, off offset:128
	global_load_b32 v15, v[24:25], off offset:192
	s_wait_xcnt 0x1
	v_add_nc_u64_e32 v[16:17], s[16:17], v[20:21]
	s_delay_alu instid0(VALU_DEP_1) | instskip(SKIP_2) | instid1(VALU_DEP_1)
	v_add_nc_u64_e32 v[16:17], v[16:17], v[8:9]
	s_wait_loadcnt 0x0
	v_mul_f32_e32 v15, s33, v15
	v_fmac_f32_e32 v15, s30, v14
	global_store_b32 v[22:23], v15, off offset:192
	global_load_b32 v20, v[16:17], off
	s_wait_xcnt 0x1
	v_add_nc_u64_e32 v[14:15], s[14:15], v[18:19]
	s_delay_alu instid0(VALU_DEP_1) | instskip(SKIP_2) | instid1(VALU_DEP_1)
	v_add_nc_u64_e32 v[14:15], v[14:15], v[8:9]
	s_wait_loadcnt 0x0
	v_mul_f32_e32 v18, s33, v20
	v_fmac_f32_e32 v18, s30, v13
	global_store_b32 v[14:15], v18, off
	global_load_b32 v13, v[16:17], off offset:64
	s_wait_loadcnt 0x0
	v_mul_f32_e32 v13, s33, v13
	s_delay_alu instid0(VALU_DEP_1) | instskip(SKIP_4) | instid1(VALU_DEP_1)
	v_fmac_f32_e32 v13, s30, v12
	global_store_b32 v[14:15], v13, off offset:64
	global_load_b32 v12, v[16:17], off offset:128
	s_wait_loadcnt 0x0
	v_mul_f32_e32 v12, s33, v12
	v_fmac_f32_e32 v12, s30, v11
	global_store_b32 v[14:15], v12, off offset:128
	global_load_b32 v11, v[16:17], off offset:192
	s_wait_loadcnt 0x0
	v_mul_f32_e32 v11, s33, v11
	s_delay_alu instid0(VALU_DEP_1)
	v_fmac_f32_e32 v11, s30, v10
	global_store_b32 v[14:15], v11, off offset:192
	s_branch .LBB448_2
.LBB448_10:
	s_sendmsg sendmsg(MSG_DEALLOC_VGPRS)
	s_endpgm
	.section	.rodata,"a",@progbits
	.p2align	6, 0x0
	.amdhsa_kernel _ZN12_GLOBAL__N_127rocblas_gemm_batched_kernelIfLi16ELi16ELi64ELi64ELi4ELi64ELi4ELi4ELi64ELc84ELc84EK16rocblas_bfloat16KffEEvlllT_PT11_llS6_llS4_PT12_llPT13_lli
		.amdhsa_group_segment_fixed_size 2048
		.amdhsa_private_segment_fixed_size 0
		.amdhsa_kernarg_size 140
		.amdhsa_user_sgpr_count 2
		.amdhsa_user_sgpr_dispatch_ptr 0
		.amdhsa_user_sgpr_queue_ptr 0
		.amdhsa_user_sgpr_kernarg_segment_ptr 1
		.amdhsa_user_sgpr_dispatch_id 0
		.amdhsa_user_sgpr_kernarg_preload_length 0
		.amdhsa_user_sgpr_kernarg_preload_offset 0
		.amdhsa_user_sgpr_private_segment_size 0
		.amdhsa_wavefront_size32 1
		.amdhsa_uses_dynamic_stack 0
		.amdhsa_enable_private_segment 0
		.amdhsa_system_sgpr_workgroup_id_x 1
		.amdhsa_system_sgpr_workgroup_id_y 1
		.amdhsa_system_sgpr_workgroup_id_z 1
		.amdhsa_system_sgpr_workgroup_info 0
		.amdhsa_system_vgpr_workitem_id 1
		.amdhsa_next_free_vgpr 74
		.amdhsa_next_free_sgpr 38
		.amdhsa_named_barrier_count 0
		.amdhsa_reserve_vcc 1
		.amdhsa_float_round_mode_32 0
		.amdhsa_float_round_mode_16_64 0
		.amdhsa_float_denorm_mode_32 3
		.amdhsa_float_denorm_mode_16_64 3
		.amdhsa_fp16_overflow 0
		.amdhsa_memory_ordered 1
		.amdhsa_forward_progress 1
		.amdhsa_inst_pref_size 19
		.amdhsa_round_robin_scheduling 0
		.amdhsa_exception_fp_ieee_invalid_op 0
		.amdhsa_exception_fp_denorm_src 0
		.amdhsa_exception_fp_ieee_div_zero 0
		.amdhsa_exception_fp_ieee_overflow 0
		.amdhsa_exception_fp_ieee_underflow 0
		.amdhsa_exception_fp_ieee_inexact 0
		.amdhsa_exception_int_div_zero 0
	.end_amdhsa_kernel
	.section	.text._ZN12_GLOBAL__N_127rocblas_gemm_batched_kernelIfLi16ELi16ELi64ELi64ELi4ELi64ELi4ELi4ELi64ELc84ELc84EK16rocblas_bfloat16KffEEvlllT_PT11_llS6_llS4_PT12_llPT13_lli,"axG",@progbits,_ZN12_GLOBAL__N_127rocblas_gemm_batched_kernelIfLi16ELi16ELi64ELi64ELi4ELi64ELi4ELi4ELi64ELc84ELc84EK16rocblas_bfloat16KffEEvlllT_PT11_llS6_llS4_PT12_llPT13_lli,comdat
.Lfunc_end448:
	.size	_ZN12_GLOBAL__N_127rocblas_gemm_batched_kernelIfLi16ELi16ELi64ELi64ELi4ELi64ELi4ELi4ELi64ELc84ELc84EK16rocblas_bfloat16KffEEvlllT_PT11_llS6_llS4_PT12_llPT13_lli, .Lfunc_end448-_ZN12_GLOBAL__N_127rocblas_gemm_batched_kernelIfLi16ELi16ELi64ELi64ELi4ELi64ELi4ELi4ELi64ELc84ELc84EK16rocblas_bfloat16KffEEvlllT_PT11_llS6_llS4_PT12_llPT13_lli
                                        ; -- End function
	.set _ZN12_GLOBAL__N_127rocblas_gemm_batched_kernelIfLi16ELi16ELi64ELi64ELi4ELi64ELi4ELi4ELi64ELc84ELc84EK16rocblas_bfloat16KffEEvlllT_PT11_llS6_llS4_PT12_llPT13_lli.num_vgpr, 74
	.set _ZN12_GLOBAL__N_127rocblas_gemm_batched_kernelIfLi16ELi16ELi64ELi64ELi4ELi64ELi4ELi4ELi64ELc84ELc84EK16rocblas_bfloat16KffEEvlllT_PT11_llS6_llS4_PT12_llPT13_lli.num_agpr, 0
	.set _ZN12_GLOBAL__N_127rocblas_gemm_batched_kernelIfLi16ELi16ELi64ELi64ELi4ELi64ELi4ELi4ELi64ELc84ELc84EK16rocblas_bfloat16KffEEvlllT_PT11_llS6_llS4_PT12_llPT13_lli.numbered_sgpr, 38
	.set _ZN12_GLOBAL__N_127rocblas_gemm_batched_kernelIfLi16ELi16ELi64ELi64ELi4ELi64ELi4ELi4ELi64ELc84ELc84EK16rocblas_bfloat16KffEEvlllT_PT11_llS6_llS4_PT12_llPT13_lli.num_named_barrier, 0
	.set _ZN12_GLOBAL__N_127rocblas_gemm_batched_kernelIfLi16ELi16ELi64ELi64ELi4ELi64ELi4ELi4ELi64ELc84ELc84EK16rocblas_bfloat16KffEEvlllT_PT11_llS6_llS4_PT12_llPT13_lli.private_seg_size, 0
	.set _ZN12_GLOBAL__N_127rocblas_gemm_batched_kernelIfLi16ELi16ELi64ELi64ELi4ELi64ELi4ELi4ELi64ELc84ELc84EK16rocblas_bfloat16KffEEvlllT_PT11_llS6_llS4_PT12_llPT13_lli.uses_vcc, 1
	.set _ZN12_GLOBAL__N_127rocblas_gemm_batched_kernelIfLi16ELi16ELi64ELi64ELi4ELi64ELi4ELi4ELi64ELc84ELc84EK16rocblas_bfloat16KffEEvlllT_PT11_llS6_llS4_PT12_llPT13_lli.uses_flat_scratch, 0
	.set _ZN12_GLOBAL__N_127rocblas_gemm_batched_kernelIfLi16ELi16ELi64ELi64ELi4ELi64ELi4ELi4ELi64ELc84ELc84EK16rocblas_bfloat16KffEEvlllT_PT11_llS6_llS4_PT12_llPT13_lli.has_dyn_sized_stack, 0
	.set _ZN12_GLOBAL__N_127rocblas_gemm_batched_kernelIfLi16ELi16ELi64ELi64ELi4ELi64ELi4ELi4ELi64ELc84ELc84EK16rocblas_bfloat16KffEEvlllT_PT11_llS6_llS4_PT12_llPT13_lli.has_recursion, 0
	.set _ZN12_GLOBAL__N_127rocblas_gemm_batched_kernelIfLi16ELi16ELi64ELi64ELi4ELi64ELi4ELi4ELi64ELc84ELc84EK16rocblas_bfloat16KffEEvlllT_PT11_llS6_llS4_PT12_llPT13_lli.has_indirect_call, 0
	.section	.AMDGPU.csdata,"",@progbits
; Kernel info:
; codeLenInByte = 2332
; TotalNumSgprs: 40
; NumVgprs: 74
; ScratchSize: 0
; MemoryBound: 0
; FloatMode: 240
; IeeeMode: 1
; LDSByteSize: 2048 bytes/workgroup (compile time only)
; SGPRBlocks: 0
; VGPRBlocks: 4
; NumSGPRsForWavesPerEU: 40
; NumVGPRsForWavesPerEU: 74
; NamedBarCnt: 0
; Occupancy: 12
; WaveLimiterHint : 0
; COMPUTE_PGM_RSRC2:SCRATCH_EN: 0
; COMPUTE_PGM_RSRC2:USER_SGPR: 2
; COMPUTE_PGM_RSRC2:TRAP_HANDLER: 0
; COMPUTE_PGM_RSRC2:TGID_X_EN: 1
; COMPUTE_PGM_RSRC2:TGID_Y_EN: 1
; COMPUTE_PGM_RSRC2:TGID_Z_EN: 1
; COMPUTE_PGM_RSRC2:TIDIG_COMP_CNT: 1
	.section	.text._ZN12_GLOBAL__N_127rocblas_gemm_batched_kernelIfLi16ELi16ELi64ELi64ELi4ELi64ELi4ELi4ELi64ELc67ELc67EK16rocblas_bfloat16KffEEvlllT_PT11_llS6_llS4_PT12_llPT13_lli,"axG",@progbits,_ZN12_GLOBAL__N_127rocblas_gemm_batched_kernelIfLi16ELi16ELi64ELi64ELi4ELi64ELi4ELi4ELi64ELc67ELc67EK16rocblas_bfloat16KffEEvlllT_PT11_llS6_llS4_PT12_llPT13_lli,comdat
	.globl	_ZN12_GLOBAL__N_127rocblas_gemm_batched_kernelIfLi16ELi16ELi64ELi64ELi4ELi64ELi4ELi4ELi64ELc67ELc67EK16rocblas_bfloat16KffEEvlllT_PT11_llS6_llS4_PT12_llPT13_lli ; -- Begin function _ZN12_GLOBAL__N_127rocblas_gemm_batched_kernelIfLi16ELi16ELi64ELi64ELi4ELi64ELi4ELi4ELi64ELc67ELc67EK16rocblas_bfloat16KffEEvlllT_PT11_llS6_llS4_PT12_llPT13_lli
	.p2align	8
	.type	_ZN12_GLOBAL__N_127rocblas_gemm_batched_kernelIfLi16ELi16ELi64ELi64ELi4ELi64ELi4ELi4ELi64ELc67ELc67EK16rocblas_bfloat16KffEEvlllT_PT11_llS6_llS4_PT12_llPT13_lli,@function
_ZN12_GLOBAL__N_127rocblas_gemm_batched_kernelIfLi16ELi16ELi64ELi64ELi4ELi64ELi4ELi4ELi64ELc67ELc67EK16rocblas_bfloat16KffEEvlllT_PT11_llS6_llS4_PT12_llPT13_lli: ; @_ZN12_GLOBAL__N_127rocblas_gemm_batched_kernelIfLi16ELi16ELi64ELi64ELi4ELi64ELi4ELi4ELi64ELc67ELc67EK16rocblas_bfloat16KffEEvlllT_PT11_llS6_llS4_PT12_llPT13_lli
; %bb.0:
	s_load_b32 s31, s[0:1], 0x88
	s_bfe_u32 s2, ttmp6, 0x40014
	s_lshr_b32 s3, ttmp7, 16
	s_add_co_i32 s2, s2, 1
	s_bfe_u32 s4, ttmp6, 0x40008
	s_mul_i32 s2, s3, s2
	s_getreg_b32 s20, hwreg(HW_REG_IB_STS2, 6, 4)
	s_add_co_i32 s4, s4, s2
	s_cmp_eq_u32 s20, 0
	s_cselect_b32 s2, s3, s4
	s_mov_b32 s3, 0
	s_wait_kmcnt 0x0
	s_cmp_ge_i32 s2, s31
	s_cbranch_scc1 .LBB449_10
; %bb.1:
	s_bfe_u32 s21, ttmp6, 0x4000c
	s_bfe_u32 s23, ttmp6, 0x40010
	s_add_co_i32 s21, s21, 1
	s_and_b32 s28, ttmp7, 0xffff
	s_add_co_i32 s23, s23, 1
	v_bfe_u32 v4, v0, 10, 10
	s_and_b32 s22, ttmp6, 15
	s_mul_i32 s21, ttmp9, s21
	s_mul_i32 s23, s28, s23
	s_bfe_u32 s29, ttmp6, 0x40004
	s_add_co_i32 s22, s22, s21
	s_add_co_i32 s29, s29, s23
	s_cmp_eq_u32 s20, 0
	v_and_b32_e32 v2, 0x3ff, v0
	v_dual_mov_b32 v5, 0 :: v_dual_lshlrev_b32 v16, 4, v4
	s_cselect_b32 s20, ttmp9, s22
	s_clause 0x2
	s_load_b256 s[12:19], s[0:1], 0x20
	s_load_b128 s[24:27], s[0:1], 0x40
	s_load_b256 s[4:11], s[0:1], 0x58
	s_cselect_b32 s22, s28, s29
	s_ashr_i32 s21, s20, 31
	s_lshl_b32 s34, s22, 6
	s_lshl_b64 s[36:37], s[20:21], 6
	v_add_nc_u32_e32 v1, v16, v2
	s_load_b128 s[20:23], s[0:1], 0x78
	s_mov_b32 s35, s3
	v_mov_b32_e32 v9, s37
	v_add_nc_u64_e32 v[6:7], s[34:35], v[4:5]
	v_and_b32_e32 v3, 63, v1
	s_clause 0x1
	s_load_b32 s33, s[0:1], 0x50
	s_load_b96 s[28:30], s[0:1], 0x10
	v_add_nc_u32_e32 v33, 0x400, v16
	v_dual_lshlrev_b32 v32, 2, v2 :: v_dual_bitop2_b32 v8, s36, v3 bitop3:0x54
	v_dual_lshrrev_b32 v10, 2, v1 :: v_dual_bitop2_b32 v4, 3, v0 bitop3:0x40
	v_mov_b32_e32 v11, v5
	s_wait_kmcnt 0x0
	s_delay_alu instid0(VALU_DEP_3)
	v_mul_u64_e32 v[8:9], s[14:15], v[8:9]
	v_mul_u64_e32 v[12:13], s[6:7], v[6:7]
	v_lshlrev_b32_e32 v17, 2, v4
	v_mad_nc_u64_u32 v[14:15], s24, v4, v[10:11]
	v_lshrrev_b32_e32 v11, 6, v1
	v_mul_u64_e32 v[0:1], s[20:21], v[6:7]
	v_dual_mov_b32 v3, v5 :: v_dual_lshlrev_b32 v6, 2, v3
	s_cmp_eq_f32 s33, 0
	v_cmp_gt_i64_e64 s0, s[28:29], 0
	s_delay_alu instid0(VALU_DEP_2)
	v_lshl_or_b32 v30, v11, 8, v6
	v_mad_u32 v15, s25, v4, v15
	v_lshl_or_b32 v4, v10, 4, v17
	s_cselect_b32 s1, -1, 0
	s_lshl_b64 s[14:15], s[20:21], 4
	s_lshl_b64 s[20:21], s[6:7], 4
	;; [unrolled: 1-line block ×3, first 2 shown]
	v_add_nc_u32_e32 v31, 0x400, v4
	v_lshlrev_b32_e32 v4, 1, v11
	v_add_nc_u64_e32 v[10:11], s[36:37], v[2:3]
	s_lshl_b64 s[14:15], s[14:15], 2
	v_add_nc_u64_e32 v[6:7], s[34:35], v[14:15]
	s_delay_alu instid0(VALU_DEP_3) | instskip(SKIP_2) | instid1(VALU_DEP_4)
	v_lshl_add_u64 v[8:9], v[8:9], 1, v[4:5]
	v_lshl_add_u64 v[2:3], v[12:13], 2, s[4:5]
	v_cndmask_b32_e64 v12, 0, 1, s0
	v_lshl_add_u64 v[4:5], v[6:7], 1, s[18:19]
	s_lshl_b64 s[4:5], s[26:27], 1
	v_add_nc_u64_e32 v[6:7], s[12:13], v[8:9]
	v_lshlrev_b64_e32 v[8:9], 2, v[10:11]
	v_cmp_ne_u32_e64 s0, 1, v12
	s_lshl_b64 s[12:13], s[16:17], 1
	s_lshl_b64 s[16:17], s[20:21], 2
	s_branch .LBB449_3
.LBB449_2:                              ;   in Loop: Header=BB449_3 Depth=1
	s_add_co_i32 s2, s2, 0x10000
	s_delay_alu instid0(SALU_CYCLE_1)
	s_cmp_lt_i32 s2, s31
	s_cbranch_scc0 .LBB449_10
.LBB449_3:                              ; =>This Loop Header: Depth=1
                                        ;     Child Loop BB449_5 Depth 2
	v_dual_mov_b32 v25, 0 :: v_dual_mov_b32 v24, 0
	v_dual_mov_b32 v23, 0 :: v_dual_mov_b32 v22, 0
	;; [unrolled: 1-line block ×3, first 2 shown]
	s_wait_xcnt 0x6
	v_dual_mov_b32 v19, 0 :: v_dual_mov_b32 v18, 0
	s_wait_xcnt 0x1
	v_dual_mov_b32 v17, 0 :: v_dual_mov_b32 v16, 0
	;; [unrolled: 2-line block ×3, first 2 shown]
	v_dual_mov_b32 v13, 0 :: v_dual_mov_b32 v12, 0
	v_dual_mov_b32 v11, 0 :: v_dual_mov_b32 v10, 0
	s_and_b32 vcc_lo, exec_lo, s0
	s_cbranch_vccnz .LBB449_6
; %bb.4:                                ;   in Loop: Header=BB449_3 Depth=1
	v_mad_nc_u64_u32 v[26:27], s4, s2, v[4:5]
	v_mad_nc_u64_u32 v[28:29], s12, s2, v[6:7]
	v_mov_b32_e32 v10, 0
	s_mov_b64 s[18:19], 0
	s_delay_alu instid0(VALU_DEP_1)
	v_dual_mov_b32 v11, v10 :: v_dual_mov_b32 v12, v10
	v_dual_mov_b32 v13, v10 :: v_dual_mov_b32 v14, v10
	v_mad_u32 v27, s5, s2, v27
	v_mad_u32 v29, s13, s2, v29
	v_dual_mov_b32 v15, v10 :: v_dual_mov_b32 v16, v10
	v_dual_mov_b32 v17, v10 :: v_dual_mov_b32 v18, v10
	;; [unrolled: 1-line block ×5, first 2 shown]
	v_mov_b32_e32 v25, v10
.LBB449_5:                              ;   Parent Loop BB449_3 Depth=1
                                        ; =>  This Inner Loop Header: Depth=2
	global_load_u16 v34, v[28:29], off
	global_load_u16 v35, v[26:27], off
	s_add_nc_u64 s[18:19], s[18:19], 4
	s_wait_xcnt 0x0
	v_add_nc_u64_e32 v[26:27], s[6:7], v[26:27]
	v_cmp_lt_i64_e64 s20, s[18:19], s[28:29]
	v_add_nc_u64_e32 v[28:29], 8, v[28:29]
	s_and_b32 vcc_lo, exec_lo, s20
	s_wait_loadcnt 0x0
	v_dual_lshlrev_b32 v34, 16, v34 :: v_dual_lshlrev_b32 v35, 16, v35
	ds_store_b32 v30, v34
	ds_store_b32 v31, v35
	s_wait_dscnt 0x0
	s_barrier_signal -1
	s_barrier_wait -1
	ds_load_2addr_b32 v[50:51], v32 offset1:16
	ds_load_2addr_b32 v[52:53], v32 offset0:64 offset1:80
	ds_load_2addr_b32 v[54:55], v32 offset0:128 offset1:144
	;; [unrolled: 1-line block ×6, first 2 shown]
	ds_load_b128 v[34:37], v33
	ds_load_b128 v[38:41], v33 offset:256
	ds_load_2addr_b32 v[64:65], v32 offset0:224 offset1:240
	ds_load_b128 v[42:45], v33 offset:512
	ds_load_b128 v[46:49], v33 offset:768
	s_wait_dscnt 0x0
	s_barrier_signal -1
	s_barrier_wait -1
	v_dual_mov_b32 v66, v51 :: v_dual_mov_b32 v67, v50
	v_dual_mov_b32 v50, v53 :: v_dual_mov_b32 v51, v52
	;; [unrolled: 1-line block ×6, first 2 shown]
	v_pk_fma_f32 v[24:25], v[66:67], v[34:35], v[24:25] op_sel_hi:[1,0,1]
	v_pk_fma_f32 v[20:21], v[66:67], v[38:39], v[20:21] op_sel_hi:[1,0,1]
	s_delay_alu instid0(VALU_DEP_4)
	v_pk_fma_f32 v[22:23], v[56:57], v[34:35], v[22:23] op_sel_hi:[1,0,1]
	v_pk_fma_f32 v[16:17], v[66:67], v[42:43], v[16:17] op_sel_hi:[1,0,1]
	;; [unrolled: 1-line block ×6, first 2 shown]
	v_dual_mov_b32 v60, v63 :: v_dual_mov_b32 v61, v62
	v_pk_fma_f32 v[24:25], v[50:51], v[34:35], v[24:25] op_sel:[0,1,0]
	v_pk_fma_f32 v[22:23], v[58:59], v[34:35], v[22:23] op_sel:[0,1,0]
	;; [unrolled: 1-line block ×8, first 2 shown]
	v_dual_mov_b32 v62, v37 :: v_dual_mov_b32 v68, v65
	v_dual_mov_b32 v69, v64 :: v_dual_mov_b32 v64, v41
	;; [unrolled: 1-line block ×3, first 2 shown]
	v_pk_fma_f32 v[24:25], v[52:53], v[36:37], v[24:25] op_sel_hi:[1,0,1]
	v_pk_fma_f32 v[22:23], v[60:61], v[36:37], v[22:23] op_sel_hi:[1,0,1]
	;; [unrolled: 1-line block ×16, first 2 shown]
	s_cbranch_vccnz .LBB449_5
.LBB449_6:                              ;   in Loop: Header=BB449_3 Depth=1
	s_mul_u64 s[18:19], s[22:23], s[2:3]
	s_and_not1_b32 vcc_lo, exec_lo, s1
	s_lshl_b64 s[18:19], s[18:19], 2
	s_delay_alu instid0(SALU_CYCLE_1) | instskip(NEXT) | instid1(SALU_CYCLE_1)
	s_add_nc_u64 s[18:19], s[10:11], s[18:19]
	v_lshl_add_u64 v[26:27], v[0:1], 2, s[18:19]
	s_delay_alu instid0(VALU_DEP_1)
	v_add_nc_u64_e32 v[28:29], v[26:27], v[8:9]
	v_add_nc_u64_e32 v[26:27], s[14:15], v[26:27]
	s_cbranch_vccnz .LBB449_8
; %bb.7:                                ;   in Loop: Header=BB449_3 Depth=1
	v_dual_mul_f32 v36, s30, v25 :: v_dual_mul_f32 v37, s30, v24
	s_delay_alu instid0(VALU_DEP_2)
	v_add_nc_u64_e32 v[34:35], s[14:15], v[26:27]
	v_dual_mul_f32 v38, s30, v23 :: v_dual_mul_f32 v39, s30, v22
	s_clause 0x3
	global_store_b32 v[28:29], v36, off
	global_store_b32 v[28:29], v37, off offset:64
	global_store_b32 v[28:29], v38, off offset:128
	global_store_b32 v[28:29], v39, off offset:192
	s_wait_xcnt 0x2
	v_add_nc_u64_e32 v[36:37], v[26:27], v[8:9]
	v_dual_mul_f32 v40, s30, v21 :: v_dual_mul_f32 v41, s30, v20
	s_wait_xcnt 0x0
	v_add_nc_u64_e32 v[38:39], v[34:35], v[8:9]
	v_add_nc_u64_e32 v[34:35], s[14:15], v[34:35]
	v_dual_mul_f32 v42, s30, v19 :: v_dual_mul_f32 v43, s30, v18
	s_clause 0x3
	global_store_b32 v[36:37], v40, off
	global_store_b32 v[36:37], v41, off offset:64
	global_store_b32 v[36:37], v42, off offset:128
	;; [unrolled: 1-line block ×3, first 2 shown]
	s_wait_xcnt 0x0
	v_dual_mul_f32 v36, s30, v17 :: v_dual_mul_f32 v37, s30, v16
	v_dual_mul_f32 v40, s30, v15 :: v_dual_mul_f32 v41, s30, v14
	v_add_nc_u64_e32 v[34:35], v[34:35], v[8:9]
	s_clause 0x3
	global_store_b32 v[38:39], v36, off
	global_store_b32 v[38:39], v37, off offset:64
	global_store_b32 v[38:39], v40, off offset:128
	;; [unrolled: 1-line block ×3, first 2 shown]
	s_wait_xcnt 0x2
	v_dual_mul_f32 v36, s30, v13 :: v_dual_mul_f32 v37, s30, v12
	s_wait_xcnt 0x0
	v_dual_mul_f32 v38, s30, v11 :: v_dual_mul_f32 v39, s30, v10
	s_clause 0x3
	global_store_b32 v[34:35], v36, off
	global_store_b32 v[34:35], v37, off offset:64
	global_store_b32 v[34:35], v38, off offset:128
	;; [unrolled: 1-line block ×3, first 2 shown]
	s_cbranch_execnz .LBB449_2
	s_branch .LBB449_9
.LBB449_8:                              ;   in Loop: Header=BB449_3 Depth=1
.LBB449_9:                              ;   in Loop: Header=BB449_3 Depth=1
	s_mul_u64 s[18:19], s[8:9], s[2:3]
	s_wait_xcnt 0x0
	v_lshl_add_u64 v[34:35], s[18:19], 2, v[2:3]
	s_delay_alu instid0(VALU_DEP_1) | instskip(SKIP_3) | instid1(VALU_DEP_1)
	v_add_nc_u64_e32 v[36:37], v[34:35], v[8:9]
	global_load_b32 v38, v[36:37], off
	s_wait_loadcnt 0x0
	v_mul_f32_e32 v38, s33, v38
	v_fmac_f32_e32 v38, s30, v25
	global_store_b32 v[28:29], v38, off
	global_load_b32 v25, v[36:37], off offset:64
	s_wait_loadcnt 0x0
	v_mul_f32_e32 v25, s33, v25
	s_delay_alu instid0(VALU_DEP_1) | instskip(SKIP_4) | instid1(VALU_DEP_1)
	v_fmac_f32_e32 v25, s30, v24
	global_store_b32 v[28:29], v25, off offset:64
	global_load_b32 v24, v[36:37], off offset:128
	s_wait_loadcnt 0x0
	v_mul_f32_e32 v24, s33, v24
	v_fmac_f32_e32 v24, s30, v23
	global_store_b32 v[28:29], v24, off offset:128
	global_load_b32 v23, v[36:37], off offset:192
	s_wait_xcnt 0x1
	v_add_nc_u64_e32 v[24:25], s[16:17], v[34:35]
	s_delay_alu instid0(VALU_DEP_1) | instskip(SKIP_2) | instid1(VALU_DEP_1)
	v_add_nc_u64_e32 v[34:35], v[24:25], v[8:9]
	s_wait_loadcnt 0x0
	v_mul_f32_e32 v23, s33, v23
	v_fmac_f32_e32 v23, s30, v22
	global_store_b32 v[28:29], v23, off offset:192
	global_load_b32 v22, v[34:35], off
	s_wait_loadcnt 0x0
	s_wait_xcnt 0x1
	v_mul_f32_e32 v28, s33, v22
	v_add_nc_u64_e32 v[22:23], v[26:27], v[8:9]
	s_delay_alu instid0(VALU_DEP_2) | instskip(SKIP_4) | instid1(VALU_DEP_1)
	v_fmac_f32_e32 v28, s30, v21
	global_store_b32 v[22:23], v28, off
	global_load_b32 v21, v[34:35], off offset:64
	s_wait_loadcnt 0x0
	v_mul_f32_e32 v21, s33, v21
	v_fmac_f32_e32 v21, s30, v20
	global_store_b32 v[22:23], v21, off offset:64
	global_load_b32 v20, v[34:35], off offset:128
	s_wait_loadcnt 0x0
	v_mul_f32_e32 v20, s33, v20
	s_delay_alu instid0(VALU_DEP_1) | instskip(SKIP_4) | instid1(VALU_DEP_1)
	v_fmac_f32_e32 v20, s30, v19
	global_store_b32 v[22:23], v20, off offset:128
	global_load_b32 v19, v[34:35], off offset:192
	s_wait_xcnt 0x1
	v_add_nc_u64_e32 v[20:21], s[16:17], v[24:25]
	v_add_nc_u64_e32 v[24:25], v[20:21], v[8:9]
	s_wait_loadcnt 0x0
	v_mul_f32_e32 v19, s33, v19
	s_delay_alu instid0(VALU_DEP_1)
	v_fmac_f32_e32 v19, s30, v18
	global_store_b32 v[22:23], v19, off offset:192
	global_load_b32 v22, v[24:25], off
	v_add_nc_u64_e32 v[18:19], s[14:15], v[26:27]
	s_wait_loadcnt 0x0
	v_mul_f32_e32 v26, s33, v22
	s_delay_alu instid0(VALU_DEP_2) | instskip(NEXT) | instid1(VALU_DEP_2)
	v_add_nc_u64_e32 v[22:23], v[18:19], v[8:9]
	v_fmac_f32_e32 v26, s30, v17
	global_store_b32 v[22:23], v26, off
	global_load_b32 v17, v[24:25], off offset:64
	s_wait_loadcnt 0x0
	v_mul_f32_e32 v17, s33, v17
	s_delay_alu instid0(VALU_DEP_1) | instskip(SKIP_4) | instid1(VALU_DEP_1)
	v_fmac_f32_e32 v17, s30, v16
	global_store_b32 v[22:23], v17, off offset:64
	global_load_b32 v16, v[24:25], off offset:128
	s_wait_loadcnt 0x0
	v_mul_f32_e32 v16, s33, v16
	v_fmac_f32_e32 v16, s30, v15
	global_store_b32 v[22:23], v16, off offset:128
	global_load_b32 v15, v[24:25], off offset:192
	s_wait_xcnt 0x1
	v_add_nc_u64_e32 v[16:17], s[16:17], v[20:21]
	s_delay_alu instid0(VALU_DEP_1) | instskip(SKIP_2) | instid1(VALU_DEP_1)
	v_add_nc_u64_e32 v[16:17], v[16:17], v[8:9]
	s_wait_loadcnt 0x0
	v_mul_f32_e32 v15, s33, v15
	v_fmac_f32_e32 v15, s30, v14
	global_store_b32 v[22:23], v15, off offset:192
	global_load_b32 v20, v[16:17], off
	s_wait_xcnt 0x1
	v_add_nc_u64_e32 v[14:15], s[14:15], v[18:19]
	s_delay_alu instid0(VALU_DEP_1) | instskip(SKIP_2) | instid1(VALU_DEP_1)
	v_add_nc_u64_e32 v[14:15], v[14:15], v[8:9]
	s_wait_loadcnt 0x0
	v_mul_f32_e32 v18, s33, v20
	v_fmac_f32_e32 v18, s30, v13
	global_store_b32 v[14:15], v18, off
	global_load_b32 v13, v[16:17], off offset:64
	s_wait_loadcnt 0x0
	v_mul_f32_e32 v13, s33, v13
	s_delay_alu instid0(VALU_DEP_1) | instskip(SKIP_4) | instid1(VALU_DEP_1)
	v_fmac_f32_e32 v13, s30, v12
	global_store_b32 v[14:15], v13, off offset:64
	global_load_b32 v12, v[16:17], off offset:128
	s_wait_loadcnt 0x0
	v_mul_f32_e32 v12, s33, v12
	v_fmac_f32_e32 v12, s30, v11
	global_store_b32 v[14:15], v12, off offset:128
	global_load_b32 v11, v[16:17], off offset:192
	s_wait_loadcnt 0x0
	v_mul_f32_e32 v11, s33, v11
	s_delay_alu instid0(VALU_DEP_1)
	v_fmac_f32_e32 v11, s30, v10
	global_store_b32 v[14:15], v11, off offset:192
	s_branch .LBB449_2
.LBB449_10:
	s_sendmsg sendmsg(MSG_DEALLOC_VGPRS)
	s_endpgm
	.section	.rodata,"a",@progbits
	.p2align	6, 0x0
	.amdhsa_kernel _ZN12_GLOBAL__N_127rocblas_gemm_batched_kernelIfLi16ELi16ELi64ELi64ELi4ELi64ELi4ELi4ELi64ELc67ELc67EK16rocblas_bfloat16KffEEvlllT_PT11_llS6_llS4_PT12_llPT13_lli
		.amdhsa_group_segment_fixed_size 2048
		.amdhsa_private_segment_fixed_size 0
		.amdhsa_kernarg_size 140
		.amdhsa_user_sgpr_count 2
		.amdhsa_user_sgpr_dispatch_ptr 0
		.amdhsa_user_sgpr_queue_ptr 0
		.amdhsa_user_sgpr_kernarg_segment_ptr 1
		.amdhsa_user_sgpr_dispatch_id 0
		.amdhsa_user_sgpr_kernarg_preload_length 0
		.amdhsa_user_sgpr_kernarg_preload_offset 0
		.amdhsa_user_sgpr_private_segment_size 0
		.amdhsa_wavefront_size32 1
		.amdhsa_uses_dynamic_stack 0
		.amdhsa_enable_private_segment 0
		.amdhsa_system_sgpr_workgroup_id_x 1
		.amdhsa_system_sgpr_workgroup_id_y 1
		.amdhsa_system_sgpr_workgroup_id_z 1
		.amdhsa_system_sgpr_workgroup_info 0
		.amdhsa_system_vgpr_workitem_id 1
		.amdhsa_next_free_vgpr 74
		.amdhsa_next_free_sgpr 38
		.amdhsa_named_barrier_count 0
		.amdhsa_reserve_vcc 1
		.amdhsa_float_round_mode_32 0
		.amdhsa_float_round_mode_16_64 0
		.amdhsa_float_denorm_mode_32 3
		.amdhsa_float_denorm_mode_16_64 3
		.amdhsa_fp16_overflow 0
		.amdhsa_memory_ordered 1
		.amdhsa_forward_progress 1
		.amdhsa_inst_pref_size 19
		.amdhsa_round_robin_scheduling 0
		.amdhsa_exception_fp_ieee_invalid_op 0
		.amdhsa_exception_fp_denorm_src 0
		.amdhsa_exception_fp_ieee_div_zero 0
		.amdhsa_exception_fp_ieee_overflow 0
		.amdhsa_exception_fp_ieee_underflow 0
		.amdhsa_exception_fp_ieee_inexact 0
		.amdhsa_exception_int_div_zero 0
	.end_amdhsa_kernel
	.section	.text._ZN12_GLOBAL__N_127rocblas_gemm_batched_kernelIfLi16ELi16ELi64ELi64ELi4ELi64ELi4ELi4ELi64ELc67ELc67EK16rocblas_bfloat16KffEEvlllT_PT11_llS6_llS4_PT12_llPT13_lli,"axG",@progbits,_ZN12_GLOBAL__N_127rocblas_gemm_batched_kernelIfLi16ELi16ELi64ELi64ELi4ELi64ELi4ELi4ELi64ELc67ELc67EK16rocblas_bfloat16KffEEvlllT_PT11_llS6_llS4_PT12_llPT13_lli,comdat
.Lfunc_end449:
	.size	_ZN12_GLOBAL__N_127rocblas_gemm_batched_kernelIfLi16ELi16ELi64ELi64ELi4ELi64ELi4ELi4ELi64ELc67ELc67EK16rocblas_bfloat16KffEEvlllT_PT11_llS6_llS4_PT12_llPT13_lli, .Lfunc_end449-_ZN12_GLOBAL__N_127rocblas_gemm_batched_kernelIfLi16ELi16ELi64ELi64ELi4ELi64ELi4ELi4ELi64ELc67ELc67EK16rocblas_bfloat16KffEEvlllT_PT11_llS6_llS4_PT12_llPT13_lli
                                        ; -- End function
	.set _ZN12_GLOBAL__N_127rocblas_gemm_batched_kernelIfLi16ELi16ELi64ELi64ELi4ELi64ELi4ELi4ELi64ELc67ELc67EK16rocblas_bfloat16KffEEvlllT_PT11_llS6_llS4_PT12_llPT13_lli.num_vgpr, 74
	.set _ZN12_GLOBAL__N_127rocblas_gemm_batched_kernelIfLi16ELi16ELi64ELi64ELi4ELi64ELi4ELi4ELi64ELc67ELc67EK16rocblas_bfloat16KffEEvlllT_PT11_llS6_llS4_PT12_llPT13_lli.num_agpr, 0
	.set _ZN12_GLOBAL__N_127rocblas_gemm_batched_kernelIfLi16ELi16ELi64ELi64ELi4ELi64ELi4ELi4ELi64ELc67ELc67EK16rocblas_bfloat16KffEEvlllT_PT11_llS6_llS4_PT12_llPT13_lli.numbered_sgpr, 38
	.set _ZN12_GLOBAL__N_127rocblas_gemm_batched_kernelIfLi16ELi16ELi64ELi64ELi4ELi64ELi4ELi4ELi64ELc67ELc67EK16rocblas_bfloat16KffEEvlllT_PT11_llS6_llS4_PT12_llPT13_lli.num_named_barrier, 0
	.set _ZN12_GLOBAL__N_127rocblas_gemm_batched_kernelIfLi16ELi16ELi64ELi64ELi4ELi64ELi4ELi4ELi64ELc67ELc67EK16rocblas_bfloat16KffEEvlllT_PT11_llS6_llS4_PT12_llPT13_lli.private_seg_size, 0
	.set _ZN12_GLOBAL__N_127rocblas_gemm_batched_kernelIfLi16ELi16ELi64ELi64ELi4ELi64ELi4ELi4ELi64ELc67ELc67EK16rocblas_bfloat16KffEEvlllT_PT11_llS6_llS4_PT12_llPT13_lli.uses_vcc, 1
	.set _ZN12_GLOBAL__N_127rocblas_gemm_batched_kernelIfLi16ELi16ELi64ELi64ELi4ELi64ELi4ELi4ELi64ELc67ELc67EK16rocblas_bfloat16KffEEvlllT_PT11_llS6_llS4_PT12_llPT13_lli.uses_flat_scratch, 0
	.set _ZN12_GLOBAL__N_127rocblas_gemm_batched_kernelIfLi16ELi16ELi64ELi64ELi4ELi64ELi4ELi4ELi64ELc67ELc67EK16rocblas_bfloat16KffEEvlllT_PT11_llS6_llS4_PT12_llPT13_lli.has_dyn_sized_stack, 0
	.set _ZN12_GLOBAL__N_127rocblas_gemm_batched_kernelIfLi16ELi16ELi64ELi64ELi4ELi64ELi4ELi4ELi64ELc67ELc67EK16rocblas_bfloat16KffEEvlllT_PT11_llS6_llS4_PT12_llPT13_lli.has_recursion, 0
	.set _ZN12_GLOBAL__N_127rocblas_gemm_batched_kernelIfLi16ELi16ELi64ELi64ELi4ELi64ELi4ELi4ELi64ELc67ELc67EK16rocblas_bfloat16KffEEvlllT_PT11_llS6_llS4_PT12_llPT13_lli.has_indirect_call, 0
	.section	.AMDGPU.csdata,"",@progbits
; Kernel info:
; codeLenInByte = 2332
; TotalNumSgprs: 40
; NumVgprs: 74
; ScratchSize: 0
; MemoryBound: 0
; FloatMode: 240
; IeeeMode: 1
; LDSByteSize: 2048 bytes/workgroup (compile time only)
; SGPRBlocks: 0
; VGPRBlocks: 4
; NumSGPRsForWavesPerEU: 40
; NumVGPRsForWavesPerEU: 74
; NamedBarCnt: 0
; Occupancy: 12
; WaveLimiterHint : 0
; COMPUTE_PGM_RSRC2:SCRATCH_EN: 0
; COMPUTE_PGM_RSRC2:USER_SGPR: 2
; COMPUTE_PGM_RSRC2:TRAP_HANDLER: 0
; COMPUTE_PGM_RSRC2:TGID_X_EN: 1
; COMPUTE_PGM_RSRC2:TGID_Y_EN: 1
; COMPUTE_PGM_RSRC2:TGID_Z_EN: 1
; COMPUTE_PGM_RSRC2:TIDIG_COMP_CNT: 1
	.section	.text._ZN12_GLOBAL__N_127rocblas_gemm_batched_kernelIfLi16ELi16ELi64ELi64ELi4ELi64ELi4ELi4ELi64ELc67ELc78EK16rocblas_bfloat16KffEEvlllT_PT11_llS6_llS4_PT12_llPT13_lli,"axG",@progbits,_ZN12_GLOBAL__N_127rocblas_gemm_batched_kernelIfLi16ELi16ELi64ELi64ELi4ELi64ELi4ELi4ELi64ELc67ELc78EK16rocblas_bfloat16KffEEvlllT_PT11_llS6_llS4_PT12_llPT13_lli,comdat
	.globl	_ZN12_GLOBAL__N_127rocblas_gemm_batched_kernelIfLi16ELi16ELi64ELi64ELi4ELi64ELi4ELi4ELi64ELc67ELc78EK16rocblas_bfloat16KffEEvlllT_PT11_llS6_llS4_PT12_llPT13_lli ; -- Begin function _ZN12_GLOBAL__N_127rocblas_gemm_batched_kernelIfLi16ELi16ELi64ELi64ELi4ELi64ELi4ELi4ELi64ELc67ELc78EK16rocblas_bfloat16KffEEvlllT_PT11_llS6_llS4_PT12_llPT13_lli
	.p2align	8
	.type	_ZN12_GLOBAL__N_127rocblas_gemm_batched_kernelIfLi16ELi16ELi64ELi64ELi4ELi64ELi4ELi4ELi64ELc67ELc78EK16rocblas_bfloat16KffEEvlllT_PT11_llS6_llS4_PT12_llPT13_lli,@function
_ZN12_GLOBAL__N_127rocblas_gemm_batched_kernelIfLi16ELi16ELi64ELi64ELi4ELi64ELi4ELi4ELi64ELc67ELc78EK16rocblas_bfloat16KffEEvlllT_PT11_llS6_llS4_PT12_llPT13_lli: ; @_ZN12_GLOBAL__N_127rocblas_gemm_batched_kernelIfLi16ELi16ELi64ELi64ELi4ELi64ELi4ELi4ELi64ELc67ELc78EK16rocblas_bfloat16KffEEvlllT_PT11_llS6_llS4_PT12_llPT13_lli
; %bb.0:
	s_load_b32 s31, s[0:1], 0x88
	s_bfe_u32 s2, ttmp6, 0x40014
	s_lshr_b32 s3, ttmp7, 16
	s_add_co_i32 s2, s2, 1
	s_bfe_u32 s4, ttmp6, 0x40008
	s_mul_i32 s2, s3, s2
	s_getreg_b32 s20, hwreg(HW_REG_IB_STS2, 6, 4)
	s_add_co_i32 s4, s4, s2
	s_cmp_eq_u32 s20, 0
	s_cselect_b32 s2, s3, s4
	s_mov_b32 s3, 0
	s_wait_kmcnt 0x0
	s_cmp_ge_i32 s2, s31
	s_cbranch_scc1 .LBB450_10
; %bb.1:
	v_bfe_u32 v2, v0, 10, 10
	v_and_b32_e32 v4, 0x3ff, v0
	s_bfe_u32 s22, ttmp6, 0x4000c
	s_bfe_u32 s28, ttmp6, 0x40010
	s_clause 0x2
	s_load_b256 s[12:19], s[0:1], 0x20
	s_load_b128 s[24:27], s[0:1], 0x40
	s_load_b256 s[4:11], s[0:1], 0x58
	v_dual_mov_b32 v3, 0 :: v_dual_lshlrev_b32 v16, 4, v2
	s_and_b32 s23, ttmp7, 0xffff
	s_add_co_i32 s22, s22, 1
	s_add_co_i32 s28, s28, 1
	s_delay_alu instid0(VALU_DEP_1)
	v_dual_add_nc_u32 v17, v16, v4 :: v_dual_mov_b32 v7, v3
	s_and_b32 s21, ttmp6, 15
	s_mul_i32 s22, ttmp9, s22
	s_mul_i32 s28, s23, s28
	s_bfe_u32 s29, ttmp6, 0x40004
	s_add_co_i32 s21, s21, s22
	s_add_co_i32 s29, s29, s28
	s_cmp_eq_u32 s20, 0
	v_lshrrev_b32_e32 v6, 2, v17
	s_cselect_b32 s20, s23, s29
	s_cselect_b32 s28, ttmp9, s21
	s_lshl_b32 s34, s20, 6
	s_mov_b32 s35, s3
	s_ashr_i32 s29, s28, 31
	v_add_nc_u64_e32 v[8:9], s[34:35], v[6:7]
	v_and_b32_e32 v7, 63, v17
	s_load_b128 s[20:23], s[0:1], 0x78
	s_lshl_b64 s[36:37], s[28:29], 6
	v_add_nc_u64_e32 v[12:13], s[34:35], v[2:3]
	s_delay_alu instid0(VALU_DEP_2)
	v_dual_mov_b32 v11, s37 :: v_dual_bitop2_b32 v10, s36, v7 bitop3:0x54
	s_wait_kmcnt 0x0
	v_mul_u64_e32 v[8:9], s[24:25], v[8:9]
	s_clause 0x1
	s_load_b32 s33, s[0:1], 0x50
	s_load_b96 s[28:30], s[0:1], 0x10
	v_dual_mov_b32 v5, v3 :: v_dual_bitop2_b32 v2, 3, v0 bitop3:0x40
	v_mul_u64_e32 v[10:11], s[14:15], v[10:11]
	v_mul_u64_e32 v[14:15], s[6:7], v[12:13]
	v_add_nc_u32_e32 v31, 0x400, v16
	s_delay_alu instid0(VALU_DEP_4) | instskip(SKIP_2) | instid1(VALU_DEP_3)
	v_dual_lshlrev_b32 v18, 2, v2 :: v_dual_lshlrev_b32 v30, 2, v4
	v_dual_lshlrev_b32 v2, 1, v2 :: v_dual_lshrrev_b32 v16, 6, v17
	v_lshlrev_b32_e32 v17, 2, v7
	v_lshl_or_b32 v18, v6, 4, v18
	v_mul_u64_e32 v[0:1], s[20:21], v[12:13]
	v_add_nc_u64_e32 v[12:13], s[36:37], v[4:5]
	s_delay_alu instid0(VALU_DEP_3)
	v_add_nc_u32_e32 v33, 0x400, v18
	s_wait_kmcnt 0x0
	s_cmp_eq_f32 s33, 0
	v_cmp_gt_i64_e64 s0, s[28:29], 0
	s_cselect_b32 s1, -1, 0
	s_lshl_b64 s[14:15], s[20:21], 4
	s_lshl_b64 s[20:21], s[6:7], 4
	;; [unrolled: 1-line block ×3, first 2 shown]
	v_cndmask_b32_e64 v19, 0, 1, s0
	v_lshl_add_u64 v[4:5], v[8:9], 1, v[2:3]
	v_lshlrev_b32_e32 v2, 1, v16
	v_lshlrev_b64_e32 v[8:9], 2, v[12:13]
	v_lshl_or_b32 v32, v16, 8, v17
	v_cmp_ne_u32_e64 s0, 1, v19
	v_add_nc_u64_e32 v[4:5], s[18:19], v[4:5]
	v_lshl_add_u64 v[6:7], v[10:11], 1, v[2:3]
	v_lshl_add_u64 v[2:3], v[14:15], 2, s[4:5]
	s_lshl_b64 s[4:5], s[26:27], 1
	s_delay_alu instid0(VALU_DEP_2)
	v_add_nc_u64_e32 v[6:7], s[12:13], v[6:7]
	s_lshl_b64 s[12:13], s[14:15], 2
	s_lshl_b64 s[14:15], s[20:21], 2
	s_branch .LBB450_3
.LBB450_2:                              ;   in Loop: Header=BB450_3 Depth=1
	s_add_co_i32 s2, s2, 0x10000
	s_delay_alu instid0(SALU_CYCLE_1)
	s_cmp_lt_i32 s2, s31
	s_cbranch_scc0 .LBB450_10
.LBB450_3:                              ; =>This Loop Header: Depth=1
                                        ;     Child Loop BB450_5 Depth 2
	v_dual_mov_b32 v25, 0 :: v_dual_mov_b32 v24, 0
	v_dual_mov_b32 v23, 0 :: v_dual_mov_b32 v22, 0
	;; [unrolled: 1-line block ×3, first 2 shown]
	s_wait_xcnt 0x6
	v_dual_mov_b32 v19, 0 :: v_dual_mov_b32 v18, 0
	s_wait_xcnt 0x1
	v_dual_mov_b32 v17, 0 :: v_dual_mov_b32 v16, 0
	;; [unrolled: 2-line block ×3, first 2 shown]
	v_dual_mov_b32 v13, 0 :: v_dual_mov_b32 v12, 0
	v_dual_mov_b32 v11, 0 :: v_dual_mov_b32 v10, 0
	s_and_b32 vcc_lo, exec_lo, s0
	s_cbranch_vccnz .LBB450_6
; %bb.4:                                ;   in Loop: Header=BB450_3 Depth=1
	v_mad_nc_u64_u32 v[26:27], s4, s2, v[4:5]
	v_mad_nc_u64_u32 v[28:29], s6, s2, v[6:7]
	v_mov_b32_e32 v10, 0
	s_mov_b64 s[16:17], 0
	s_delay_alu instid0(VALU_DEP_1)
	v_dual_mov_b32 v11, v10 :: v_dual_mov_b32 v12, v10
	v_dual_mov_b32 v13, v10 :: v_dual_mov_b32 v14, v10
	v_mad_u32 v27, s5, s2, v27
	v_mad_u32 v29, s7, s2, v29
	v_dual_mov_b32 v15, v10 :: v_dual_mov_b32 v16, v10
	v_dual_mov_b32 v17, v10 :: v_dual_mov_b32 v18, v10
	;; [unrolled: 1-line block ×5, first 2 shown]
	v_mov_b32_e32 v25, v10
.LBB450_5:                              ;   Parent Loop BB450_3 Depth=1
                                        ; =>  This Inner Loop Header: Depth=2
	global_load_u16 v34, v[28:29], off
	global_load_u16 v35, v[26:27], off
	s_add_nc_u64 s[16:17], s[16:17], 4
	s_wait_xcnt 0x0
	v_add_nc_u64_e32 v[26:27], 8, v[26:27]
	v_cmp_lt_i64_e64 s18, s[16:17], s[28:29]
	v_add_nc_u64_e32 v[28:29], 8, v[28:29]
	s_and_b32 vcc_lo, exec_lo, s18
	s_wait_loadcnt 0x0
	v_dual_lshlrev_b32 v34, 16, v34 :: v_dual_lshlrev_b32 v35, 16, v35
	ds_store_b32 v32, v34
	ds_store_b32 v33, v35
	s_wait_dscnt 0x0
	s_barrier_signal -1
	s_barrier_wait -1
	ds_load_2addr_b32 v[50:51], v30 offset1:16
	ds_load_2addr_b32 v[52:53], v30 offset0:64 offset1:80
	ds_load_2addr_b32 v[54:55], v30 offset0:128 offset1:144
	;; [unrolled: 1-line block ×6, first 2 shown]
	ds_load_b128 v[34:37], v31
	ds_load_b128 v[38:41], v31 offset:256
	ds_load_2addr_b32 v[64:65], v30 offset0:224 offset1:240
	ds_load_b128 v[42:45], v31 offset:512
	ds_load_b128 v[46:49], v31 offset:768
	s_wait_dscnt 0x0
	s_barrier_signal -1
	s_barrier_wait -1
	v_dual_mov_b32 v66, v51 :: v_dual_mov_b32 v67, v50
	v_dual_mov_b32 v50, v53 :: v_dual_mov_b32 v51, v52
	;; [unrolled: 1-line block ×6, first 2 shown]
	v_pk_fma_f32 v[24:25], v[66:67], v[34:35], v[24:25] op_sel_hi:[1,0,1]
	v_pk_fma_f32 v[20:21], v[66:67], v[38:39], v[20:21] op_sel_hi:[1,0,1]
	s_delay_alu instid0(VALU_DEP_4)
	v_pk_fma_f32 v[22:23], v[56:57], v[34:35], v[22:23] op_sel_hi:[1,0,1]
	v_pk_fma_f32 v[16:17], v[66:67], v[42:43], v[16:17] op_sel_hi:[1,0,1]
	;; [unrolled: 1-line block ×6, first 2 shown]
	v_dual_mov_b32 v60, v63 :: v_dual_mov_b32 v61, v62
	v_pk_fma_f32 v[24:25], v[50:51], v[34:35], v[24:25] op_sel:[0,1,0]
	v_pk_fma_f32 v[22:23], v[58:59], v[34:35], v[22:23] op_sel:[0,1,0]
	;; [unrolled: 1-line block ×8, first 2 shown]
	v_dual_mov_b32 v62, v37 :: v_dual_mov_b32 v68, v65
	v_dual_mov_b32 v69, v64 :: v_dual_mov_b32 v64, v41
	;; [unrolled: 1-line block ×3, first 2 shown]
	v_pk_fma_f32 v[24:25], v[52:53], v[36:37], v[24:25] op_sel_hi:[1,0,1]
	v_pk_fma_f32 v[22:23], v[60:61], v[36:37], v[22:23] op_sel_hi:[1,0,1]
	;; [unrolled: 1-line block ×16, first 2 shown]
	s_cbranch_vccnz .LBB450_5
.LBB450_6:                              ;   in Loop: Header=BB450_3 Depth=1
	s_mul_u64 s[16:17], s[22:23], s[2:3]
	s_and_not1_b32 vcc_lo, exec_lo, s1
	s_lshl_b64 s[16:17], s[16:17], 2
	s_delay_alu instid0(SALU_CYCLE_1) | instskip(NEXT) | instid1(SALU_CYCLE_1)
	s_add_nc_u64 s[16:17], s[10:11], s[16:17]
	v_lshl_add_u64 v[26:27], v[0:1], 2, s[16:17]
	s_delay_alu instid0(VALU_DEP_1)
	v_add_nc_u64_e32 v[28:29], v[26:27], v[8:9]
	v_add_nc_u64_e32 v[26:27], s[12:13], v[26:27]
	s_cbranch_vccnz .LBB450_8
; %bb.7:                                ;   in Loop: Header=BB450_3 Depth=1
	v_dual_mul_f32 v36, s30, v25 :: v_dual_mul_f32 v37, s30, v24
	s_delay_alu instid0(VALU_DEP_2)
	v_add_nc_u64_e32 v[34:35], s[12:13], v[26:27]
	v_dual_mul_f32 v38, s30, v23 :: v_dual_mul_f32 v39, s30, v22
	s_clause 0x3
	global_store_b32 v[28:29], v36, off
	global_store_b32 v[28:29], v37, off offset:64
	global_store_b32 v[28:29], v38, off offset:128
	;; [unrolled: 1-line block ×3, first 2 shown]
	s_wait_xcnt 0x2
	v_add_nc_u64_e32 v[36:37], v[26:27], v[8:9]
	v_dual_mul_f32 v40, s30, v21 :: v_dual_mul_f32 v41, s30, v20
	s_wait_xcnt 0x0
	v_add_nc_u64_e32 v[38:39], v[34:35], v[8:9]
	v_add_nc_u64_e32 v[34:35], s[12:13], v[34:35]
	v_dual_mul_f32 v42, s30, v19 :: v_dual_mul_f32 v43, s30, v18
	s_clause 0x3
	global_store_b32 v[36:37], v40, off
	global_store_b32 v[36:37], v41, off offset:64
	global_store_b32 v[36:37], v42, off offset:128
	;; [unrolled: 1-line block ×3, first 2 shown]
	s_wait_xcnt 0x0
	v_dual_mul_f32 v36, s30, v17 :: v_dual_mul_f32 v37, s30, v16
	v_dual_mul_f32 v40, s30, v15 :: v_dual_mul_f32 v41, s30, v14
	v_add_nc_u64_e32 v[34:35], v[34:35], v[8:9]
	s_clause 0x3
	global_store_b32 v[38:39], v36, off
	global_store_b32 v[38:39], v37, off offset:64
	global_store_b32 v[38:39], v40, off offset:128
	;; [unrolled: 1-line block ×3, first 2 shown]
	s_wait_xcnt 0x2
	v_dual_mul_f32 v36, s30, v13 :: v_dual_mul_f32 v37, s30, v12
	s_wait_xcnt 0x0
	v_dual_mul_f32 v38, s30, v11 :: v_dual_mul_f32 v39, s30, v10
	s_clause 0x3
	global_store_b32 v[34:35], v36, off
	global_store_b32 v[34:35], v37, off offset:64
	global_store_b32 v[34:35], v38, off offset:128
	;; [unrolled: 1-line block ×3, first 2 shown]
	s_cbranch_execnz .LBB450_2
	s_branch .LBB450_9
.LBB450_8:                              ;   in Loop: Header=BB450_3 Depth=1
.LBB450_9:                              ;   in Loop: Header=BB450_3 Depth=1
	s_mul_u64 s[16:17], s[8:9], s[2:3]
	s_wait_xcnt 0x0
	v_lshl_add_u64 v[34:35], s[16:17], 2, v[2:3]
	s_delay_alu instid0(VALU_DEP_1) | instskip(SKIP_3) | instid1(VALU_DEP_1)
	v_add_nc_u64_e32 v[36:37], v[34:35], v[8:9]
	global_load_b32 v38, v[36:37], off
	s_wait_loadcnt 0x0
	v_mul_f32_e32 v38, s33, v38
	v_fmac_f32_e32 v38, s30, v25
	global_store_b32 v[28:29], v38, off
	global_load_b32 v25, v[36:37], off offset:64
	s_wait_loadcnt 0x0
	v_mul_f32_e32 v25, s33, v25
	s_delay_alu instid0(VALU_DEP_1) | instskip(SKIP_4) | instid1(VALU_DEP_1)
	v_fmac_f32_e32 v25, s30, v24
	global_store_b32 v[28:29], v25, off offset:64
	global_load_b32 v24, v[36:37], off offset:128
	s_wait_loadcnt 0x0
	v_mul_f32_e32 v24, s33, v24
	v_fmac_f32_e32 v24, s30, v23
	global_store_b32 v[28:29], v24, off offset:128
	global_load_b32 v23, v[36:37], off offset:192
	s_wait_xcnt 0x1
	v_add_nc_u64_e32 v[24:25], s[14:15], v[34:35]
	s_delay_alu instid0(VALU_DEP_1) | instskip(SKIP_2) | instid1(VALU_DEP_1)
	v_add_nc_u64_e32 v[34:35], v[24:25], v[8:9]
	s_wait_loadcnt 0x0
	v_mul_f32_e32 v23, s33, v23
	v_fmac_f32_e32 v23, s30, v22
	global_store_b32 v[28:29], v23, off offset:192
	global_load_b32 v22, v[34:35], off
	s_wait_loadcnt 0x0
	s_wait_xcnt 0x1
	v_mul_f32_e32 v28, s33, v22
	v_add_nc_u64_e32 v[22:23], v[26:27], v[8:9]
	s_delay_alu instid0(VALU_DEP_2) | instskip(SKIP_4) | instid1(VALU_DEP_1)
	v_fmac_f32_e32 v28, s30, v21
	global_store_b32 v[22:23], v28, off
	global_load_b32 v21, v[34:35], off offset:64
	s_wait_loadcnt 0x0
	v_mul_f32_e32 v21, s33, v21
	v_fmac_f32_e32 v21, s30, v20
	global_store_b32 v[22:23], v21, off offset:64
	global_load_b32 v20, v[34:35], off offset:128
	s_wait_loadcnt 0x0
	v_mul_f32_e32 v20, s33, v20
	s_delay_alu instid0(VALU_DEP_1) | instskip(SKIP_4) | instid1(VALU_DEP_1)
	v_fmac_f32_e32 v20, s30, v19
	global_store_b32 v[22:23], v20, off offset:128
	global_load_b32 v19, v[34:35], off offset:192
	s_wait_xcnt 0x1
	v_add_nc_u64_e32 v[20:21], s[14:15], v[24:25]
	v_add_nc_u64_e32 v[24:25], v[20:21], v[8:9]
	s_wait_loadcnt 0x0
	v_mul_f32_e32 v19, s33, v19
	s_delay_alu instid0(VALU_DEP_1)
	v_fmac_f32_e32 v19, s30, v18
	global_store_b32 v[22:23], v19, off offset:192
	global_load_b32 v22, v[24:25], off
	v_add_nc_u64_e32 v[18:19], s[12:13], v[26:27]
	s_wait_loadcnt 0x0
	v_mul_f32_e32 v26, s33, v22
	s_delay_alu instid0(VALU_DEP_2) | instskip(NEXT) | instid1(VALU_DEP_2)
	v_add_nc_u64_e32 v[22:23], v[18:19], v[8:9]
	v_fmac_f32_e32 v26, s30, v17
	global_store_b32 v[22:23], v26, off
	global_load_b32 v17, v[24:25], off offset:64
	s_wait_loadcnt 0x0
	v_mul_f32_e32 v17, s33, v17
	s_delay_alu instid0(VALU_DEP_1) | instskip(SKIP_4) | instid1(VALU_DEP_1)
	v_fmac_f32_e32 v17, s30, v16
	global_store_b32 v[22:23], v17, off offset:64
	global_load_b32 v16, v[24:25], off offset:128
	s_wait_loadcnt 0x0
	v_mul_f32_e32 v16, s33, v16
	v_fmac_f32_e32 v16, s30, v15
	global_store_b32 v[22:23], v16, off offset:128
	global_load_b32 v15, v[24:25], off offset:192
	s_wait_xcnt 0x1
	v_add_nc_u64_e32 v[16:17], s[14:15], v[20:21]
	s_delay_alu instid0(VALU_DEP_1) | instskip(SKIP_2) | instid1(VALU_DEP_1)
	v_add_nc_u64_e32 v[16:17], v[16:17], v[8:9]
	s_wait_loadcnt 0x0
	v_mul_f32_e32 v15, s33, v15
	v_fmac_f32_e32 v15, s30, v14
	global_store_b32 v[22:23], v15, off offset:192
	global_load_b32 v20, v[16:17], off
	s_wait_xcnt 0x1
	v_add_nc_u64_e32 v[14:15], s[12:13], v[18:19]
	s_delay_alu instid0(VALU_DEP_1) | instskip(SKIP_2) | instid1(VALU_DEP_1)
	v_add_nc_u64_e32 v[14:15], v[14:15], v[8:9]
	s_wait_loadcnt 0x0
	v_mul_f32_e32 v18, s33, v20
	v_fmac_f32_e32 v18, s30, v13
	global_store_b32 v[14:15], v18, off
	global_load_b32 v13, v[16:17], off offset:64
	s_wait_loadcnt 0x0
	v_mul_f32_e32 v13, s33, v13
	s_delay_alu instid0(VALU_DEP_1) | instskip(SKIP_4) | instid1(VALU_DEP_1)
	v_fmac_f32_e32 v13, s30, v12
	global_store_b32 v[14:15], v13, off offset:64
	global_load_b32 v12, v[16:17], off offset:128
	s_wait_loadcnt 0x0
	v_mul_f32_e32 v12, s33, v12
	v_fmac_f32_e32 v12, s30, v11
	global_store_b32 v[14:15], v12, off offset:128
	global_load_b32 v11, v[16:17], off offset:192
	s_wait_loadcnt 0x0
	v_mul_f32_e32 v11, s33, v11
	s_delay_alu instid0(VALU_DEP_1)
	v_fmac_f32_e32 v11, s30, v10
	global_store_b32 v[14:15], v11, off offset:192
	s_branch .LBB450_2
.LBB450_10:
	s_sendmsg sendmsg(MSG_DEALLOC_VGPRS)
	s_endpgm
	.section	.rodata,"a",@progbits
	.p2align	6, 0x0
	.amdhsa_kernel _ZN12_GLOBAL__N_127rocblas_gemm_batched_kernelIfLi16ELi16ELi64ELi64ELi4ELi64ELi4ELi4ELi64ELc67ELc78EK16rocblas_bfloat16KffEEvlllT_PT11_llS6_llS4_PT12_llPT13_lli
		.amdhsa_group_segment_fixed_size 2048
		.amdhsa_private_segment_fixed_size 0
		.amdhsa_kernarg_size 140
		.amdhsa_user_sgpr_count 2
		.amdhsa_user_sgpr_dispatch_ptr 0
		.amdhsa_user_sgpr_queue_ptr 0
		.amdhsa_user_sgpr_kernarg_segment_ptr 1
		.amdhsa_user_sgpr_dispatch_id 0
		.amdhsa_user_sgpr_kernarg_preload_length 0
		.amdhsa_user_sgpr_kernarg_preload_offset 0
		.amdhsa_user_sgpr_private_segment_size 0
		.amdhsa_wavefront_size32 1
		.amdhsa_uses_dynamic_stack 0
		.amdhsa_enable_private_segment 0
		.amdhsa_system_sgpr_workgroup_id_x 1
		.amdhsa_system_sgpr_workgroup_id_y 1
		.amdhsa_system_sgpr_workgroup_id_z 1
		.amdhsa_system_sgpr_workgroup_info 0
		.amdhsa_system_vgpr_workitem_id 1
		.amdhsa_next_free_vgpr 74
		.amdhsa_next_free_sgpr 38
		.amdhsa_named_barrier_count 0
		.amdhsa_reserve_vcc 1
		.amdhsa_float_round_mode_32 0
		.amdhsa_float_round_mode_16_64 0
		.amdhsa_float_denorm_mode_32 3
		.amdhsa_float_denorm_mode_16_64 3
		.amdhsa_fp16_overflow 0
		.amdhsa_memory_ordered 1
		.amdhsa_forward_progress 1
		.amdhsa_inst_pref_size 19
		.amdhsa_round_robin_scheduling 0
		.amdhsa_exception_fp_ieee_invalid_op 0
		.amdhsa_exception_fp_denorm_src 0
		.amdhsa_exception_fp_ieee_div_zero 0
		.amdhsa_exception_fp_ieee_overflow 0
		.amdhsa_exception_fp_ieee_underflow 0
		.amdhsa_exception_fp_ieee_inexact 0
		.amdhsa_exception_int_div_zero 0
	.end_amdhsa_kernel
	.section	.text._ZN12_GLOBAL__N_127rocblas_gemm_batched_kernelIfLi16ELi16ELi64ELi64ELi4ELi64ELi4ELi4ELi64ELc67ELc78EK16rocblas_bfloat16KffEEvlllT_PT11_llS6_llS4_PT12_llPT13_lli,"axG",@progbits,_ZN12_GLOBAL__N_127rocblas_gemm_batched_kernelIfLi16ELi16ELi64ELi64ELi4ELi64ELi4ELi4ELi64ELc67ELc78EK16rocblas_bfloat16KffEEvlllT_PT11_llS6_llS4_PT12_llPT13_lli,comdat
.Lfunc_end450:
	.size	_ZN12_GLOBAL__N_127rocblas_gemm_batched_kernelIfLi16ELi16ELi64ELi64ELi4ELi64ELi4ELi4ELi64ELc67ELc78EK16rocblas_bfloat16KffEEvlllT_PT11_llS6_llS4_PT12_llPT13_lli, .Lfunc_end450-_ZN12_GLOBAL__N_127rocblas_gemm_batched_kernelIfLi16ELi16ELi64ELi64ELi4ELi64ELi4ELi4ELi64ELc67ELc78EK16rocblas_bfloat16KffEEvlllT_PT11_llS6_llS4_PT12_llPT13_lli
                                        ; -- End function
	.set _ZN12_GLOBAL__N_127rocblas_gemm_batched_kernelIfLi16ELi16ELi64ELi64ELi4ELi64ELi4ELi4ELi64ELc67ELc78EK16rocblas_bfloat16KffEEvlllT_PT11_llS6_llS4_PT12_llPT13_lli.num_vgpr, 74
	.set _ZN12_GLOBAL__N_127rocblas_gemm_batched_kernelIfLi16ELi16ELi64ELi64ELi4ELi64ELi4ELi4ELi64ELc67ELc78EK16rocblas_bfloat16KffEEvlllT_PT11_llS6_llS4_PT12_llPT13_lli.num_agpr, 0
	.set _ZN12_GLOBAL__N_127rocblas_gemm_batched_kernelIfLi16ELi16ELi64ELi64ELi4ELi64ELi4ELi4ELi64ELc67ELc78EK16rocblas_bfloat16KffEEvlllT_PT11_llS6_llS4_PT12_llPT13_lli.numbered_sgpr, 38
	.set _ZN12_GLOBAL__N_127rocblas_gemm_batched_kernelIfLi16ELi16ELi64ELi64ELi4ELi64ELi4ELi4ELi64ELc67ELc78EK16rocblas_bfloat16KffEEvlllT_PT11_llS6_llS4_PT12_llPT13_lli.num_named_barrier, 0
	.set _ZN12_GLOBAL__N_127rocblas_gemm_batched_kernelIfLi16ELi16ELi64ELi64ELi4ELi64ELi4ELi4ELi64ELc67ELc78EK16rocblas_bfloat16KffEEvlllT_PT11_llS6_llS4_PT12_llPT13_lli.private_seg_size, 0
	.set _ZN12_GLOBAL__N_127rocblas_gemm_batched_kernelIfLi16ELi16ELi64ELi64ELi4ELi64ELi4ELi4ELi64ELc67ELc78EK16rocblas_bfloat16KffEEvlllT_PT11_llS6_llS4_PT12_llPT13_lli.uses_vcc, 1
	.set _ZN12_GLOBAL__N_127rocblas_gemm_batched_kernelIfLi16ELi16ELi64ELi64ELi4ELi64ELi4ELi4ELi64ELc67ELc78EK16rocblas_bfloat16KffEEvlllT_PT11_llS6_llS4_PT12_llPT13_lli.uses_flat_scratch, 0
	.set _ZN12_GLOBAL__N_127rocblas_gemm_batched_kernelIfLi16ELi16ELi64ELi64ELi4ELi64ELi4ELi4ELi64ELc67ELc78EK16rocblas_bfloat16KffEEvlllT_PT11_llS6_llS4_PT12_llPT13_lli.has_dyn_sized_stack, 0
	.set _ZN12_GLOBAL__N_127rocblas_gemm_batched_kernelIfLi16ELi16ELi64ELi64ELi4ELi64ELi4ELi4ELi64ELc67ELc78EK16rocblas_bfloat16KffEEvlllT_PT11_llS6_llS4_PT12_llPT13_lli.has_recursion, 0
	.set _ZN12_GLOBAL__N_127rocblas_gemm_batched_kernelIfLi16ELi16ELi64ELi64ELi4ELi64ELi4ELi4ELi64ELc67ELc78EK16rocblas_bfloat16KffEEvlllT_PT11_llS6_llS4_PT12_llPT13_lli.has_indirect_call, 0
	.section	.AMDGPU.csdata,"",@progbits
; Kernel info:
; codeLenInByte = 2348
; TotalNumSgprs: 40
; NumVgprs: 74
; ScratchSize: 0
; MemoryBound: 0
; FloatMode: 240
; IeeeMode: 1
; LDSByteSize: 2048 bytes/workgroup (compile time only)
; SGPRBlocks: 0
; VGPRBlocks: 4
; NumSGPRsForWavesPerEU: 40
; NumVGPRsForWavesPerEU: 74
; NamedBarCnt: 0
; Occupancy: 12
; WaveLimiterHint : 0
; COMPUTE_PGM_RSRC2:SCRATCH_EN: 0
; COMPUTE_PGM_RSRC2:USER_SGPR: 2
; COMPUTE_PGM_RSRC2:TRAP_HANDLER: 0
; COMPUTE_PGM_RSRC2:TGID_X_EN: 1
; COMPUTE_PGM_RSRC2:TGID_Y_EN: 1
; COMPUTE_PGM_RSRC2:TGID_Z_EN: 1
; COMPUTE_PGM_RSRC2:TIDIG_COMP_CNT: 1
	.section	.text._ZN12_GLOBAL__N_127rocblas_gemm_batched_kernelIfLi16ELi16ELi64ELi64ELi4ELi64ELi4ELi4ELi64ELc67ELc84EK16rocblas_bfloat16KffEEvlllT_PT11_llS6_llS4_PT12_llPT13_lli,"axG",@progbits,_ZN12_GLOBAL__N_127rocblas_gemm_batched_kernelIfLi16ELi16ELi64ELi64ELi4ELi64ELi4ELi4ELi64ELc67ELc84EK16rocblas_bfloat16KffEEvlllT_PT11_llS6_llS4_PT12_llPT13_lli,comdat
	.globl	_ZN12_GLOBAL__N_127rocblas_gemm_batched_kernelIfLi16ELi16ELi64ELi64ELi4ELi64ELi4ELi4ELi64ELc67ELc84EK16rocblas_bfloat16KffEEvlllT_PT11_llS6_llS4_PT12_llPT13_lli ; -- Begin function _ZN12_GLOBAL__N_127rocblas_gemm_batched_kernelIfLi16ELi16ELi64ELi64ELi4ELi64ELi4ELi4ELi64ELc67ELc84EK16rocblas_bfloat16KffEEvlllT_PT11_llS6_llS4_PT12_llPT13_lli
	.p2align	8
	.type	_ZN12_GLOBAL__N_127rocblas_gemm_batched_kernelIfLi16ELi16ELi64ELi64ELi4ELi64ELi4ELi4ELi64ELc67ELc84EK16rocblas_bfloat16KffEEvlllT_PT11_llS6_llS4_PT12_llPT13_lli,@function
_ZN12_GLOBAL__N_127rocblas_gemm_batched_kernelIfLi16ELi16ELi64ELi64ELi4ELi64ELi4ELi4ELi64ELc67ELc84EK16rocblas_bfloat16KffEEvlllT_PT11_llS6_llS4_PT12_llPT13_lli: ; @_ZN12_GLOBAL__N_127rocblas_gemm_batched_kernelIfLi16ELi16ELi64ELi64ELi4ELi64ELi4ELi4ELi64ELc67ELc84EK16rocblas_bfloat16KffEEvlllT_PT11_llS6_llS4_PT12_llPT13_lli
; %bb.0:
	s_load_b32 s31, s[0:1], 0x88
	s_bfe_u32 s2, ttmp6, 0x40014
	s_lshr_b32 s3, ttmp7, 16
	s_add_co_i32 s2, s2, 1
	s_bfe_u32 s4, ttmp6, 0x40008
	s_mul_i32 s2, s3, s2
	s_getreg_b32 s20, hwreg(HW_REG_IB_STS2, 6, 4)
	s_add_co_i32 s4, s4, s2
	s_cmp_eq_u32 s20, 0
	s_cselect_b32 s2, s3, s4
	s_mov_b32 s3, 0
	s_wait_kmcnt 0x0
	s_cmp_ge_i32 s2, s31
	s_cbranch_scc1 .LBB451_10
; %bb.1:
	s_bfe_u32 s21, ttmp6, 0x4000c
	s_bfe_u32 s23, ttmp6, 0x40010
	s_add_co_i32 s21, s21, 1
	s_and_b32 s28, ttmp7, 0xffff
	s_add_co_i32 s23, s23, 1
	v_bfe_u32 v4, v0, 10, 10
	s_and_b32 s22, ttmp6, 15
	s_mul_i32 s21, ttmp9, s21
	s_mul_i32 s23, s28, s23
	s_bfe_u32 s29, ttmp6, 0x40004
	s_add_co_i32 s22, s22, s21
	s_add_co_i32 s29, s29, s23
	s_cmp_eq_u32 s20, 0
	v_and_b32_e32 v2, 0x3ff, v0
	v_dual_mov_b32 v5, 0 :: v_dual_lshlrev_b32 v16, 4, v4
	s_cselect_b32 s20, ttmp9, s22
	s_clause 0x2
	s_load_b256 s[12:19], s[0:1], 0x20
	s_load_b128 s[24:27], s[0:1], 0x40
	s_load_b256 s[4:11], s[0:1], 0x58
	s_cselect_b32 s22, s28, s29
	s_ashr_i32 s21, s20, 31
	s_lshl_b32 s34, s22, 6
	s_lshl_b64 s[36:37], s[20:21], 6
	v_add_nc_u32_e32 v1, v16, v2
	s_load_b128 s[20:23], s[0:1], 0x78
	s_mov_b32 s35, s3
	v_mov_b32_e32 v9, s37
	v_add_nc_u64_e32 v[6:7], s[34:35], v[4:5]
	v_and_b32_e32 v3, 63, v1
	s_clause 0x1
	s_load_b32 s33, s[0:1], 0x50
	s_load_b96 s[28:30], s[0:1], 0x10
	v_add_nc_u32_e32 v33, 0x400, v16
	v_dual_lshlrev_b32 v32, 2, v2 :: v_dual_bitop2_b32 v8, s36, v3 bitop3:0x54
	v_dual_lshrrev_b32 v10, 2, v1 :: v_dual_bitop2_b32 v4, 3, v0 bitop3:0x40
	v_mov_b32_e32 v11, v5
	s_wait_kmcnt 0x0
	s_delay_alu instid0(VALU_DEP_3)
	v_mul_u64_e32 v[8:9], s[14:15], v[8:9]
	v_mul_u64_e32 v[12:13], s[6:7], v[6:7]
	v_lshlrev_b32_e32 v17, 2, v4
	v_mad_nc_u64_u32 v[14:15], s24, v4, v[10:11]
	v_lshrrev_b32_e32 v11, 6, v1
	v_mul_u64_e32 v[0:1], s[20:21], v[6:7]
	v_dual_mov_b32 v3, v5 :: v_dual_lshlrev_b32 v6, 2, v3
	s_cmp_eq_f32 s33, 0
	v_cmp_gt_i64_e64 s0, s[28:29], 0
	s_delay_alu instid0(VALU_DEP_2)
	v_lshl_or_b32 v30, v11, 8, v6
	v_mad_u32 v15, s25, v4, v15
	v_lshl_or_b32 v4, v10, 4, v17
	s_cselect_b32 s1, -1, 0
	s_lshl_b64 s[14:15], s[20:21], 4
	s_lshl_b64 s[20:21], s[6:7], 4
	s_lshl_b64 s[6:7], s[24:25], 3
	v_add_nc_u32_e32 v31, 0x400, v4
	v_lshlrev_b32_e32 v4, 1, v11
	v_add_nc_u64_e32 v[10:11], s[36:37], v[2:3]
	s_lshl_b64 s[14:15], s[14:15], 2
	v_add_nc_u64_e32 v[6:7], s[34:35], v[14:15]
	s_delay_alu instid0(VALU_DEP_3) | instskip(SKIP_2) | instid1(VALU_DEP_4)
	v_lshl_add_u64 v[8:9], v[8:9], 1, v[4:5]
	v_lshl_add_u64 v[2:3], v[12:13], 2, s[4:5]
	v_cndmask_b32_e64 v12, 0, 1, s0
	v_lshl_add_u64 v[4:5], v[6:7], 1, s[18:19]
	s_lshl_b64 s[4:5], s[26:27], 1
	v_add_nc_u64_e32 v[6:7], s[12:13], v[8:9]
	v_lshlrev_b64_e32 v[8:9], 2, v[10:11]
	v_cmp_ne_u32_e64 s0, 1, v12
	s_lshl_b64 s[12:13], s[16:17], 1
	s_lshl_b64 s[16:17], s[20:21], 2
	s_branch .LBB451_3
.LBB451_2:                              ;   in Loop: Header=BB451_3 Depth=1
	s_add_co_i32 s2, s2, 0x10000
	s_delay_alu instid0(SALU_CYCLE_1)
	s_cmp_lt_i32 s2, s31
	s_cbranch_scc0 .LBB451_10
.LBB451_3:                              ; =>This Loop Header: Depth=1
                                        ;     Child Loop BB451_5 Depth 2
	v_dual_mov_b32 v25, 0 :: v_dual_mov_b32 v24, 0
	v_dual_mov_b32 v23, 0 :: v_dual_mov_b32 v22, 0
	;; [unrolled: 1-line block ×3, first 2 shown]
	s_wait_xcnt 0x6
	v_dual_mov_b32 v19, 0 :: v_dual_mov_b32 v18, 0
	s_wait_xcnt 0x1
	v_dual_mov_b32 v17, 0 :: v_dual_mov_b32 v16, 0
	;; [unrolled: 2-line block ×3, first 2 shown]
	v_dual_mov_b32 v13, 0 :: v_dual_mov_b32 v12, 0
	v_dual_mov_b32 v11, 0 :: v_dual_mov_b32 v10, 0
	s_and_b32 vcc_lo, exec_lo, s0
	s_cbranch_vccnz .LBB451_6
; %bb.4:                                ;   in Loop: Header=BB451_3 Depth=1
	v_mad_nc_u64_u32 v[26:27], s4, s2, v[4:5]
	v_mad_nc_u64_u32 v[28:29], s12, s2, v[6:7]
	v_mov_b32_e32 v10, 0
	s_mov_b64 s[18:19], 0
	s_delay_alu instid0(VALU_DEP_1)
	v_dual_mov_b32 v11, v10 :: v_dual_mov_b32 v12, v10
	v_dual_mov_b32 v13, v10 :: v_dual_mov_b32 v14, v10
	v_mad_u32 v27, s5, s2, v27
	v_mad_u32 v29, s13, s2, v29
	v_dual_mov_b32 v15, v10 :: v_dual_mov_b32 v16, v10
	v_dual_mov_b32 v17, v10 :: v_dual_mov_b32 v18, v10
	;; [unrolled: 1-line block ×5, first 2 shown]
	v_mov_b32_e32 v25, v10
.LBB451_5:                              ;   Parent Loop BB451_3 Depth=1
                                        ; =>  This Inner Loop Header: Depth=2
	global_load_u16 v34, v[28:29], off
	global_load_u16 v35, v[26:27], off
	s_add_nc_u64 s[18:19], s[18:19], 4
	s_wait_xcnt 0x0
	v_add_nc_u64_e32 v[26:27], s[6:7], v[26:27]
	v_cmp_lt_i64_e64 s20, s[18:19], s[28:29]
	v_add_nc_u64_e32 v[28:29], 8, v[28:29]
	s_and_b32 vcc_lo, exec_lo, s20
	s_wait_loadcnt 0x0
	v_dual_lshlrev_b32 v34, 16, v34 :: v_dual_lshlrev_b32 v35, 16, v35
	ds_store_b32 v30, v34
	ds_store_b32 v31, v35
	s_wait_dscnt 0x0
	s_barrier_signal -1
	s_barrier_wait -1
	ds_load_2addr_b32 v[50:51], v32 offset1:16
	ds_load_2addr_b32 v[52:53], v32 offset0:64 offset1:80
	ds_load_2addr_b32 v[54:55], v32 offset0:128 offset1:144
	;; [unrolled: 1-line block ×6, first 2 shown]
	ds_load_b128 v[34:37], v33
	ds_load_b128 v[38:41], v33 offset:256
	ds_load_2addr_b32 v[64:65], v32 offset0:224 offset1:240
	ds_load_b128 v[42:45], v33 offset:512
	ds_load_b128 v[46:49], v33 offset:768
	s_wait_dscnt 0x0
	s_barrier_signal -1
	s_barrier_wait -1
	v_dual_mov_b32 v66, v51 :: v_dual_mov_b32 v67, v50
	v_dual_mov_b32 v50, v53 :: v_dual_mov_b32 v51, v52
	;; [unrolled: 1-line block ×6, first 2 shown]
	v_pk_fma_f32 v[24:25], v[66:67], v[34:35], v[24:25] op_sel_hi:[1,0,1]
	v_pk_fma_f32 v[20:21], v[66:67], v[38:39], v[20:21] op_sel_hi:[1,0,1]
	s_delay_alu instid0(VALU_DEP_4)
	v_pk_fma_f32 v[22:23], v[56:57], v[34:35], v[22:23] op_sel_hi:[1,0,1]
	v_pk_fma_f32 v[16:17], v[66:67], v[42:43], v[16:17] op_sel_hi:[1,0,1]
	;; [unrolled: 1-line block ×6, first 2 shown]
	v_dual_mov_b32 v60, v63 :: v_dual_mov_b32 v61, v62
	v_pk_fma_f32 v[24:25], v[50:51], v[34:35], v[24:25] op_sel:[0,1,0]
	v_pk_fma_f32 v[22:23], v[58:59], v[34:35], v[22:23] op_sel:[0,1,0]
	;; [unrolled: 1-line block ×8, first 2 shown]
	v_dual_mov_b32 v62, v37 :: v_dual_mov_b32 v68, v65
	v_dual_mov_b32 v69, v64 :: v_dual_mov_b32 v64, v41
	;; [unrolled: 1-line block ×3, first 2 shown]
	v_pk_fma_f32 v[24:25], v[52:53], v[36:37], v[24:25] op_sel_hi:[1,0,1]
	v_pk_fma_f32 v[22:23], v[60:61], v[36:37], v[22:23] op_sel_hi:[1,0,1]
	;; [unrolled: 1-line block ×16, first 2 shown]
	s_cbranch_vccnz .LBB451_5
.LBB451_6:                              ;   in Loop: Header=BB451_3 Depth=1
	s_mul_u64 s[18:19], s[22:23], s[2:3]
	s_and_not1_b32 vcc_lo, exec_lo, s1
	s_lshl_b64 s[18:19], s[18:19], 2
	s_delay_alu instid0(SALU_CYCLE_1) | instskip(NEXT) | instid1(SALU_CYCLE_1)
	s_add_nc_u64 s[18:19], s[10:11], s[18:19]
	v_lshl_add_u64 v[26:27], v[0:1], 2, s[18:19]
	s_delay_alu instid0(VALU_DEP_1)
	v_add_nc_u64_e32 v[28:29], v[26:27], v[8:9]
	v_add_nc_u64_e32 v[26:27], s[14:15], v[26:27]
	s_cbranch_vccnz .LBB451_8
; %bb.7:                                ;   in Loop: Header=BB451_3 Depth=1
	v_dual_mul_f32 v36, s30, v25 :: v_dual_mul_f32 v37, s30, v24
	s_delay_alu instid0(VALU_DEP_2)
	v_add_nc_u64_e32 v[34:35], s[14:15], v[26:27]
	v_dual_mul_f32 v38, s30, v23 :: v_dual_mul_f32 v39, s30, v22
	s_clause 0x3
	global_store_b32 v[28:29], v36, off
	global_store_b32 v[28:29], v37, off offset:64
	global_store_b32 v[28:29], v38, off offset:128
	;; [unrolled: 1-line block ×3, first 2 shown]
	s_wait_xcnt 0x2
	v_add_nc_u64_e32 v[36:37], v[26:27], v[8:9]
	v_dual_mul_f32 v40, s30, v21 :: v_dual_mul_f32 v41, s30, v20
	s_wait_xcnt 0x0
	v_add_nc_u64_e32 v[38:39], v[34:35], v[8:9]
	v_add_nc_u64_e32 v[34:35], s[14:15], v[34:35]
	v_dual_mul_f32 v42, s30, v19 :: v_dual_mul_f32 v43, s30, v18
	s_clause 0x3
	global_store_b32 v[36:37], v40, off
	global_store_b32 v[36:37], v41, off offset:64
	global_store_b32 v[36:37], v42, off offset:128
	;; [unrolled: 1-line block ×3, first 2 shown]
	s_wait_xcnt 0x0
	v_dual_mul_f32 v36, s30, v17 :: v_dual_mul_f32 v37, s30, v16
	v_dual_mul_f32 v40, s30, v15 :: v_dual_mul_f32 v41, s30, v14
	v_add_nc_u64_e32 v[34:35], v[34:35], v[8:9]
	s_clause 0x3
	global_store_b32 v[38:39], v36, off
	global_store_b32 v[38:39], v37, off offset:64
	global_store_b32 v[38:39], v40, off offset:128
	;; [unrolled: 1-line block ×3, first 2 shown]
	s_wait_xcnt 0x2
	v_dual_mul_f32 v36, s30, v13 :: v_dual_mul_f32 v37, s30, v12
	s_wait_xcnt 0x0
	v_dual_mul_f32 v38, s30, v11 :: v_dual_mul_f32 v39, s30, v10
	s_clause 0x3
	global_store_b32 v[34:35], v36, off
	global_store_b32 v[34:35], v37, off offset:64
	global_store_b32 v[34:35], v38, off offset:128
	;; [unrolled: 1-line block ×3, first 2 shown]
	s_cbranch_execnz .LBB451_2
	s_branch .LBB451_9
.LBB451_8:                              ;   in Loop: Header=BB451_3 Depth=1
.LBB451_9:                              ;   in Loop: Header=BB451_3 Depth=1
	s_mul_u64 s[18:19], s[8:9], s[2:3]
	s_wait_xcnt 0x0
	v_lshl_add_u64 v[34:35], s[18:19], 2, v[2:3]
	s_delay_alu instid0(VALU_DEP_1) | instskip(SKIP_3) | instid1(VALU_DEP_1)
	v_add_nc_u64_e32 v[36:37], v[34:35], v[8:9]
	global_load_b32 v38, v[36:37], off
	s_wait_loadcnt 0x0
	v_mul_f32_e32 v38, s33, v38
	v_fmac_f32_e32 v38, s30, v25
	global_store_b32 v[28:29], v38, off
	global_load_b32 v25, v[36:37], off offset:64
	s_wait_loadcnt 0x0
	v_mul_f32_e32 v25, s33, v25
	s_delay_alu instid0(VALU_DEP_1) | instskip(SKIP_4) | instid1(VALU_DEP_1)
	v_fmac_f32_e32 v25, s30, v24
	global_store_b32 v[28:29], v25, off offset:64
	global_load_b32 v24, v[36:37], off offset:128
	s_wait_loadcnt 0x0
	v_mul_f32_e32 v24, s33, v24
	v_fmac_f32_e32 v24, s30, v23
	global_store_b32 v[28:29], v24, off offset:128
	global_load_b32 v23, v[36:37], off offset:192
	s_wait_xcnt 0x1
	v_add_nc_u64_e32 v[24:25], s[16:17], v[34:35]
	s_delay_alu instid0(VALU_DEP_1) | instskip(SKIP_2) | instid1(VALU_DEP_1)
	v_add_nc_u64_e32 v[34:35], v[24:25], v[8:9]
	s_wait_loadcnt 0x0
	v_mul_f32_e32 v23, s33, v23
	v_fmac_f32_e32 v23, s30, v22
	global_store_b32 v[28:29], v23, off offset:192
	global_load_b32 v22, v[34:35], off
	s_wait_loadcnt 0x0
	s_wait_xcnt 0x1
	v_mul_f32_e32 v28, s33, v22
	v_add_nc_u64_e32 v[22:23], v[26:27], v[8:9]
	s_delay_alu instid0(VALU_DEP_2) | instskip(SKIP_4) | instid1(VALU_DEP_1)
	v_fmac_f32_e32 v28, s30, v21
	global_store_b32 v[22:23], v28, off
	global_load_b32 v21, v[34:35], off offset:64
	s_wait_loadcnt 0x0
	v_mul_f32_e32 v21, s33, v21
	v_fmac_f32_e32 v21, s30, v20
	global_store_b32 v[22:23], v21, off offset:64
	global_load_b32 v20, v[34:35], off offset:128
	s_wait_loadcnt 0x0
	v_mul_f32_e32 v20, s33, v20
	s_delay_alu instid0(VALU_DEP_1) | instskip(SKIP_4) | instid1(VALU_DEP_1)
	v_fmac_f32_e32 v20, s30, v19
	global_store_b32 v[22:23], v20, off offset:128
	global_load_b32 v19, v[34:35], off offset:192
	s_wait_xcnt 0x1
	v_add_nc_u64_e32 v[20:21], s[16:17], v[24:25]
	v_add_nc_u64_e32 v[24:25], v[20:21], v[8:9]
	s_wait_loadcnt 0x0
	v_mul_f32_e32 v19, s33, v19
	s_delay_alu instid0(VALU_DEP_1)
	v_fmac_f32_e32 v19, s30, v18
	global_store_b32 v[22:23], v19, off offset:192
	global_load_b32 v22, v[24:25], off
	v_add_nc_u64_e32 v[18:19], s[14:15], v[26:27]
	s_wait_loadcnt 0x0
	v_mul_f32_e32 v26, s33, v22
	s_delay_alu instid0(VALU_DEP_2) | instskip(NEXT) | instid1(VALU_DEP_2)
	v_add_nc_u64_e32 v[22:23], v[18:19], v[8:9]
	v_fmac_f32_e32 v26, s30, v17
	global_store_b32 v[22:23], v26, off
	global_load_b32 v17, v[24:25], off offset:64
	s_wait_loadcnt 0x0
	v_mul_f32_e32 v17, s33, v17
	s_delay_alu instid0(VALU_DEP_1) | instskip(SKIP_4) | instid1(VALU_DEP_1)
	v_fmac_f32_e32 v17, s30, v16
	global_store_b32 v[22:23], v17, off offset:64
	global_load_b32 v16, v[24:25], off offset:128
	s_wait_loadcnt 0x0
	v_mul_f32_e32 v16, s33, v16
	v_fmac_f32_e32 v16, s30, v15
	global_store_b32 v[22:23], v16, off offset:128
	global_load_b32 v15, v[24:25], off offset:192
	s_wait_xcnt 0x1
	v_add_nc_u64_e32 v[16:17], s[16:17], v[20:21]
	s_delay_alu instid0(VALU_DEP_1) | instskip(SKIP_2) | instid1(VALU_DEP_1)
	v_add_nc_u64_e32 v[16:17], v[16:17], v[8:9]
	s_wait_loadcnt 0x0
	v_mul_f32_e32 v15, s33, v15
	v_fmac_f32_e32 v15, s30, v14
	global_store_b32 v[22:23], v15, off offset:192
	global_load_b32 v20, v[16:17], off
	s_wait_xcnt 0x1
	v_add_nc_u64_e32 v[14:15], s[14:15], v[18:19]
	s_delay_alu instid0(VALU_DEP_1) | instskip(SKIP_2) | instid1(VALU_DEP_1)
	v_add_nc_u64_e32 v[14:15], v[14:15], v[8:9]
	s_wait_loadcnt 0x0
	v_mul_f32_e32 v18, s33, v20
	v_fmac_f32_e32 v18, s30, v13
	global_store_b32 v[14:15], v18, off
	global_load_b32 v13, v[16:17], off offset:64
	s_wait_loadcnt 0x0
	v_mul_f32_e32 v13, s33, v13
	s_delay_alu instid0(VALU_DEP_1) | instskip(SKIP_4) | instid1(VALU_DEP_1)
	v_fmac_f32_e32 v13, s30, v12
	global_store_b32 v[14:15], v13, off offset:64
	global_load_b32 v12, v[16:17], off offset:128
	s_wait_loadcnt 0x0
	v_mul_f32_e32 v12, s33, v12
	v_fmac_f32_e32 v12, s30, v11
	global_store_b32 v[14:15], v12, off offset:128
	global_load_b32 v11, v[16:17], off offset:192
	s_wait_loadcnt 0x0
	v_mul_f32_e32 v11, s33, v11
	s_delay_alu instid0(VALU_DEP_1)
	v_fmac_f32_e32 v11, s30, v10
	global_store_b32 v[14:15], v11, off offset:192
	s_branch .LBB451_2
.LBB451_10:
	s_sendmsg sendmsg(MSG_DEALLOC_VGPRS)
	s_endpgm
	.section	.rodata,"a",@progbits
	.p2align	6, 0x0
	.amdhsa_kernel _ZN12_GLOBAL__N_127rocblas_gemm_batched_kernelIfLi16ELi16ELi64ELi64ELi4ELi64ELi4ELi4ELi64ELc67ELc84EK16rocblas_bfloat16KffEEvlllT_PT11_llS6_llS4_PT12_llPT13_lli
		.amdhsa_group_segment_fixed_size 2048
		.amdhsa_private_segment_fixed_size 0
		.amdhsa_kernarg_size 140
		.amdhsa_user_sgpr_count 2
		.amdhsa_user_sgpr_dispatch_ptr 0
		.amdhsa_user_sgpr_queue_ptr 0
		.amdhsa_user_sgpr_kernarg_segment_ptr 1
		.amdhsa_user_sgpr_dispatch_id 0
		.amdhsa_user_sgpr_kernarg_preload_length 0
		.amdhsa_user_sgpr_kernarg_preload_offset 0
		.amdhsa_user_sgpr_private_segment_size 0
		.amdhsa_wavefront_size32 1
		.amdhsa_uses_dynamic_stack 0
		.amdhsa_enable_private_segment 0
		.amdhsa_system_sgpr_workgroup_id_x 1
		.amdhsa_system_sgpr_workgroup_id_y 1
		.amdhsa_system_sgpr_workgroup_id_z 1
		.amdhsa_system_sgpr_workgroup_info 0
		.amdhsa_system_vgpr_workitem_id 1
		.amdhsa_next_free_vgpr 74
		.amdhsa_next_free_sgpr 38
		.amdhsa_named_barrier_count 0
		.amdhsa_reserve_vcc 1
		.amdhsa_float_round_mode_32 0
		.amdhsa_float_round_mode_16_64 0
		.amdhsa_float_denorm_mode_32 3
		.amdhsa_float_denorm_mode_16_64 3
		.amdhsa_fp16_overflow 0
		.amdhsa_memory_ordered 1
		.amdhsa_forward_progress 1
		.amdhsa_inst_pref_size 19
		.amdhsa_round_robin_scheduling 0
		.amdhsa_exception_fp_ieee_invalid_op 0
		.amdhsa_exception_fp_denorm_src 0
		.amdhsa_exception_fp_ieee_div_zero 0
		.amdhsa_exception_fp_ieee_overflow 0
		.amdhsa_exception_fp_ieee_underflow 0
		.amdhsa_exception_fp_ieee_inexact 0
		.amdhsa_exception_int_div_zero 0
	.end_amdhsa_kernel
	.section	.text._ZN12_GLOBAL__N_127rocblas_gemm_batched_kernelIfLi16ELi16ELi64ELi64ELi4ELi64ELi4ELi4ELi64ELc67ELc84EK16rocblas_bfloat16KffEEvlllT_PT11_llS6_llS4_PT12_llPT13_lli,"axG",@progbits,_ZN12_GLOBAL__N_127rocblas_gemm_batched_kernelIfLi16ELi16ELi64ELi64ELi4ELi64ELi4ELi4ELi64ELc67ELc84EK16rocblas_bfloat16KffEEvlllT_PT11_llS6_llS4_PT12_llPT13_lli,comdat
.Lfunc_end451:
	.size	_ZN12_GLOBAL__N_127rocblas_gemm_batched_kernelIfLi16ELi16ELi64ELi64ELi4ELi64ELi4ELi4ELi64ELc67ELc84EK16rocblas_bfloat16KffEEvlllT_PT11_llS6_llS4_PT12_llPT13_lli, .Lfunc_end451-_ZN12_GLOBAL__N_127rocblas_gemm_batched_kernelIfLi16ELi16ELi64ELi64ELi4ELi64ELi4ELi4ELi64ELc67ELc84EK16rocblas_bfloat16KffEEvlllT_PT11_llS6_llS4_PT12_llPT13_lli
                                        ; -- End function
	.set _ZN12_GLOBAL__N_127rocblas_gemm_batched_kernelIfLi16ELi16ELi64ELi64ELi4ELi64ELi4ELi4ELi64ELc67ELc84EK16rocblas_bfloat16KffEEvlllT_PT11_llS6_llS4_PT12_llPT13_lli.num_vgpr, 74
	.set _ZN12_GLOBAL__N_127rocblas_gemm_batched_kernelIfLi16ELi16ELi64ELi64ELi4ELi64ELi4ELi4ELi64ELc67ELc84EK16rocblas_bfloat16KffEEvlllT_PT11_llS6_llS4_PT12_llPT13_lli.num_agpr, 0
	.set _ZN12_GLOBAL__N_127rocblas_gemm_batched_kernelIfLi16ELi16ELi64ELi64ELi4ELi64ELi4ELi4ELi64ELc67ELc84EK16rocblas_bfloat16KffEEvlllT_PT11_llS6_llS4_PT12_llPT13_lli.numbered_sgpr, 38
	.set _ZN12_GLOBAL__N_127rocblas_gemm_batched_kernelIfLi16ELi16ELi64ELi64ELi4ELi64ELi4ELi4ELi64ELc67ELc84EK16rocblas_bfloat16KffEEvlllT_PT11_llS6_llS4_PT12_llPT13_lli.num_named_barrier, 0
	.set _ZN12_GLOBAL__N_127rocblas_gemm_batched_kernelIfLi16ELi16ELi64ELi64ELi4ELi64ELi4ELi4ELi64ELc67ELc84EK16rocblas_bfloat16KffEEvlllT_PT11_llS6_llS4_PT12_llPT13_lli.private_seg_size, 0
	.set _ZN12_GLOBAL__N_127rocblas_gemm_batched_kernelIfLi16ELi16ELi64ELi64ELi4ELi64ELi4ELi4ELi64ELc67ELc84EK16rocblas_bfloat16KffEEvlllT_PT11_llS6_llS4_PT12_llPT13_lli.uses_vcc, 1
	.set _ZN12_GLOBAL__N_127rocblas_gemm_batched_kernelIfLi16ELi16ELi64ELi64ELi4ELi64ELi4ELi4ELi64ELc67ELc84EK16rocblas_bfloat16KffEEvlllT_PT11_llS6_llS4_PT12_llPT13_lli.uses_flat_scratch, 0
	.set _ZN12_GLOBAL__N_127rocblas_gemm_batched_kernelIfLi16ELi16ELi64ELi64ELi4ELi64ELi4ELi4ELi64ELc67ELc84EK16rocblas_bfloat16KffEEvlllT_PT11_llS6_llS4_PT12_llPT13_lli.has_dyn_sized_stack, 0
	.set _ZN12_GLOBAL__N_127rocblas_gemm_batched_kernelIfLi16ELi16ELi64ELi64ELi4ELi64ELi4ELi4ELi64ELc67ELc84EK16rocblas_bfloat16KffEEvlllT_PT11_llS6_llS4_PT12_llPT13_lli.has_recursion, 0
	.set _ZN12_GLOBAL__N_127rocblas_gemm_batched_kernelIfLi16ELi16ELi64ELi64ELi4ELi64ELi4ELi4ELi64ELc67ELc84EK16rocblas_bfloat16KffEEvlllT_PT11_llS6_llS4_PT12_llPT13_lli.has_indirect_call, 0
	.section	.AMDGPU.csdata,"",@progbits
; Kernel info:
; codeLenInByte = 2332
; TotalNumSgprs: 40
; NumVgprs: 74
; ScratchSize: 0
; MemoryBound: 0
; FloatMode: 240
; IeeeMode: 1
; LDSByteSize: 2048 bytes/workgroup (compile time only)
; SGPRBlocks: 0
; VGPRBlocks: 4
; NumSGPRsForWavesPerEU: 40
; NumVGPRsForWavesPerEU: 74
; NamedBarCnt: 0
; Occupancy: 12
; WaveLimiterHint : 0
; COMPUTE_PGM_RSRC2:SCRATCH_EN: 0
; COMPUTE_PGM_RSRC2:USER_SGPR: 2
; COMPUTE_PGM_RSRC2:TRAP_HANDLER: 0
; COMPUTE_PGM_RSRC2:TGID_X_EN: 1
; COMPUTE_PGM_RSRC2:TGID_Y_EN: 1
; COMPUTE_PGM_RSRC2:TGID_Z_EN: 1
; COMPUTE_PGM_RSRC2:TIDIG_COMP_CNT: 1
	.section	.text._ZN12_GLOBAL__N_127rocblas_gemm_batched_kernelIfLi16ELi16ELi64ELi64ELi4ELi64ELi4ELi4ELi64ELc78ELc67EK16rocblas_bfloat16KffEEvlllT_PT11_llS6_llS4_PT12_llPT13_lli,"axG",@progbits,_ZN12_GLOBAL__N_127rocblas_gemm_batched_kernelIfLi16ELi16ELi64ELi64ELi4ELi64ELi4ELi4ELi64ELc78ELc67EK16rocblas_bfloat16KffEEvlllT_PT11_llS6_llS4_PT12_llPT13_lli,comdat
	.globl	_ZN12_GLOBAL__N_127rocblas_gemm_batched_kernelIfLi16ELi16ELi64ELi64ELi4ELi64ELi4ELi4ELi64ELc78ELc67EK16rocblas_bfloat16KffEEvlllT_PT11_llS6_llS4_PT12_llPT13_lli ; -- Begin function _ZN12_GLOBAL__N_127rocblas_gemm_batched_kernelIfLi16ELi16ELi64ELi64ELi4ELi64ELi4ELi4ELi64ELc78ELc67EK16rocblas_bfloat16KffEEvlllT_PT11_llS6_llS4_PT12_llPT13_lli
	.p2align	8
	.type	_ZN12_GLOBAL__N_127rocblas_gemm_batched_kernelIfLi16ELi16ELi64ELi64ELi4ELi64ELi4ELi4ELi64ELc78ELc67EK16rocblas_bfloat16KffEEvlllT_PT11_llS6_llS4_PT12_llPT13_lli,@function
_ZN12_GLOBAL__N_127rocblas_gemm_batched_kernelIfLi16ELi16ELi64ELi64ELi4ELi64ELi4ELi4ELi64ELc78ELc67EK16rocblas_bfloat16KffEEvlllT_PT11_llS6_llS4_PT12_llPT13_lli: ; @_ZN12_GLOBAL__N_127rocblas_gemm_batched_kernelIfLi16ELi16ELi64ELi64ELi4ELi64ELi4ELi4ELi64ELc78ELc67EK16rocblas_bfloat16KffEEvlllT_PT11_llS6_llS4_PT12_llPT13_lli
; %bb.0:
	s_load_b32 s31, s[0:1], 0x88
	s_bfe_u32 s2, ttmp6, 0x40014
	s_lshr_b32 s3, ttmp7, 16
	s_add_co_i32 s2, s2, 1
	s_bfe_u32 s4, ttmp6, 0x40008
	s_mul_i32 s2, s3, s2
	s_getreg_b32 s20, hwreg(HW_REG_IB_STS2, 6, 4)
	s_add_co_i32 s4, s4, s2
	s_cmp_eq_u32 s20, 0
	s_cselect_b32 s2, s3, s4
	s_mov_b32 s3, 0
	s_wait_kmcnt 0x0
	s_cmp_ge_i32 s2, s31
	s_cbranch_scc1 .LBB452_10
; %bb.1:
	s_bfe_u32 s21, ttmp6, 0x4000c
	s_bfe_u32 s23, ttmp6, 0x40010
	s_clause 0x2
	s_load_b256 s[12:19], s[0:1], 0x20
	s_load_b128 s[24:27], s[0:1], 0x40
	s_load_b256 s[4:11], s[0:1], 0x58
	s_add_co_i32 s21, s21, 1
	s_and_b32 s28, ttmp7, 0xffff
	s_add_co_i32 s23, s23, 1
	s_and_b32 s22, ttmp6, 15
	s_mul_i32 s21, ttmp9, s21
	s_mul_i32 s23, s28, s23
	s_bfe_u32 s29, ttmp6, 0x40004
	s_add_co_i32 s22, s22, s21
	s_add_co_i32 s29, s29, s23
	s_cmp_eq_u32 s20, 0
	v_bfe_u32 v2, v0, 10, 10
	v_mov_b32_e32 v3, 0
	s_cselect_b32 s20, s28, s29
	s_cselect_b32 s28, ttmp9, s22
	s_lshl_b32 s34, s20, 6
	s_load_b128 s[20:23], s[0:1], 0x78
	s_mov_b32 s35, s3
	v_and_b32_e32 v4, 0x3ff, v0
	v_lshlrev_b32_e32 v16, 4, v2
	v_add_nc_u64_e32 v[6:7], s[34:35], v[2:3]
	v_mov_b32_e32 v9, v3
	s_ashr_i32 s29, s28, 31
	s_load_b32 s33, s[0:1], 0x50
	v_add_nc_u32_e32 v1, v16, v4
	v_and_b32_e32 v5, 3, v0
	s_lshl_b64 s[36:37], s[28:29], 6
	s_wait_kmcnt 0x0
	v_mul_u64_e32 v[10:11], s[6:7], v[6:7]
	s_load_b96 s[28:30], s[0:1], 0x10
	v_dual_lshrrev_b32 v8, 2, v1 :: v_dual_lshrrev_b32 v17, 6, v1
	v_dual_lshlrev_b32 v32, 2, v4 :: v_dual_bitop2_b32 v2, 63, v1 bitop3:0x40
	v_add_nc_u32_e32 v33, 0x400, v16
	s_delay_alu instid0(VALU_DEP_3) | instskip(NEXT) | instid1(VALU_DEP_4)
	v_mad_nc_u64_u32 v[12:13], s24, v5, v[8:9]
	v_mad_nc_u64_u32 v[14:15], s14, v17, s[36:37]
	v_mul_u64_e32 v[0:1], s[20:21], v[6:7]
	v_dual_lshlrev_b32 v9, 2, v5 :: v_dual_lshlrev_b32 v6, 2, v2
	s_delay_alu instid0(VALU_DEP_1) | instskip(NEXT) | instid1(VALU_DEP_2)
	v_lshl_or_b32 v7, v8, 4, v9
	v_lshl_or_b32 v30, v17, 8, v6
	s_cmp_eq_f32 s33, 0
	v_mad_u32 v13, s25, v5, v13
	v_mad_u32 v15, s15, v17, v15
	v_mov_b32_e32 v5, v3
	s_wait_kmcnt 0x0
	v_cmp_gt_i64_e64 s0, s[28:29], 0
	v_add_nc_u32_e32 v31, 0x400, v7
	s_cselect_b32 s1, -1, 0
	s_lshl_b64 s[20:21], s[20:21], 4
	v_add_nc_u64_e32 v[8:9], s[36:37], v[4:5]
	s_lshl_b64 s[14:15], s[14:15], 3
	v_add_nc_u64_e32 v[6:7], s[34:35], v[12:13]
	v_add_nc_u64_e32 v[12:13], v[14:15], v[2:3]
	s_lshl_b64 s[34:35], s[6:7], 4
	v_lshl_add_u64 v[2:3], v[10:11], 2, s[4:5]
	v_cndmask_b32_e64 v10, 0, 1, s0
	v_lshlrev_b64_e32 v[8:9], 2, v[8:9]
	s_lshl_b64 s[4:5], s[26:27], 1
	v_lshl_add_u64 v[4:5], v[6:7], 1, s[18:19]
	v_lshl_add_u64 v[6:7], v[12:13], 1, s[12:13]
	v_cmp_ne_u32_e64 s0, 1, v10
	s_lshl_b64 s[6:7], s[24:25], 3
	s_lshl_b64 s[12:13], s[16:17], 1
	;; [unrolled: 1-line block ×4, first 2 shown]
	s_branch .LBB452_3
.LBB452_2:                              ;   in Loop: Header=BB452_3 Depth=1
	s_add_co_i32 s2, s2, 0x10000
	s_delay_alu instid0(SALU_CYCLE_1)
	s_cmp_lt_i32 s2, s31
	s_cbranch_scc0 .LBB452_10
.LBB452_3:                              ; =>This Loop Header: Depth=1
                                        ;     Child Loop BB452_5 Depth 2
	v_dual_mov_b32 v25, 0 :: v_dual_mov_b32 v24, 0
	v_dual_mov_b32 v23, 0 :: v_dual_mov_b32 v22, 0
	;; [unrolled: 1-line block ×3, first 2 shown]
	s_wait_xcnt 0x6
	v_dual_mov_b32 v19, 0 :: v_dual_mov_b32 v18, 0
	s_wait_xcnt 0x1
	v_dual_mov_b32 v17, 0 :: v_dual_mov_b32 v16, 0
	s_wait_xcnt 0x0
	v_dual_mov_b32 v15, 0 :: v_dual_mov_b32 v14, 0
	v_dual_mov_b32 v13, 0 :: v_dual_mov_b32 v12, 0
	v_dual_mov_b32 v11, 0 :: v_dual_mov_b32 v10, 0
	s_and_b32 vcc_lo, exec_lo, s0
	s_cbranch_vccnz .LBB452_6
; %bb.4:                                ;   in Loop: Header=BB452_3 Depth=1
	v_mad_nc_u64_u32 v[26:27], s4, s2, v[4:5]
	v_mad_nc_u64_u32 v[28:29], s12, s2, v[6:7]
	v_mov_b32_e32 v10, 0
	s_mov_b64 s[20:21], 0
	s_delay_alu instid0(VALU_DEP_1)
	v_dual_mov_b32 v11, v10 :: v_dual_mov_b32 v12, v10
	v_dual_mov_b32 v13, v10 :: v_dual_mov_b32 v14, v10
	v_mad_u32 v27, s5, s2, v27
	v_mad_u32 v29, s13, s2, v29
	v_dual_mov_b32 v15, v10 :: v_dual_mov_b32 v16, v10
	v_dual_mov_b32 v17, v10 :: v_dual_mov_b32 v18, v10
	;; [unrolled: 1-line block ×5, first 2 shown]
	v_mov_b32_e32 v25, v10
.LBB452_5:                              ;   Parent Loop BB452_3 Depth=1
                                        ; =>  This Inner Loop Header: Depth=2
	global_load_u16 v34, v[28:29], off
	global_load_u16 v35, v[26:27], off
	s_add_nc_u64 s[20:21], s[20:21], 4
	s_wait_xcnt 0x0
	v_add_nc_u64_e32 v[26:27], s[6:7], v[26:27]
	v_cmp_lt_i64_e64 s24, s[20:21], s[28:29]
	v_add_nc_u64_e32 v[28:29], s[14:15], v[28:29]
	s_and_b32 vcc_lo, exec_lo, s24
	s_wait_loadcnt 0x0
	v_dual_lshlrev_b32 v34, 16, v34 :: v_dual_lshlrev_b32 v35, 16, v35
	ds_store_b32 v30, v34
	ds_store_b32 v31, v35
	s_wait_dscnt 0x0
	s_barrier_signal -1
	s_barrier_wait -1
	ds_load_2addr_b32 v[50:51], v32 offset1:16
	ds_load_2addr_b32 v[52:53], v32 offset0:64 offset1:80
	ds_load_2addr_b32 v[54:55], v32 offset0:128 offset1:144
	;; [unrolled: 1-line block ×6, first 2 shown]
	ds_load_b128 v[34:37], v33
	ds_load_b128 v[38:41], v33 offset:256
	ds_load_2addr_b32 v[64:65], v32 offset0:224 offset1:240
	ds_load_b128 v[42:45], v33 offset:512
	ds_load_b128 v[46:49], v33 offset:768
	s_wait_dscnt 0x0
	s_barrier_signal -1
	s_barrier_wait -1
	v_dual_mov_b32 v66, v51 :: v_dual_mov_b32 v67, v50
	v_dual_mov_b32 v50, v53 :: v_dual_mov_b32 v51, v52
	;; [unrolled: 1-line block ×6, first 2 shown]
	v_pk_fma_f32 v[24:25], v[66:67], v[34:35], v[24:25] op_sel_hi:[1,0,1]
	v_pk_fma_f32 v[20:21], v[66:67], v[38:39], v[20:21] op_sel_hi:[1,0,1]
	s_delay_alu instid0(VALU_DEP_4)
	v_pk_fma_f32 v[22:23], v[56:57], v[34:35], v[22:23] op_sel_hi:[1,0,1]
	v_pk_fma_f32 v[16:17], v[66:67], v[42:43], v[16:17] op_sel_hi:[1,0,1]
	v_pk_fma_f32 v[12:13], v[66:67], v[46:47], v[12:13] op_sel_hi:[1,0,1]
	v_pk_fma_f32 v[18:19], v[56:57], v[38:39], v[18:19] op_sel_hi:[1,0,1]
	v_pk_fma_f32 v[14:15], v[56:57], v[42:43], v[14:15] op_sel_hi:[1,0,1]
	v_pk_fma_f32 v[10:11], v[56:57], v[46:47], v[10:11] op_sel_hi:[1,0,1]
	v_dual_mov_b32 v60, v63 :: v_dual_mov_b32 v61, v62
	v_pk_fma_f32 v[24:25], v[50:51], v[34:35], v[24:25] op_sel:[0,1,0]
	v_pk_fma_f32 v[22:23], v[58:59], v[34:35], v[22:23] op_sel:[0,1,0]
	;; [unrolled: 1-line block ×8, first 2 shown]
	v_dual_mov_b32 v62, v37 :: v_dual_mov_b32 v68, v65
	v_dual_mov_b32 v69, v64 :: v_dual_mov_b32 v64, v41
	;; [unrolled: 1-line block ×3, first 2 shown]
	v_pk_fma_f32 v[24:25], v[52:53], v[36:37], v[24:25] op_sel_hi:[1,0,1]
	v_pk_fma_f32 v[22:23], v[60:61], v[36:37], v[22:23] op_sel_hi:[1,0,1]
	;; [unrolled: 1-line block ×16, first 2 shown]
	s_cbranch_vccnz .LBB452_5
.LBB452_6:                              ;   in Loop: Header=BB452_3 Depth=1
	s_mul_u64 s[20:21], s[22:23], s[2:3]
	s_and_not1_b32 vcc_lo, exec_lo, s1
	s_lshl_b64 s[20:21], s[20:21], 2
	s_delay_alu instid0(SALU_CYCLE_1) | instskip(NEXT) | instid1(SALU_CYCLE_1)
	s_add_nc_u64 s[20:21], s[10:11], s[20:21]
	v_lshl_add_u64 v[26:27], v[0:1], 2, s[20:21]
	s_delay_alu instid0(VALU_DEP_1)
	v_add_nc_u64_e32 v[28:29], v[26:27], v[8:9]
	v_add_nc_u64_e32 v[26:27], s[16:17], v[26:27]
	s_cbranch_vccnz .LBB452_8
; %bb.7:                                ;   in Loop: Header=BB452_3 Depth=1
	v_dual_mul_f32 v36, s30, v25 :: v_dual_mul_f32 v37, s30, v24
	s_delay_alu instid0(VALU_DEP_2)
	v_add_nc_u64_e32 v[34:35], s[16:17], v[26:27]
	v_dual_mul_f32 v38, s30, v23 :: v_dual_mul_f32 v39, s30, v22
	s_clause 0x3
	global_store_b32 v[28:29], v36, off
	global_store_b32 v[28:29], v37, off offset:64
	global_store_b32 v[28:29], v38, off offset:128
	;; [unrolled: 1-line block ×3, first 2 shown]
	s_wait_xcnt 0x2
	v_add_nc_u64_e32 v[36:37], v[26:27], v[8:9]
	v_dual_mul_f32 v40, s30, v21 :: v_dual_mul_f32 v41, s30, v20
	s_wait_xcnt 0x0
	v_add_nc_u64_e32 v[38:39], v[34:35], v[8:9]
	v_add_nc_u64_e32 v[34:35], s[16:17], v[34:35]
	v_dual_mul_f32 v42, s30, v19 :: v_dual_mul_f32 v43, s30, v18
	s_clause 0x3
	global_store_b32 v[36:37], v40, off
	global_store_b32 v[36:37], v41, off offset:64
	global_store_b32 v[36:37], v42, off offset:128
	global_store_b32 v[36:37], v43, off offset:192
	s_wait_xcnt 0x0
	v_dual_mul_f32 v36, s30, v17 :: v_dual_mul_f32 v37, s30, v16
	v_dual_mul_f32 v40, s30, v15 :: v_dual_mul_f32 v41, s30, v14
	v_add_nc_u64_e32 v[34:35], v[34:35], v[8:9]
	s_clause 0x3
	global_store_b32 v[38:39], v36, off
	global_store_b32 v[38:39], v37, off offset:64
	global_store_b32 v[38:39], v40, off offset:128
	;; [unrolled: 1-line block ×3, first 2 shown]
	s_wait_xcnt 0x2
	v_dual_mul_f32 v36, s30, v13 :: v_dual_mul_f32 v37, s30, v12
	s_wait_xcnt 0x0
	v_dual_mul_f32 v38, s30, v11 :: v_dual_mul_f32 v39, s30, v10
	s_clause 0x3
	global_store_b32 v[34:35], v36, off
	global_store_b32 v[34:35], v37, off offset:64
	global_store_b32 v[34:35], v38, off offset:128
	;; [unrolled: 1-line block ×3, first 2 shown]
	s_cbranch_execnz .LBB452_2
	s_branch .LBB452_9
.LBB452_8:                              ;   in Loop: Header=BB452_3 Depth=1
.LBB452_9:                              ;   in Loop: Header=BB452_3 Depth=1
	s_mul_u64 s[20:21], s[8:9], s[2:3]
	s_wait_xcnt 0x0
	v_lshl_add_u64 v[34:35], s[20:21], 2, v[2:3]
	s_delay_alu instid0(VALU_DEP_1) | instskip(SKIP_3) | instid1(VALU_DEP_1)
	v_add_nc_u64_e32 v[36:37], v[34:35], v[8:9]
	global_load_b32 v38, v[36:37], off
	s_wait_loadcnt 0x0
	v_mul_f32_e32 v38, s33, v38
	v_fmac_f32_e32 v38, s30, v25
	global_store_b32 v[28:29], v38, off
	global_load_b32 v25, v[36:37], off offset:64
	s_wait_loadcnt 0x0
	v_mul_f32_e32 v25, s33, v25
	s_delay_alu instid0(VALU_DEP_1) | instskip(SKIP_4) | instid1(VALU_DEP_1)
	v_fmac_f32_e32 v25, s30, v24
	global_store_b32 v[28:29], v25, off offset:64
	global_load_b32 v24, v[36:37], off offset:128
	s_wait_loadcnt 0x0
	v_mul_f32_e32 v24, s33, v24
	v_fmac_f32_e32 v24, s30, v23
	global_store_b32 v[28:29], v24, off offset:128
	global_load_b32 v23, v[36:37], off offset:192
	s_wait_xcnt 0x1
	v_add_nc_u64_e32 v[24:25], s[18:19], v[34:35]
	s_delay_alu instid0(VALU_DEP_1) | instskip(SKIP_2) | instid1(VALU_DEP_1)
	v_add_nc_u64_e32 v[34:35], v[24:25], v[8:9]
	s_wait_loadcnt 0x0
	v_mul_f32_e32 v23, s33, v23
	v_fmac_f32_e32 v23, s30, v22
	global_store_b32 v[28:29], v23, off offset:192
	global_load_b32 v22, v[34:35], off
	s_wait_loadcnt 0x0
	s_wait_xcnt 0x1
	v_mul_f32_e32 v28, s33, v22
	v_add_nc_u64_e32 v[22:23], v[26:27], v[8:9]
	s_delay_alu instid0(VALU_DEP_2) | instskip(SKIP_4) | instid1(VALU_DEP_1)
	v_fmac_f32_e32 v28, s30, v21
	global_store_b32 v[22:23], v28, off
	global_load_b32 v21, v[34:35], off offset:64
	s_wait_loadcnt 0x0
	v_mul_f32_e32 v21, s33, v21
	v_fmac_f32_e32 v21, s30, v20
	global_store_b32 v[22:23], v21, off offset:64
	global_load_b32 v20, v[34:35], off offset:128
	s_wait_loadcnt 0x0
	v_mul_f32_e32 v20, s33, v20
	s_delay_alu instid0(VALU_DEP_1) | instskip(SKIP_4) | instid1(VALU_DEP_1)
	v_fmac_f32_e32 v20, s30, v19
	global_store_b32 v[22:23], v20, off offset:128
	global_load_b32 v19, v[34:35], off offset:192
	s_wait_xcnt 0x1
	v_add_nc_u64_e32 v[20:21], s[18:19], v[24:25]
	v_add_nc_u64_e32 v[24:25], v[20:21], v[8:9]
	s_wait_loadcnt 0x0
	v_mul_f32_e32 v19, s33, v19
	s_delay_alu instid0(VALU_DEP_1)
	v_fmac_f32_e32 v19, s30, v18
	global_store_b32 v[22:23], v19, off offset:192
	global_load_b32 v22, v[24:25], off
	v_add_nc_u64_e32 v[18:19], s[16:17], v[26:27]
	s_wait_loadcnt 0x0
	v_mul_f32_e32 v26, s33, v22
	s_delay_alu instid0(VALU_DEP_2) | instskip(NEXT) | instid1(VALU_DEP_2)
	v_add_nc_u64_e32 v[22:23], v[18:19], v[8:9]
	v_fmac_f32_e32 v26, s30, v17
	global_store_b32 v[22:23], v26, off
	global_load_b32 v17, v[24:25], off offset:64
	s_wait_loadcnt 0x0
	v_mul_f32_e32 v17, s33, v17
	s_delay_alu instid0(VALU_DEP_1) | instskip(SKIP_4) | instid1(VALU_DEP_1)
	v_fmac_f32_e32 v17, s30, v16
	global_store_b32 v[22:23], v17, off offset:64
	global_load_b32 v16, v[24:25], off offset:128
	s_wait_loadcnt 0x0
	v_mul_f32_e32 v16, s33, v16
	v_fmac_f32_e32 v16, s30, v15
	global_store_b32 v[22:23], v16, off offset:128
	global_load_b32 v15, v[24:25], off offset:192
	s_wait_xcnt 0x1
	v_add_nc_u64_e32 v[16:17], s[18:19], v[20:21]
	s_delay_alu instid0(VALU_DEP_1) | instskip(SKIP_2) | instid1(VALU_DEP_1)
	v_add_nc_u64_e32 v[16:17], v[16:17], v[8:9]
	s_wait_loadcnt 0x0
	v_mul_f32_e32 v15, s33, v15
	v_fmac_f32_e32 v15, s30, v14
	global_store_b32 v[22:23], v15, off offset:192
	global_load_b32 v20, v[16:17], off
	s_wait_xcnt 0x1
	v_add_nc_u64_e32 v[14:15], s[16:17], v[18:19]
	s_delay_alu instid0(VALU_DEP_1) | instskip(SKIP_2) | instid1(VALU_DEP_1)
	v_add_nc_u64_e32 v[14:15], v[14:15], v[8:9]
	s_wait_loadcnt 0x0
	v_mul_f32_e32 v18, s33, v20
	v_fmac_f32_e32 v18, s30, v13
	global_store_b32 v[14:15], v18, off
	global_load_b32 v13, v[16:17], off offset:64
	s_wait_loadcnt 0x0
	v_mul_f32_e32 v13, s33, v13
	s_delay_alu instid0(VALU_DEP_1) | instskip(SKIP_4) | instid1(VALU_DEP_1)
	v_fmac_f32_e32 v13, s30, v12
	global_store_b32 v[14:15], v13, off offset:64
	global_load_b32 v12, v[16:17], off offset:128
	s_wait_loadcnt 0x0
	v_mul_f32_e32 v12, s33, v12
	v_fmac_f32_e32 v12, s30, v11
	global_store_b32 v[14:15], v12, off offset:128
	global_load_b32 v11, v[16:17], off offset:192
	s_wait_loadcnt 0x0
	v_mul_f32_e32 v11, s33, v11
	s_delay_alu instid0(VALU_DEP_1)
	v_fmac_f32_e32 v11, s30, v10
	global_store_b32 v[14:15], v11, off offset:192
	s_branch .LBB452_2
.LBB452_10:
	s_sendmsg sendmsg(MSG_DEALLOC_VGPRS)
	s_endpgm
	.section	.rodata,"a",@progbits
	.p2align	6, 0x0
	.amdhsa_kernel _ZN12_GLOBAL__N_127rocblas_gemm_batched_kernelIfLi16ELi16ELi64ELi64ELi4ELi64ELi4ELi4ELi64ELc78ELc67EK16rocblas_bfloat16KffEEvlllT_PT11_llS6_llS4_PT12_llPT13_lli
		.amdhsa_group_segment_fixed_size 2048
		.amdhsa_private_segment_fixed_size 0
		.amdhsa_kernarg_size 140
		.amdhsa_user_sgpr_count 2
		.amdhsa_user_sgpr_dispatch_ptr 0
		.amdhsa_user_sgpr_queue_ptr 0
		.amdhsa_user_sgpr_kernarg_segment_ptr 1
		.amdhsa_user_sgpr_dispatch_id 0
		.amdhsa_user_sgpr_kernarg_preload_length 0
		.amdhsa_user_sgpr_kernarg_preload_offset 0
		.amdhsa_user_sgpr_private_segment_size 0
		.amdhsa_wavefront_size32 1
		.amdhsa_uses_dynamic_stack 0
		.amdhsa_enable_private_segment 0
		.amdhsa_system_sgpr_workgroup_id_x 1
		.amdhsa_system_sgpr_workgroup_id_y 1
		.amdhsa_system_sgpr_workgroup_id_z 1
		.amdhsa_system_sgpr_workgroup_info 0
		.amdhsa_system_vgpr_workitem_id 1
		.amdhsa_next_free_vgpr 74
		.amdhsa_next_free_sgpr 38
		.amdhsa_named_barrier_count 0
		.amdhsa_reserve_vcc 1
		.amdhsa_float_round_mode_32 0
		.amdhsa_float_round_mode_16_64 0
		.amdhsa_float_denorm_mode_32 3
		.amdhsa_float_denorm_mode_16_64 3
		.amdhsa_fp16_overflow 0
		.amdhsa_memory_ordered 1
		.amdhsa_forward_progress 1
		.amdhsa_inst_pref_size 19
		.amdhsa_round_robin_scheduling 0
		.amdhsa_exception_fp_ieee_invalid_op 0
		.amdhsa_exception_fp_denorm_src 0
		.amdhsa_exception_fp_ieee_div_zero 0
		.amdhsa_exception_fp_ieee_overflow 0
		.amdhsa_exception_fp_ieee_underflow 0
		.amdhsa_exception_fp_ieee_inexact 0
		.amdhsa_exception_int_div_zero 0
	.end_amdhsa_kernel
	.section	.text._ZN12_GLOBAL__N_127rocblas_gemm_batched_kernelIfLi16ELi16ELi64ELi64ELi4ELi64ELi4ELi4ELi64ELc78ELc67EK16rocblas_bfloat16KffEEvlllT_PT11_llS6_llS4_PT12_llPT13_lli,"axG",@progbits,_ZN12_GLOBAL__N_127rocblas_gemm_batched_kernelIfLi16ELi16ELi64ELi64ELi4ELi64ELi4ELi4ELi64ELc78ELc67EK16rocblas_bfloat16KffEEvlllT_PT11_llS6_llS4_PT12_llPT13_lli,comdat
.Lfunc_end452:
	.size	_ZN12_GLOBAL__N_127rocblas_gemm_batched_kernelIfLi16ELi16ELi64ELi64ELi4ELi64ELi4ELi4ELi64ELc78ELc67EK16rocblas_bfloat16KffEEvlllT_PT11_llS6_llS4_PT12_llPT13_lli, .Lfunc_end452-_ZN12_GLOBAL__N_127rocblas_gemm_batched_kernelIfLi16ELi16ELi64ELi64ELi4ELi64ELi4ELi4ELi64ELc78ELc67EK16rocblas_bfloat16KffEEvlllT_PT11_llS6_llS4_PT12_llPT13_lli
                                        ; -- End function
	.set _ZN12_GLOBAL__N_127rocblas_gemm_batched_kernelIfLi16ELi16ELi64ELi64ELi4ELi64ELi4ELi4ELi64ELc78ELc67EK16rocblas_bfloat16KffEEvlllT_PT11_llS6_llS4_PT12_llPT13_lli.num_vgpr, 74
	.set _ZN12_GLOBAL__N_127rocblas_gemm_batched_kernelIfLi16ELi16ELi64ELi64ELi4ELi64ELi4ELi4ELi64ELc78ELc67EK16rocblas_bfloat16KffEEvlllT_PT11_llS6_llS4_PT12_llPT13_lli.num_agpr, 0
	.set _ZN12_GLOBAL__N_127rocblas_gemm_batched_kernelIfLi16ELi16ELi64ELi64ELi4ELi64ELi4ELi4ELi64ELc78ELc67EK16rocblas_bfloat16KffEEvlllT_PT11_llS6_llS4_PT12_llPT13_lli.numbered_sgpr, 38
	.set _ZN12_GLOBAL__N_127rocblas_gemm_batched_kernelIfLi16ELi16ELi64ELi64ELi4ELi64ELi4ELi4ELi64ELc78ELc67EK16rocblas_bfloat16KffEEvlllT_PT11_llS6_llS4_PT12_llPT13_lli.num_named_barrier, 0
	.set _ZN12_GLOBAL__N_127rocblas_gemm_batched_kernelIfLi16ELi16ELi64ELi64ELi4ELi64ELi4ELi4ELi64ELc78ELc67EK16rocblas_bfloat16KffEEvlllT_PT11_llS6_llS4_PT12_llPT13_lli.private_seg_size, 0
	.set _ZN12_GLOBAL__N_127rocblas_gemm_batched_kernelIfLi16ELi16ELi64ELi64ELi4ELi64ELi4ELi4ELi64ELc78ELc67EK16rocblas_bfloat16KffEEvlllT_PT11_llS6_llS4_PT12_llPT13_lli.uses_vcc, 1
	.set _ZN12_GLOBAL__N_127rocblas_gemm_batched_kernelIfLi16ELi16ELi64ELi64ELi4ELi64ELi4ELi4ELi64ELc78ELc67EK16rocblas_bfloat16KffEEvlllT_PT11_llS6_llS4_PT12_llPT13_lli.uses_flat_scratch, 0
	.set _ZN12_GLOBAL__N_127rocblas_gemm_batched_kernelIfLi16ELi16ELi64ELi64ELi4ELi64ELi4ELi4ELi64ELc78ELc67EK16rocblas_bfloat16KffEEvlllT_PT11_llS6_llS4_PT12_llPT13_lli.has_dyn_sized_stack, 0
	.set _ZN12_GLOBAL__N_127rocblas_gemm_batched_kernelIfLi16ELi16ELi64ELi64ELi4ELi64ELi4ELi4ELi64ELc78ELc67EK16rocblas_bfloat16KffEEvlllT_PT11_llS6_llS4_PT12_llPT13_lli.has_recursion, 0
	.set _ZN12_GLOBAL__N_127rocblas_gemm_batched_kernelIfLi16ELi16ELi64ELi64ELi4ELi64ELi4ELi4ELi64ELc78ELc67EK16rocblas_bfloat16KffEEvlllT_PT11_llS6_llS4_PT12_llPT13_lli.has_indirect_call, 0
	.section	.AMDGPU.csdata,"",@progbits
; Kernel info:
; codeLenInByte = 2336
; TotalNumSgprs: 40
; NumVgprs: 74
; ScratchSize: 0
; MemoryBound: 0
; FloatMode: 240
; IeeeMode: 1
; LDSByteSize: 2048 bytes/workgroup (compile time only)
; SGPRBlocks: 0
; VGPRBlocks: 4
; NumSGPRsForWavesPerEU: 40
; NumVGPRsForWavesPerEU: 74
; NamedBarCnt: 0
; Occupancy: 12
; WaveLimiterHint : 0
; COMPUTE_PGM_RSRC2:SCRATCH_EN: 0
; COMPUTE_PGM_RSRC2:USER_SGPR: 2
; COMPUTE_PGM_RSRC2:TRAP_HANDLER: 0
; COMPUTE_PGM_RSRC2:TGID_X_EN: 1
; COMPUTE_PGM_RSRC2:TGID_Y_EN: 1
; COMPUTE_PGM_RSRC2:TGID_Z_EN: 1
; COMPUTE_PGM_RSRC2:TIDIG_COMP_CNT: 1
	.section	.text._ZN12_GLOBAL__N_127rocblas_gemm_batched_kernelIfLi16ELi16ELi64ELi64ELi4ELi64ELi4ELi4ELi64ELc84ELc67EK16rocblas_bfloat16KffEEvlllT_PT11_llS6_llS4_PT12_llPT13_lli,"axG",@progbits,_ZN12_GLOBAL__N_127rocblas_gemm_batched_kernelIfLi16ELi16ELi64ELi64ELi4ELi64ELi4ELi4ELi64ELc84ELc67EK16rocblas_bfloat16KffEEvlllT_PT11_llS6_llS4_PT12_llPT13_lli,comdat
	.globl	_ZN12_GLOBAL__N_127rocblas_gemm_batched_kernelIfLi16ELi16ELi64ELi64ELi4ELi64ELi4ELi4ELi64ELc84ELc67EK16rocblas_bfloat16KffEEvlllT_PT11_llS6_llS4_PT12_llPT13_lli ; -- Begin function _ZN12_GLOBAL__N_127rocblas_gemm_batched_kernelIfLi16ELi16ELi64ELi64ELi4ELi64ELi4ELi4ELi64ELc84ELc67EK16rocblas_bfloat16KffEEvlllT_PT11_llS6_llS4_PT12_llPT13_lli
	.p2align	8
	.type	_ZN12_GLOBAL__N_127rocblas_gemm_batched_kernelIfLi16ELi16ELi64ELi64ELi4ELi64ELi4ELi4ELi64ELc84ELc67EK16rocblas_bfloat16KffEEvlllT_PT11_llS6_llS4_PT12_llPT13_lli,@function
_ZN12_GLOBAL__N_127rocblas_gemm_batched_kernelIfLi16ELi16ELi64ELi64ELi4ELi64ELi4ELi4ELi64ELc84ELc67EK16rocblas_bfloat16KffEEvlllT_PT11_llS6_llS4_PT12_llPT13_lli: ; @_ZN12_GLOBAL__N_127rocblas_gemm_batched_kernelIfLi16ELi16ELi64ELi64ELi4ELi64ELi4ELi4ELi64ELc84ELc67EK16rocblas_bfloat16KffEEvlllT_PT11_llS6_llS4_PT12_llPT13_lli
; %bb.0:
	s_load_b32 s31, s[0:1], 0x88
	s_bfe_u32 s2, ttmp6, 0x40014
	s_lshr_b32 s3, ttmp7, 16
	s_add_co_i32 s2, s2, 1
	s_bfe_u32 s4, ttmp6, 0x40008
	s_mul_i32 s2, s3, s2
	s_getreg_b32 s20, hwreg(HW_REG_IB_STS2, 6, 4)
	s_add_co_i32 s4, s4, s2
	s_cmp_eq_u32 s20, 0
	s_cselect_b32 s2, s3, s4
	s_mov_b32 s3, 0
	s_wait_kmcnt 0x0
	s_cmp_ge_i32 s2, s31
	s_cbranch_scc1 .LBB453_10
; %bb.1:
	s_bfe_u32 s21, ttmp6, 0x4000c
	s_bfe_u32 s23, ttmp6, 0x40010
	s_add_co_i32 s21, s21, 1
	s_and_b32 s28, ttmp7, 0xffff
	s_add_co_i32 s23, s23, 1
	v_bfe_u32 v4, v0, 10, 10
	s_and_b32 s22, ttmp6, 15
	s_mul_i32 s21, ttmp9, s21
	s_mul_i32 s23, s28, s23
	s_bfe_u32 s29, ttmp6, 0x40004
	s_add_co_i32 s22, s22, s21
	s_add_co_i32 s29, s29, s23
	s_cmp_eq_u32 s20, 0
	v_and_b32_e32 v2, 0x3ff, v0
	v_dual_mov_b32 v5, 0 :: v_dual_lshlrev_b32 v16, 4, v4
	s_cselect_b32 s20, ttmp9, s22
	s_clause 0x2
	s_load_b256 s[12:19], s[0:1], 0x20
	s_load_b128 s[24:27], s[0:1], 0x40
	s_load_b256 s[4:11], s[0:1], 0x58
	s_cselect_b32 s22, s28, s29
	s_ashr_i32 s21, s20, 31
	s_lshl_b32 s34, s22, 6
	s_lshl_b64 s[36:37], s[20:21], 6
	v_add_nc_u32_e32 v1, v16, v2
	s_load_b128 s[20:23], s[0:1], 0x78
	s_mov_b32 s35, s3
	v_mov_b32_e32 v9, s37
	v_add_nc_u64_e32 v[6:7], s[34:35], v[4:5]
	v_and_b32_e32 v3, 63, v1
	s_clause 0x1
	s_load_b32 s33, s[0:1], 0x50
	s_load_b96 s[28:30], s[0:1], 0x10
	v_add_nc_u32_e32 v33, 0x400, v16
	v_dual_lshlrev_b32 v32, 2, v2 :: v_dual_bitop2_b32 v8, s36, v3 bitop3:0x54
	v_dual_lshrrev_b32 v10, 2, v1 :: v_dual_bitop2_b32 v4, 3, v0 bitop3:0x40
	v_mov_b32_e32 v11, v5
	s_wait_kmcnt 0x0
	s_delay_alu instid0(VALU_DEP_3)
	v_mul_u64_e32 v[8:9], s[14:15], v[8:9]
	v_mul_u64_e32 v[12:13], s[6:7], v[6:7]
	v_lshlrev_b32_e32 v17, 2, v4
	v_mad_nc_u64_u32 v[14:15], s24, v4, v[10:11]
	v_lshrrev_b32_e32 v11, 6, v1
	v_mul_u64_e32 v[0:1], s[20:21], v[6:7]
	v_dual_mov_b32 v3, v5 :: v_dual_lshlrev_b32 v6, 2, v3
	s_cmp_eq_f32 s33, 0
	v_cmp_gt_i64_e64 s0, s[28:29], 0
	s_delay_alu instid0(VALU_DEP_2)
	v_lshl_or_b32 v30, v11, 8, v6
	v_mad_u32 v15, s25, v4, v15
	v_lshl_or_b32 v4, v10, 4, v17
	s_cselect_b32 s1, -1, 0
	s_lshl_b64 s[14:15], s[20:21], 4
	s_lshl_b64 s[20:21], s[6:7], 4
	;; [unrolled: 1-line block ×3, first 2 shown]
	v_add_nc_u32_e32 v31, 0x400, v4
	v_lshlrev_b32_e32 v4, 1, v11
	v_add_nc_u64_e32 v[10:11], s[36:37], v[2:3]
	s_lshl_b64 s[14:15], s[14:15], 2
	v_add_nc_u64_e32 v[6:7], s[34:35], v[14:15]
	s_delay_alu instid0(VALU_DEP_3) | instskip(SKIP_2) | instid1(VALU_DEP_4)
	v_lshl_add_u64 v[8:9], v[8:9], 1, v[4:5]
	v_lshl_add_u64 v[2:3], v[12:13], 2, s[4:5]
	v_cndmask_b32_e64 v12, 0, 1, s0
	v_lshl_add_u64 v[4:5], v[6:7], 1, s[18:19]
	s_lshl_b64 s[4:5], s[26:27], 1
	v_add_nc_u64_e32 v[6:7], s[12:13], v[8:9]
	v_lshlrev_b64_e32 v[8:9], 2, v[10:11]
	v_cmp_ne_u32_e64 s0, 1, v12
	s_lshl_b64 s[12:13], s[16:17], 1
	s_lshl_b64 s[16:17], s[20:21], 2
	s_branch .LBB453_3
.LBB453_2:                              ;   in Loop: Header=BB453_3 Depth=1
	s_add_co_i32 s2, s2, 0x10000
	s_delay_alu instid0(SALU_CYCLE_1)
	s_cmp_lt_i32 s2, s31
	s_cbranch_scc0 .LBB453_10
.LBB453_3:                              ; =>This Loop Header: Depth=1
                                        ;     Child Loop BB453_5 Depth 2
	v_dual_mov_b32 v25, 0 :: v_dual_mov_b32 v24, 0
	v_dual_mov_b32 v23, 0 :: v_dual_mov_b32 v22, 0
	;; [unrolled: 1-line block ×3, first 2 shown]
	s_wait_xcnt 0x6
	v_dual_mov_b32 v19, 0 :: v_dual_mov_b32 v18, 0
	s_wait_xcnt 0x1
	v_dual_mov_b32 v17, 0 :: v_dual_mov_b32 v16, 0
	;; [unrolled: 2-line block ×3, first 2 shown]
	v_dual_mov_b32 v13, 0 :: v_dual_mov_b32 v12, 0
	v_dual_mov_b32 v11, 0 :: v_dual_mov_b32 v10, 0
	s_and_b32 vcc_lo, exec_lo, s0
	s_cbranch_vccnz .LBB453_6
; %bb.4:                                ;   in Loop: Header=BB453_3 Depth=1
	v_mad_nc_u64_u32 v[26:27], s4, s2, v[4:5]
	v_mad_nc_u64_u32 v[28:29], s12, s2, v[6:7]
	v_mov_b32_e32 v10, 0
	s_mov_b64 s[18:19], 0
	s_delay_alu instid0(VALU_DEP_1)
	v_dual_mov_b32 v11, v10 :: v_dual_mov_b32 v12, v10
	v_dual_mov_b32 v13, v10 :: v_dual_mov_b32 v14, v10
	v_mad_u32 v27, s5, s2, v27
	v_mad_u32 v29, s13, s2, v29
	v_dual_mov_b32 v15, v10 :: v_dual_mov_b32 v16, v10
	v_dual_mov_b32 v17, v10 :: v_dual_mov_b32 v18, v10
	;; [unrolled: 1-line block ×5, first 2 shown]
	v_mov_b32_e32 v25, v10
.LBB453_5:                              ;   Parent Loop BB453_3 Depth=1
                                        ; =>  This Inner Loop Header: Depth=2
	global_load_u16 v34, v[28:29], off
	global_load_u16 v35, v[26:27], off
	s_add_nc_u64 s[18:19], s[18:19], 4
	s_wait_xcnt 0x0
	v_add_nc_u64_e32 v[26:27], s[6:7], v[26:27]
	v_cmp_lt_i64_e64 s20, s[18:19], s[28:29]
	v_add_nc_u64_e32 v[28:29], 8, v[28:29]
	s_and_b32 vcc_lo, exec_lo, s20
	s_wait_loadcnt 0x0
	v_dual_lshlrev_b32 v34, 16, v34 :: v_dual_lshlrev_b32 v35, 16, v35
	ds_store_b32 v30, v34
	ds_store_b32 v31, v35
	s_wait_dscnt 0x0
	s_barrier_signal -1
	s_barrier_wait -1
	ds_load_2addr_b32 v[50:51], v32 offset1:16
	ds_load_2addr_b32 v[52:53], v32 offset0:64 offset1:80
	ds_load_2addr_b32 v[54:55], v32 offset0:128 offset1:144
	;; [unrolled: 1-line block ×6, first 2 shown]
	ds_load_b128 v[34:37], v33
	ds_load_b128 v[38:41], v33 offset:256
	ds_load_2addr_b32 v[64:65], v32 offset0:224 offset1:240
	ds_load_b128 v[42:45], v33 offset:512
	ds_load_b128 v[46:49], v33 offset:768
	s_wait_dscnt 0x0
	s_barrier_signal -1
	s_barrier_wait -1
	v_dual_mov_b32 v66, v51 :: v_dual_mov_b32 v67, v50
	v_dual_mov_b32 v50, v53 :: v_dual_mov_b32 v51, v52
	;; [unrolled: 1-line block ×6, first 2 shown]
	v_pk_fma_f32 v[24:25], v[66:67], v[34:35], v[24:25] op_sel_hi:[1,0,1]
	v_pk_fma_f32 v[20:21], v[66:67], v[38:39], v[20:21] op_sel_hi:[1,0,1]
	s_delay_alu instid0(VALU_DEP_4)
	v_pk_fma_f32 v[22:23], v[56:57], v[34:35], v[22:23] op_sel_hi:[1,0,1]
	v_pk_fma_f32 v[16:17], v[66:67], v[42:43], v[16:17] op_sel_hi:[1,0,1]
	;; [unrolled: 1-line block ×6, first 2 shown]
	v_dual_mov_b32 v60, v63 :: v_dual_mov_b32 v61, v62
	v_pk_fma_f32 v[24:25], v[50:51], v[34:35], v[24:25] op_sel:[0,1,0]
	v_pk_fma_f32 v[22:23], v[58:59], v[34:35], v[22:23] op_sel:[0,1,0]
	;; [unrolled: 1-line block ×8, first 2 shown]
	v_dual_mov_b32 v62, v37 :: v_dual_mov_b32 v68, v65
	v_dual_mov_b32 v69, v64 :: v_dual_mov_b32 v64, v41
	;; [unrolled: 1-line block ×3, first 2 shown]
	v_pk_fma_f32 v[24:25], v[52:53], v[36:37], v[24:25] op_sel_hi:[1,0,1]
	v_pk_fma_f32 v[22:23], v[60:61], v[36:37], v[22:23] op_sel_hi:[1,0,1]
	;; [unrolled: 1-line block ×16, first 2 shown]
	s_cbranch_vccnz .LBB453_5
.LBB453_6:                              ;   in Loop: Header=BB453_3 Depth=1
	s_mul_u64 s[18:19], s[22:23], s[2:3]
	s_and_not1_b32 vcc_lo, exec_lo, s1
	s_lshl_b64 s[18:19], s[18:19], 2
	s_delay_alu instid0(SALU_CYCLE_1) | instskip(NEXT) | instid1(SALU_CYCLE_1)
	s_add_nc_u64 s[18:19], s[10:11], s[18:19]
	v_lshl_add_u64 v[26:27], v[0:1], 2, s[18:19]
	s_delay_alu instid0(VALU_DEP_1)
	v_add_nc_u64_e32 v[28:29], v[26:27], v[8:9]
	v_add_nc_u64_e32 v[26:27], s[14:15], v[26:27]
	s_cbranch_vccnz .LBB453_8
; %bb.7:                                ;   in Loop: Header=BB453_3 Depth=1
	v_dual_mul_f32 v36, s30, v25 :: v_dual_mul_f32 v37, s30, v24
	s_delay_alu instid0(VALU_DEP_2)
	v_add_nc_u64_e32 v[34:35], s[14:15], v[26:27]
	v_dual_mul_f32 v38, s30, v23 :: v_dual_mul_f32 v39, s30, v22
	s_clause 0x3
	global_store_b32 v[28:29], v36, off
	global_store_b32 v[28:29], v37, off offset:64
	global_store_b32 v[28:29], v38, off offset:128
	;; [unrolled: 1-line block ×3, first 2 shown]
	s_wait_xcnt 0x2
	v_add_nc_u64_e32 v[36:37], v[26:27], v[8:9]
	v_dual_mul_f32 v40, s30, v21 :: v_dual_mul_f32 v41, s30, v20
	s_wait_xcnt 0x0
	v_add_nc_u64_e32 v[38:39], v[34:35], v[8:9]
	v_add_nc_u64_e32 v[34:35], s[14:15], v[34:35]
	v_dual_mul_f32 v42, s30, v19 :: v_dual_mul_f32 v43, s30, v18
	s_clause 0x3
	global_store_b32 v[36:37], v40, off
	global_store_b32 v[36:37], v41, off offset:64
	global_store_b32 v[36:37], v42, off offset:128
	;; [unrolled: 1-line block ×3, first 2 shown]
	s_wait_xcnt 0x0
	v_dual_mul_f32 v36, s30, v17 :: v_dual_mul_f32 v37, s30, v16
	v_dual_mul_f32 v40, s30, v15 :: v_dual_mul_f32 v41, s30, v14
	v_add_nc_u64_e32 v[34:35], v[34:35], v[8:9]
	s_clause 0x3
	global_store_b32 v[38:39], v36, off
	global_store_b32 v[38:39], v37, off offset:64
	global_store_b32 v[38:39], v40, off offset:128
	;; [unrolled: 1-line block ×3, first 2 shown]
	s_wait_xcnt 0x2
	v_dual_mul_f32 v36, s30, v13 :: v_dual_mul_f32 v37, s30, v12
	s_wait_xcnt 0x0
	v_dual_mul_f32 v38, s30, v11 :: v_dual_mul_f32 v39, s30, v10
	s_clause 0x3
	global_store_b32 v[34:35], v36, off
	global_store_b32 v[34:35], v37, off offset:64
	global_store_b32 v[34:35], v38, off offset:128
	;; [unrolled: 1-line block ×3, first 2 shown]
	s_cbranch_execnz .LBB453_2
	s_branch .LBB453_9
.LBB453_8:                              ;   in Loop: Header=BB453_3 Depth=1
.LBB453_9:                              ;   in Loop: Header=BB453_3 Depth=1
	s_mul_u64 s[18:19], s[8:9], s[2:3]
	s_wait_xcnt 0x0
	v_lshl_add_u64 v[34:35], s[18:19], 2, v[2:3]
	s_delay_alu instid0(VALU_DEP_1) | instskip(SKIP_3) | instid1(VALU_DEP_1)
	v_add_nc_u64_e32 v[36:37], v[34:35], v[8:9]
	global_load_b32 v38, v[36:37], off
	s_wait_loadcnt 0x0
	v_mul_f32_e32 v38, s33, v38
	v_fmac_f32_e32 v38, s30, v25
	global_store_b32 v[28:29], v38, off
	global_load_b32 v25, v[36:37], off offset:64
	s_wait_loadcnt 0x0
	v_mul_f32_e32 v25, s33, v25
	s_delay_alu instid0(VALU_DEP_1) | instskip(SKIP_4) | instid1(VALU_DEP_1)
	v_fmac_f32_e32 v25, s30, v24
	global_store_b32 v[28:29], v25, off offset:64
	global_load_b32 v24, v[36:37], off offset:128
	s_wait_loadcnt 0x0
	v_mul_f32_e32 v24, s33, v24
	v_fmac_f32_e32 v24, s30, v23
	global_store_b32 v[28:29], v24, off offset:128
	global_load_b32 v23, v[36:37], off offset:192
	s_wait_xcnt 0x1
	v_add_nc_u64_e32 v[24:25], s[16:17], v[34:35]
	s_delay_alu instid0(VALU_DEP_1) | instskip(SKIP_2) | instid1(VALU_DEP_1)
	v_add_nc_u64_e32 v[34:35], v[24:25], v[8:9]
	s_wait_loadcnt 0x0
	v_mul_f32_e32 v23, s33, v23
	v_fmac_f32_e32 v23, s30, v22
	global_store_b32 v[28:29], v23, off offset:192
	global_load_b32 v22, v[34:35], off
	s_wait_loadcnt 0x0
	s_wait_xcnt 0x1
	v_mul_f32_e32 v28, s33, v22
	v_add_nc_u64_e32 v[22:23], v[26:27], v[8:9]
	s_delay_alu instid0(VALU_DEP_2) | instskip(SKIP_4) | instid1(VALU_DEP_1)
	v_fmac_f32_e32 v28, s30, v21
	global_store_b32 v[22:23], v28, off
	global_load_b32 v21, v[34:35], off offset:64
	s_wait_loadcnt 0x0
	v_mul_f32_e32 v21, s33, v21
	v_fmac_f32_e32 v21, s30, v20
	global_store_b32 v[22:23], v21, off offset:64
	global_load_b32 v20, v[34:35], off offset:128
	s_wait_loadcnt 0x0
	v_mul_f32_e32 v20, s33, v20
	s_delay_alu instid0(VALU_DEP_1) | instskip(SKIP_4) | instid1(VALU_DEP_1)
	v_fmac_f32_e32 v20, s30, v19
	global_store_b32 v[22:23], v20, off offset:128
	global_load_b32 v19, v[34:35], off offset:192
	s_wait_xcnt 0x1
	v_add_nc_u64_e32 v[20:21], s[16:17], v[24:25]
	v_add_nc_u64_e32 v[24:25], v[20:21], v[8:9]
	s_wait_loadcnt 0x0
	v_mul_f32_e32 v19, s33, v19
	s_delay_alu instid0(VALU_DEP_1)
	v_fmac_f32_e32 v19, s30, v18
	global_store_b32 v[22:23], v19, off offset:192
	global_load_b32 v22, v[24:25], off
	v_add_nc_u64_e32 v[18:19], s[14:15], v[26:27]
	s_wait_loadcnt 0x0
	v_mul_f32_e32 v26, s33, v22
	s_delay_alu instid0(VALU_DEP_2) | instskip(NEXT) | instid1(VALU_DEP_2)
	v_add_nc_u64_e32 v[22:23], v[18:19], v[8:9]
	v_fmac_f32_e32 v26, s30, v17
	global_store_b32 v[22:23], v26, off
	global_load_b32 v17, v[24:25], off offset:64
	s_wait_loadcnt 0x0
	v_mul_f32_e32 v17, s33, v17
	s_delay_alu instid0(VALU_DEP_1) | instskip(SKIP_4) | instid1(VALU_DEP_1)
	v_fmac_f32_e32 v17, s30, v16
	global_store_b32 v[22:23], v17, off offset:64
	global_load_b32 v16, v[24:25], off offset:128
	s_wait_loadcnt 0x0
	v_mul_f32_e32 v16, s33, v16
	v_fmac_f32_e32 v16, s30, v15
	global_store_b32 v[22:23], v16, off offset:128
	global_load_b32 v15, v[24:25], off offset:192
	s_wait_xcnt 0x1
	v_add_nc_u64_e32 v[16:17], s[16:17], v[20:21]
	s_delay_alu instid0(VALU_DEP_1) | instskip(SKIP_2) | instid1(VALU_DEP_1)
	v_add_nc_u64_e32 v[16:17], v[16:17], v[8:9]
	s_wait_loadcnt 0x0
	v_mul_f32_e32 v15, s33, v15
	v_fmac_f32_e32 v15, s30, v14
	global_store_b32 v[22:23], v15, off offset:192
	global_load_b32 v20, v[16:17], off
	s_wait_xcnt 0x1
	v_add_nc_u64_e32 v[14:15], s[14:15], v[18:19]
	s_delay_alu instid0(VALU_DEP_1) | instskip(SKIP_2) | instid1(VALU_DEP_1)
	v_add_nc_u64_e32 v[14:15], v[14:15], v[8:9]
	s_wait_loadcnt 0x0
	v_mul_f32_e32 v18, s33, v20
	v_fmac_f32_e32 v18, s30, v13
	global_store_b32 v[14:15], v18, off
	global_load_b32 v13, v[16:17], off offset:64
	s_wait_loadcnt 0x0
	v_mul_f32_e32 v13, s33, v13
	s_delay_alu instid0(VALU_DEP_1) | instskip(SKIP_4) | instid1(VALU_DEP_1)
	v_fmac_f32_e32 v13, s30, v12
	global_store_b32 v[14:15], v13, off offset:64
	global_load_b32 v12, v[16:17], off offset:128
	s_wait_loadcnt 0x0
	v_mul_f32_e32 v12, s33, v12
	v_fmac_f32_e32 v12, s30, v11
	global_store_b32 v[14:15], v12, off offset:128
	global_load_b32 v11, v[16:17], off offset:192
	s_wait_loadcnt 0x0
	v_mul_f32_e32 v11, s33, v11
	s_delay_alu instid0(VALU_DEP_1)
	v_fmac_f32_e32 v11, s30, v10
	global_store_b32 v[14:15], v11, off offset:192
	s_branch .LBB453_2
.LBB453_10:
	s_sendmsg sendmsg(MSG_DEALLOC_VGPRS)
	s_endpgm
	.section	.rodata,"a",@progbits
	.p2align	6, 0x0
	.amdhsa_kernel _ZN12_GLOBAL__N_127rocblas_gemm_batched_kernelIfLi16ELi16ELi64ELi64ELi4ELi64ELi4ELi4ELi64ELc84ELc67EK16rocblas_bfloat16KffEEvlllT_PT11_llS6_llS4_PT12_llPT13_lli
		.amdhsa_group_segment_fixed_size 2048
		.amdhsa_private_segment_fixed_size 0
		.amdhsa_kernarg_size 140
		.amdhsa_user_sgpr_count 2
		.amdhsa_user_sgpr_dispatch_ptr 0
		.amdhsa_user_sgpr_queue_ptr 0
		.amdhsa_user_sgpr_kernarg_segment_ptr 1
		.amdhsa_user_sgpr_dispatch_id 0
		.amdhsa_user_sgpr_kernarg_preload_length 0
		.amdhsa_user_sgpr_kernarg_preload_offset 0
		.amdhsa_user_sgpr_private_segment_size 0
		.amdhsa_wavefront_size32 1
		.amdhsa_uses_dynamic_stack 0
		.amdhsa_enable_private_segment 0
		.amdhsa_system_sgpr_workgroup_id_x 1
		.amdhsa_system_sgpr_workgroup_id_y 1
		.amdhsa_system_sgpr_workgroup_id_z 1
		.amdhsa_system_sgpr_workgroup_info 0
		.amdhsa_system_vgpr_workitem_id 1
		.amdhsa_next_free_vgpr 74
		.amdhsa_next_free_sgpr 38
		.amdhsa_named_barrier_count 0
		.amdhsa_reserve_vcc 1
		.amdhsa_float_round_mode_32 0
		.amdhsa_float_round_mode_16_64 0
		.amdhsa_float_denorm_mode_32 3
		.amdhsa_float_denorm_mode_16_64 3
		.amdhsa_fp16_overflow 0
		.amdhsa_memory_ordered 1
		.amdhsa_forward_progress 1
		.amdhsa_inst_pref_size 19
		.amdhsa_round_robin_scheduling 0
		.amdhsa_exception_fp_ieee_invalid_op 0
		.amdhsa_exception_fp_denorm_src 0
		.amdhsa_exception_fp_ieee_div_zero 0
		.amdhsa_exception_fp_ieee_overflow 0
		.amdhsa_exception_fp_ieee_underflow 0
		.amdhsa_exception_fp_ieee_inexact 0
		.amdhsa_exception_int_div_zero 0
	.end_amdhsa_kernel
	.section	.text._ZN12_GLOBAL__N_127rocblas_gemm_batched_kernelIfLi16ELi16ELi64ELi64ELi4ELi64ELi4ELi4ELi64ELc84ELc67EK16rocblas_bfloat16KffEEvlllT_PT11_llS6_llS4_PT12_llPT13_lli,"axG",@progbits,_ZN12_GLOBAL__N_127rocblas_gemm_batched_kernelIfLi16ELi16ELi64ELi64ELi4ELi64ELi4ELi4ELi64ELc84ELc67EK16rocblas_bfloat16KffEEvlllT_PT11_llS6_llS4_PT12_llPT13_lli,comdat
.Lfunc_end453:
	.size	_ZN12_GLOBAL__N_127rocblas_gemm_batched_kernelIfLi16ELi16ELi64ELi64ELi4ELi64ELi4ELi4ELi64ELc84ELc67EK16rocblas_bfloat16KffEEvlllT_PT11_llS6_llS4_PT12_llPT13_lli, .Lfunc_end453-_ZN12_GLOBAL__N_127rocblas_gemm_batched_kernelIfLi16ELi16ELi64ELi64ELi4ELi64ELi4ELi4ELi64ELc84ELc67EK16rocblas_bfloat16KffEEvlllT_PT11_llS6_llS4_PT12_llPT13_lli
                                        ; -- End function
	.set _ZN12_GLOBAL__N_127rocblas_gemm_batched_kernelIfLi16ELi16ELi64ELi64ELi4ELi64ELi4ELi4ELi64ELc84ELc67EK16rocblas_bfloat16KffEEvlllT_PT11_llS6_llS4_PT12_llPT13_lli.num_vgpr, 74
	.set _ZN12_GLOBAL__N_127rocblas_gemm_batched_kernelIfLi16ELi16ELi64ELi64ELi4ELi64ELi4ELi4ELi64ELc84ELc67EK16rocblas_bfloat16KffEEvlllT_PT11_llS6_llS4_PT12_llPT13_lli.num_agpr, 0
	.set _ZN12_GLOBAL__N_127rocblas_gemm_batched_kernelIfLi16ELi16ELi64ELi64ELi4ELi64ELi4ELi4ELi64ELc84ELc67EK16rocblas_bfloat16KffEEvlllT_PT11_llS6_llS4_PT12_llPT13_lli.numbered_sgpr, 38
	.set _ZN12_GLOBAL__N_127rocblas_gemm_batched_kernelIfLi16ELi16ELi64ELi64ELi4ELi64ELi4ELi4ELi64ELc84ELc67EK16rocblas_bfloat16KffEEvlllT_PT11_llS6_llS4_PT12_llPT13_lli.num_named_barrier, 0
	.set _ZN12_GLOBAL__N_127rocblas_gemm_batched_kernelIfLi16ELi16ELi64ELi64ELi4ELi64ELi4ELi4ELi64ELc84ELc67EK16rocblas_bfloat16KffEEvlllT_PT11_llS6_llS4_PT12_llPT13_lli.private_seg_size, 0
	.set _ZN12_GLOBAL__N_127rocblas_gemm_batched_kernelIfLi16ELi16ELi64ELi64ELi4ELi64ELi4ELi4ELi64ELc84ELc67EK16rocblas_bfloat16KffEEvlllT_PT11_llS6_llS4_PT12_llPT13_lli.uses_vcc, 1
	.set _ZN12_GLOBAL__N_127rocblas_gemm_batched_kernelIfLi16ELi16ELi64ELi64ELi4ELi64ELi4ELi4ELi64ELc84ELc67EK16rocblas_bfloat16KffEEvlllT_PT11_llS6_llS4_PT12_llPT13_lli.uses_flat_scratch, 0
	.set _ZN12_GLOBAL__N_127rocblas_gemm_batched_kernelIfLi16ELi16ELi64ELi64ELi4ELi64ELi4ELi4ELi64ELc84ELc67EK16rocblas_bfloat16KffEEvlllT_PT11_llS6_llS4_PT12_llPT13_lli.has_dyn_sized_stack, 0
	.set _ZN12_GLOBAL__N_127rocblas_gemm_batched_kernelIfLi16ELi16ELi64ELi64ELi4ELi64ELi4ELi4ELi64ELc84ELc67EK16rocblas_bfloat16KffEEvlllT_PT11_llS6_llS4_PT12_llPT13_lli.has_recursion, 0
	.set _ZN12_GLOBAL__N_127rocblas_gemm_batched_kernelIfLi16ELi16ELi64ELi64ELi4ELi64ELi4ELi4ELi64ELc84ELc67EK16rocblas_bfloat16KffEEvlllT_PT11_llS6_llS4_PT12_llPT13_lli.has_indirect_call, 0
	.section	.AMDGPU.csdata,"",@progbits
; Kernel info:
; codeLenInByte = 2332
; TotalNumSgprs: 40
; NumVgprs: 74
; ScratchSize: 0
; MemoryBound: 0
; FloatMode: 240
; IeeeMode: 1
; LDSByteSize: 2048 bytes/workgroup (compile time only)
; SGPRBlocks: 0
; VGPRBlocks: 4
; NumSGPRsForWavesPerEU: 40
; NumVGPRsForWavesPerEU: 74
; NamedBarCnt: 0
; Occupancy: 12
; WaveLimiterHint : 0
; COMPUTE_PGM_RSRC2:SCRATCH_EN: 0
; COMPUTE_PGM_RSRC2:USER_SGPR: 2
; COMPUTE_PGM_RSRC2:TRAP_HANDLER: 0
; COMPUTE_PGM_RSRC2:TGID_X_EN: 1
; COMPUTE_PGM_RSRC2:TGID_Y_EN: 1
; COMPUTE_PGM_RSRC2:TGID_Z_EN: 1
; COMPUTE_PGM_RSRC2:TIDIG_COMP_CNT: 1
	.section	.text._ZN12_GLOBAL__N_127rocblas_gemm_batched_kernelIfLi16ELi16ELi32ELi32ELi8ELi32ELi8ELi8ELi32ELc78ELc78EK16rocblas_bfloat16KffEEvlllT_PT11_llS6_llS4_PT12_llPT13_lli,"axG",@progbits,_ZN12_GLOBAL__N_127rocblas_gemm_batched_kernelIfLi16ELi16ELi32ELi32ELi8ELi32ELi8ELi8ELi32ELc78ELc78EK16rocblas_bfloat16KffEEvlllT_PT11_llS6_llS4_PT12_llPT13_lli,comdat
	.globl	_ZN12_GLOBAL__N_127rocblas_gemm_batched_kernelIfLi16ELi16ELi32ELi32ELi8ELi32ELi8ELi8ELi32ELc78ELc78EK16rocblas_bfloat16KffEEvlllT_PT11_llS6_llS4_PT12_llPT13_lli ; -- Begin function _ZN12_GLOBAL__N_127rocblas_gemm_batched_kernelIfLi16ELi16ELi32ELi32ELi8ELi32ELi8ELi8ELi32ELc78ELc78EK16rocblas_bfloat16KffEEvlllT_PT11_llS6_llS4_PT12_llPT13_lli
	.p2align	8
	.type	_ZN12_GLOBAL__N_127rocblas_gemm_batched_kernelIfLi16ELi16ELi32ELi32ELi8ELi32ELi8ELi8ELi32ELc78ELc78EK16rocblas_bfloat16KffEEvlllT_PT11_llS6_llS4_PT12_llPT13_lli,@function
_ZN12_GLOBAL__N_127rocblas_gemm_batched_kernelIfLi16ELi16ELi32ELi32ELi8ELi32ELi8ELi8ELi32ELc78ELc78EK16rocblas_bfloat16KffEEvlllT_PT11_llS6_llS4_PT12_llPT13_lli: ; @_ZN12_GLOBAL__N_127rocblas_gemm_batched_kernelIfLi16ELi16ELi32ELi32ELi8ELi32ELi8ELi8ELi32ELc78ELc78EK16rocblas_bfloat16KffEEvlllT_PT11_llS6_llS4_PT12_llPT13_lli
; %bb.0:
	s_load_b32 s31, s[0:1], 0x88
	s_bfe_u32 s2, ttmp6, 0x40014
	s_lshr_b32 s3, ttmp7, 16
	s_add_co_i32 s2, s2, 1
	s_bfe_u32 s4, ttmp6, 0x40008
	s_mul_i32 s2, s3, s2
	s_getreg_b32 s20, hwreg(HW_REG_IB_STS2, 6, 4)
	s_add_co_i32 s4, s4, s2
	s_cmp_eq_u32 s20, 0
	s_cselect_b32 s2, s3, s4
	s_mov_b32 s3, 0
	s_wait_kmcnt 0x0
	s_cmp_ge_i32 s2, s31
	s_cbranch_scc1 .LBB454_10
; %bb.1:
	v_bfe_u32 v2, v0, 10, 10
	v_and_b32_e32 v4, 0x3ff, v0
	s_bfe_u32 s21, ttmp6, 0x4000c
	s_bfe_u32 s23, ttmp6, 0x40010
	s_clause 0x2
	s_load_b256 s[12:19], s[0:1], 0x20
	s_load_b128 s[24:27], s[0:1], 0x40
	s_load_b256 s[4:11], s[0:1], 0x58
	s_add_co_i32 s21, s21, 1
	s_and_b32 s28, ttmp7, 0xffff
	s_add_co_i32 s23, s23, 1
	v_lshl_add_u32 v16, v2, 4, v4
	v_mov_b32_e32 v3, 0
	s_and_b32 s22, ttmp6, 15
	s_mul_i32 s21, ttmp9, s21
	s_mul_i32 s23, s28, s23
	s_bfe_u32 s29, ttmp6, 0x40004
	s_add_co_i32 s22, s22, s21
	s_add_co_i32 s29, s29, s23
	s_cmp_eq_u32 s20, 0
	v_dual_mov_b32 v7, v3 :: v_dual_lshrrev_b32 v6, 3, v16
	v_lshrrev_b32_e32 v17, 5, v16
	s_cselect_b32 s20, s28, s29
	s_cselect_b32 s28, ttmp9, s22
	s_lshl_b32 s34, s20, 5
	s_mov_b32 s35, s3
	s_load_b128 s[20:23], s[0:1], 0x78
	v_add_nc_u64_e32 v[8:9], s[34:35], v[6:7]
	v_add_nc_u64_e32 v[10:11], s[34:35], v[2:3]
	s_ashr_i32 s29, s28, 31
	s_load_b32 s33, s[0:1], 0x50
	v_dual_mov_b32 v5, v3 :: v_dual_bitop2_b32 v7, 7, v0 bitop3:0x40
	v_lshl_add_u32 v19, v2, 5, 0x400
	s_wait_kmcnt 0x0
	v_mul_u64_e32 v[8:9], s[24:25], v[8:9]
	v_mul_u64_e32 v[12:13], s[6:7], v[10:11]
	s_lshl_b64 s[24:25], s[28:29], 5
	s_load_b96 s[28:30], s[0:1], 0x10
	v_mad_nc_u64_u32 v[14:15], s14, v17, s[24:25]
	v_dual_lshlrev_b32 v2, 1, v7 :: v_dual_lshlrev_b32 v18, 2, v4
	v_mul_u64_e32 v[0:1], s[20:21], v[10:11]
	v_dual_mov_b32 v11, v3 :: v_dual_bitop2_b32 v10, 31, v16 bitop3:0x40
	s_delay_alu instid0(VALU_DEP_4) | instskip(SKIP_2) | instid1(VALU_DEP_3)
	v_mad_u32 v15, s15, v17, v15
	v_lshlrev_b32_e32 v16, 2, v7
	s_cmp_eq_f32 s33, 0
	v_lshlrev_b32_e32 v20, 2, v10
	s_delay_alu instid0(VALU_DEP_2)
	v_lshl_or_b32 v16, v6, 5, v16
	v_add_nc_u64_e32 v[6:7], s[24:25], v[4:5]
	s_wait_kmcnt 0x0
	v_cmp_gt_i64_e64 s0, s[28:29], 0
	v_lshl_or_b32 v20, v17, 7, v20
	s_cselect_b32 s1, -1, 0
	v_add_nc_u32_e32 v21, 0x400, v16
	s_lshl_b64 s[20:21], s[20:21], 4
	s_lshl_b64 s[6:7], s[6:7], 4
	v_lshlrev_b64_e32 v[6:7], 2, v[6:7]
	s_lshl_b64 s[14:15], s[14:15], 4
	v_lshl_add_u64 v[4:5], v[8:9], 1, v[2:3]
	v_add_nc_u64_e32 v[8:9], v[14:15], v[10:11]
	v_cndmask_b32_e64 v10, 0, 1, s0
	v_lshl_add_u64 v[2:3], v[12:13], 2, s[4:5]
	s_lshl_b64 s[4:5], s[26:27], 1
	v_add_nc_u64_e32 v[4:5], s[18:19], v[4:5]
	s_delay_alu instid0(VALU_DEP_3)
	v_cmp_ne_u32_e64 s0, 1, v10
	v_lshl_add_u64 v[8:9], v[8:9], 1, s[12:13]
	s_lshl_b64 s[12:13], s[16:17], 1
	s_branch .LBB454_3
.LBB454_2:                              ;   in Loop: Header=BB454_3 Depth=1
	s_add_co_i32 s2, s2, 0x10000
	s_delay_alu instid0(SALU_CYCLE_1)
	s_cmp_lt_i32 s2, s31
	s_cbranch_scc0 .LBB454_10
.LBB454_3:                              ; =>This Loop Header: Depth=1
                                        ;     Child Loop BB454_5 Depth 2
	s_wait_xcnt 0x0
	v_dual_mov_b32 v13, 0 :: v_dual_mov_b32 v12, 0
	v_dual_mov_b32 v11, 0 :: v_dual_mov_b32 v10, 0
	s_and_b32 vcc_lo, exec_lo, s0
	s_cbranch_vccnz .LBB454_6
; %bb.4:                                ;   in Loop: Header=BB454_3 Depth=1
	v_mad_nc_u64_u32 v[14:15], s4, s2, v[4:5]
	v_mad_nc_u64_u32 v[16:17], s12, s2, v[8:9]
	v_mov_b32_e32 v10, 0
	s_mov_b64 s[16:17], 0
	s_delay_alu instid0(VALU_DEP_1)
	v_dual_mov_b32 v11, v10 :: v_dual_mov_b32 v12, v10
	v_mov_b32_e32 v13, v10
	v_mad_u32 v15, s5, s2, v15
	v_mad_u32 v17, s13, s2, v17
.LBB454_5:                              ;   Parent Loop BB454_3 Depth=1
                                        ; =>  This Inner Loop Header: Depth=2
	global_load_u16 v22, v[16:17], off
	global_load_u16 v23, v[14:15], off
	s_add_nc_u64 s[16:17], s[16:17], 8
	s_wait_xcnt 0x0
	v_add_nc_u64_e32 v[14:15], 16, v[14:15]
	v_cmp_lt_i64_e64 s18, s[16:17], s[28:29]
	v_add_nc_u64_e32 v[16:17], s[14:15], v[16:17]
	s_and_b32 vcc_lo, exec_lo, s18
	s_wait_loadcnt 0x0
	v_dual_lshlrev_b32 v22, 16, v22 :: v_dual_lshlrev_b32 v23, 16, v23
	ds_store_b32 v20, v22
	ds_store_b32 v21, v23
	s_wait_dscnt 0x0
	s_barrier_signal -1
	s_barrier_wait -1
	ds_load_2addr_b32 v[38:39], v18 offset1:16
	ds_load_2addr_b32 v[40:41], v18 offset0:32 offset1:48
	ds_load_b128 v[22:25], v19
	ds_load_2addr_b32 v[42:43], v18 offset0:64 offset1:80
	ds_load_b128 v[26:29], v19 offset:512
	ds_load_2addr_b32 v[44:45], v18 offset0:96 offset1:112
	ds_load_b128 v[30:33], v19 offset:16
	;; [unrolled: 2-line block ×3, first 2 shown]
	ds_load_2addr_b32 v[48:49], v18 offset0:160 offset1:176
	ds_load_2addr_b32 v[50:51], v18 offset0:192 offset1:208
	;; [unrolled: 1-line block ×3, first 2 shown]
	s_wait_dscnt 0x0
	s_barrier_signal -1
	s_barrier_wait -1
	v_dual_mov_b32 v54, v39 :: v_dual_mov_b32 v55, v38
	v_dual_mov_b32 v38, v41 :: v_dual_mov_b32 v39, v40
	;; [unrolled: 1-line block ×3, first 2 shown]
	s_delay_alu instid0(VALU_DEP_3) | instskip(SKIP_3) | instid1(VALU_DEP_4)
	v_pk_fma_f32 v[12:13], v[54:55], v[22:23], v[12:13] op_sel_hi:[1,0,1]
	v_pk_fma_f32 v[10:11], v[54:55], v[26:27], v[10:11] op_sel_hi:[1,0,1]
	v_dual_mov_b32 v42, v45 :: v_dual_mov_b32 v43, v44
	v_mov_b32_e32 v44, v25
	v_pk_fma_f32 v[12:13], v[38:39], v[22:23], v[12:13] op_sel:[0,1,0]
	s_delay_alu instid0(VALU_DEP_4) | instskip(SKIP_2) | instid1(VALU_DEP_4)
	v_pk_fma_f32 v[10:11], v[38:39], v[26:27], v[10:11] op_sel:[0,1,0]
	v_dual_mov_b32 v22, v29 :: v_dual_mov_b32 v26, v53
	v_mov_b32_e32 v27, v52
	v_pk_fma_f32 v[12:13], v[40:41], v[24:25], v[12:13] op_sel_hi:[1,0,1]
	s_delay_alu instid0(VALU_DEP_4) | instskip(SKIP_2) | instid1(VALU_DEP_4)
	v_pk_fma_f32 v[10:11], v[40:41], v[28:29], v[10:11] op_sel_hi:[1,0,1]
	v_dual_mov_b32 v24, v47 :: v_dual_mov_b32 v25, v46
	v_mov_b32_e32 v28, v37
	v_pk_fma_f32 v[12:13], v[42:43], v[44:45], v[12:13] op_sel_hi:[1,0,1]
	s_delay_alu instid0(VALU_DEP_4) | instskip(SKIP_1) | instid1(VALU_DEP_3)
	v_pk_fma_f32 v[10:11], v[42:43], v[22:23], v[10:11] op_sel_hi:[1,0,1]
	v_dual_mov_b32 v22, v49 :: v_dual_mov_b32 v23, v48
	v_pk_fma_f32 v[12:13], v[24:25], v[30:31], v[12:13] op_sel_hi:[1,0,1]
	s_delay_alu instid0(VALU_DEP_3) | instskip(SKIP_1) | instid1(VALU_DEP_3)
	v_pk_fma_f32 v[10:11], v[24:25], v[34:35], v[10:11] op_sel_hi:[1,0,1]
	v_dual_mov_b32 v24, v51 :: v_dual_mov_b32 v25, v50
	v_pk_fma_f32 v[12:13], v[22:23], v[30:31], v[12:13] op_sel:[0,1,0]
	s_delay_alu instid0(VALU_DEP_3) | instskip(SKIP_1) | instid1(VALU_DEP_3)
	v_pk_fma_f32 v[10:11], v[22:23], v[34:35], v[10:11] op_sel:[0,1,0]
	v_mov_b32_e32 v22, v33
	v_pk_fma_f32 v[12:13], v[24:25], v[32:33], v[12:13] op_sel_hi:[1,0,1]
	s_delay_alu instid0(VALU_DEP_3) | instskip(NEXT) | instid1(VALU_DEP_2)
	v_pk_fma_f32 v[10:11], v[24:25], v[36:37], v[10:11] op_sel_hi:[1,0,1]
	v_pk_fma_f32 v[12:13], v[26:27], v[22:23], v[12:13] op_sel_hi:[1,0,1]
	s_delay_alu instid0(VALU_DEP_2)
	v_pk_fma_f32 v[10:11], v[26:27], v[28:29], v[10:11] op_sel_hi:[1,0,1]
	s_cbranch_vccnz .LBB454_5
.LBB454_6:                              ;   in Loop: Header=BB454_3 Depth=1
	s_mul_u64 s[16:17], s[22:23], s[2:3]
	s_and_not1_b32 vcc_lo, exec_lo, s1
	s_lshl_b64 s[16:17], s[16:17], 2
	s_delay_alu instid0(SALU_CYCLE_1) | instskip(NEXT) | instid1(SALU_CYCLE_1)
	s_add_nc_u64 s[16:17], s[10:11], s[16:17]
	v_lshl_add_u64 v[14:15], v[0:1], 2, s[16:17]
	s_delay_alu instid0(VALU_DEP_1)
	v_add_nc_u64_e32 v[16:17], v[14:15], v[6:7]
	v_lshl_add_u64 v[14:15], s[20:21], 2, v[14:15]
	s_cbranch_vccnz .LBB454_8
; %bb.7:                                ;   in Loop: Header=BB454_3 Depth=1
	s_delay_alu instid0(VALU_DEP_1)
	v_add_nc_u64_e32 v[22:23], v[14:15], v[6:7]
	v_dual_mul_f32 v24, s30, v13 :: v_dual_mul_f32 v25, s30, v12
	v_dual_mul_f32 v26, s30, v11 :: v_dual_mul_f32 v27, s30, v10
	s_clause 0x3
	global_store_b32 v[16:17], v24, off
	global_store_b32 v[16:17], v25, off offset:64
	global_store_b32 v[22:23], v26, off
	global_store_b32 v[22:23], v27, off offset:64
	s_cbranch_execnz .LBB454_2
	s_branch .LBB454_9
.LBB454_8:                              ;   in Loop: Header=BB454_3 Depth=1
.LBB454_9:                              ;   in Loop: Header=BB454_3 Depth=1
	s_mul_u64 s[16:17], s[8:9], s[2:3]
	s_wait_xcnt 0x0
	v_lshl_add_u64 v[22:23], s[16:17], 2, v[2:3]
	s_delay_alu instid0(VALU_DEP_1) | instskip(SKIP_1) | instid1(VALU_DEP_1)
	v_add_nc_u64_e32 v[24:25], v[22:23], v[6:7]
	v_lshl_add_u64 v[22:23], s[6:7], 2, v[22:23]
	v_add_nc_u64_e32 v[22:23], v[22:23], v[6:7]
	global_load_b32 v26, v[24:25], off
	s_wait_loadcnt 0x0
	v_mul_f32_e32 v26, s33, v26
	s_delay_alu instid0(VALU_DEP_1) | instskip(SKIP_4) | instid1(VALU_DEP_1)
	v_fmac_f32_e32 v26, s30, v13
	global_store_b32 v[16:17], v26, off
	global_load_b32 v13, v[24:25], off offset:64
	s_wait_loadcnt 0x0
	v_mul_f32_e32 v13, s33, v13
	v_fmac_f32_e32 v13, s30, v12
	global_store_b32 v[16:17], v13, off offset:64
	global_load_b32 v12, v[22:23], off
	s_wait_loadcnt 0x0
	s_wait_xcnt 0x1
	v_mul_f32_e32 v16, s33, v12
	v_add_nc_u64_e32 v[12:13], v[14:15], v[6:7]
	s_delay_alu instid0(VALU_DEP_2) | instskip(SKIP_4) | instid1(VALU_DEP_1)
	v_fmac_f32_e32 v16, s30, v11
	global_store_b32 v[12:13], v16, off
	global_load_b32 v11, v[22:23], off offset:64
	s_wait_loadcnt 0x0
	v_mul_f32_e32 v11, s33, v11
	v_fmac_f32_e32 v11, s30, v10
	global_store_b32 v[12:13], v11, off offset:64
	s_branch .LBB454_2
.LBB454_10:
	s_endpgm
	.section	.rodata,"a",@progbits
	.p2align	6, 0x0
	.amdhsa_kernel _ZN12_GLOBAL__N_127rocblas_gemm_batched_kernelIfLi16ELi16ELi32ELi32ELi8ELi32ELi8ELi8ELi32ELc78ELc78EK16rocblas_bfloat16KffEEvlllT_PT11_llS6_llS4_PT12_llPT13_lli
		.amdhsa_group_segment_fixed_size 2048
		.amdhsa_private_segment_fixed_size 0
		.amdhsa_kernarg_size 140
		.amdhsa_user_sgpr_count 2
		.amdhsa_user_sgpr_dispatch_ptr 0
		.amdhsa_user_sgpr_queue_ptr 0
		.amdhsa_user_sgpr_kernarg_segment_ptr 1
		.amdhsa_user_sgpr_dispatch_id 0
		.amdhsa_user_sgpr_kernarg_preload_length 0
		.amdhsa_user_sgpr_kernarg_preload_offset 0
		.amdhsa_user_sgpr_private_segment_size 0
		.amdhsa_wavefront_size32 1
		.amdhsa_uses_dynamic_stack 0
		.amdhsa_enable_private_segment 0
		.amdhsa_system_sgpr_workgroup_id_x 1
		.amdhsa_system_sgpr_workgroup_id_y 1
		.amdhsa_system_sgpr_workgroup_id_z 1
		.amdhsa_system_sgpr_workgroup_info 0
		.amdhsa_system_vgpr_workitem_id 1
		.amdhsa_next_free_vgpr 56
		.amdhsa_next_free_sgpr 36
		.amdhsa_named_barrier_count 0
		.amdhsa_reserve_vcc 1
		.amdhsa_float_round_mode_32 0
		.amdhsa_float_round_mode_16_64 0
		.amdhsa_float_denorm_mode_32 3
		.amdhsa_float_denorm_mode_16_64 3
		.amdhsa_fp16_overflow 0
		.amdhsa_memory_ordered 1
		.amdhsa_forward_progress 1
		.amdhsa_inst_pref_size 11
		.amdhsa_round_robin_scheduling 0
		.amdhsa_exception_fp_ieee_invalid_op 0
		.amdhsa_exception_fp_denorm_src 0
		.amdhsa_exception_fp_ieee_div_zero 0
		.amdhsa_exception_fp_ieee_overflow 0
		.amdhsa_exception_fp_ieee_underflow 0
		.amdhsa_exception_fp_ieee_inexact 0
		.amdhsa_exception_int_div_zero 0
	.end_amdhsa_kernel
	.section	.text._ZN12_GLOBAL__N_127rocblas_gemm_batched_kernelIfLi16ELi16ELi32ELi32ELi8ELi32ELi8ELi8ELi32ELc78ELc78EK16rocblas_bfloat16KffEEvlllT_PT11_llS6_llS4_PT12_llPT13_lli,"axG",@progbits,_ZN12_GLOBAL__N_127rocblas_gemm_batched_kernelIfLi16ELi16ELi32ELi32ELi8ELi32ELi8ELi8ELi32ELc78ELc78EK16rocblas_bfloat16KffEEvlllT_PT11_llS6_llS4_PT12_llPT13_lli,comdat
.Lfunc_end454:
	.size	_ZN12_GLOBAL__N_127rocblas_gemm_batched_kernelIfLi16ELi16ELi32ELi32ELi8ELi32ELi8ELi8ELi32ELc78ELc78EK16rocblas_bfloat16KffEEvlllT_PT11_llS6_llS4_PT12_llPT13_lli, .Lfunc_end454-_ZN12_GLOBAL__N_127rocblas_gemm_batched_kernelIfLi16ELi16ELi32ELi32ELi8ELi32ELi8ELi8ELi32ELc78ELc78EK16rocblas_bfloat16KffEEvlllT_PT11_llS6_llS4_PT12_llPT13_lli
                                        ; -- End function
	.set _ZN12_GLOBAL__N_127rocblas_gemm_batched_kernelIfLi16ELi16ELi32ELi32ELi8ELi32ELi8ELi8ELi32ELc78ELc78EK16rocblas_bfloat16KffEEvlllT_PT11_llS6_llS4_PT12_llPT13_lli.num_vgpr, 56
	.set _ZN12_GLOBAL__N_127rocblas_gemm_batched_kernelIfLi16ELi16ELi32ELi32ELi8ELi32ELi8ELi8ELi32ELc78ELc78EK16rocblas_bfloat16KffEEvlllT_PT11_llS6_llS4_PT12_llPT13_lli.num_agpr, 0
	.set _ZN12_GLOBAL__N_127rocblas_gemm_batched_kernelIfLi16ELi16ELi32ELi32ELi8ELi32ELi8ELi8ELi32ELc78ELc78EK16rocblas_bfloat16KffEEvlllT_PT11_llS6_llS4_PT12_llPT13_lli.numbered_sgpr, 36
	.set _ZN12_GLOBAL__N_127rocblas_gemm_batched_kernelIfLi16ELi16ELi32ELi32ELi8ELi32ELi8ELi8ELi32ELc78ELc78EK16rocblas_bfloat16KffEEvlllT_PT11_llS6_llS4_PT12_llPT13_lli.num_named_barrier, 0
	.set _ZN12_GLOBAL__N_127rocblas_gemm_batched_kernelIfLi16ELi16ELi32ELi32ELi8ELi32ELi8ELi8ELi32ELc78ELc78EK16rocblas_bfloat16KffEEvlllT_PT11_llS6_llS4_PT12_llPT13_lli.private_seg_size, 0
	.set _ZN12_GLOBAL__N_127rocblas_gemm_batched_kernelIfLi16ELi16ELi32ELi32ELi8ELi32ELi8ELi8ELi32ELc78ELc78EK16rocblas_bfloat16KffEEvlllT_PT11_llS6_llS4_PT12_llPT13_lli.uses_vcc, 1
	.set _ZN12_GLOBAL__N_127rocblas_gemm_batched_kernelIfLi16ELi16ELi32ELi32ELi8ELi32ELi8ELi8ELi32ELc78ELc78EK16rocblas_bfloat16KffEEvlllT_PT11_llS6_llS4_PT12_llPT13_lli.uses_flat_scratch, 0
	.set _ZN12_GLOBAL__N_127rocblas_gemm_batched_kernelIfLi16ELi16ELi32ELi32ELi8ELi32ELi8ELi8ELi32ELc78ELc78EK16rocblas_bfloat16KffEEvlllT_PT11_llS6_llS4_PT12_llPT13_lli.has_dyn_sized_stack, 0
	.set _ZN12_GLOBAL__N_127rocblas_gemm_batched_kernelIfLi16ELi16ELi32ELi32ELi8ELi32ELi8ELi8ELi32ELc78ELc78EK16rocblas_bfloat16KffEEvlllT_PT11_llS6_llS4_PT12_llPT13_lli.has_recursion, 0
	.set _ZN12_GLOBAL__N_127rocblas_gemm_batched_kernelIfLi16ELi16ELi32ELi32ELi8ELi32ELi8ELi8ELi32ELc78ELc78EK16rocblas_bfloat16KffEEvlllT_PT11_llS6_llS4_PT12_llPT13_lli.has_indirect_call, 0
	.section	.AMDGPU.csdata,"",@progbits
; Kernel info:
; codeLenInByte = 1372
; TotalNumSgprs: 38
; NumVgprs: 56
; ScratchSize: 0
; MemoryBound: 0
; FloatMode: 240
; IeeeMode: 1
; LDSByteSize: 2048 bytes/workgroup (compile time only)
; SGPRBlocks: 0
; VGPRBlocks: 3
; NumSGPRsForWavesPerEU: 38
; NumVGPRsForWavesPerEU: 56
; NamedBarCnt: 0
; Occupancy: 16
; WaveLimiterHint : 0
; COMPUTE_PGM_RSRC2:SCRATCH_EN: 0
; COMPUTE_PGM_RSRC2:USER_SGPR: 2
; COMPUTE_PGM_RSRC2:TRAP_HANDLER: 0
; COMPUTE_PGM_RSRC2:TGID_X_EN: 1
; COMPUTE_PGM_RSRC2:TGID_Y_EN: 1
; COMPUTE_PGM_RSRC2:TGID_Z_EN: 1
; COMPUTE_PGM_RSRC2:TIDIG_COMP_CNT: 1
	.section	.text._ZN12_GLOBAL__N_127rocblas_gemm_batched_kernelIfLi16ELi16ELi32ELi32ELi8ELi32ELi8ELi8ELi32ELc84ELc78EK16rocblas_bfloat16KffEEvlllT_PT11_llS6_llS4_PT12_llPT13_lli,"axG",@progbits,_ZN12_GLOBAL__N_127rocblas_gemm_batched_kernelIfLi16ELi16ELi32ELi32ELi8ELi32ELi8ELi8ELi32ELc84ELc78EK16rocblas_bfloat16KffEEvlllT_PT11_llS6_llS4_PT12_llPT13_lli,comdat
	.globl	_ZN12_GLOBAL__N_127rocblas_gemm_batched_kernelIfLi16ELi16ELi32ELi32ELi8ELi32ELi8ELi8ELi32ELc84ELc78EK16rocblas_bfloat16KffEEvlllT_PT11_llS6_llS4_PT12_llPT13_lli ; -- Begin function _ZN12_GLOBAL__N_127rocblas_gemm_batched_kernelIfLi16ELi16ELi32ELi32ELi8ELi32ELi8ELi8ELi32ELc84ELc78EK16rocblas_bfloat16KffEEvlllT_PT11_llS6_llS4_PT12_llPT13_lli
	.p2align	8
	.type	_ZN12_GLOBAL__N_127rocblas_gemm_batched_kernelIfLi16ELi16ELi32ELi32ELi8ELi32ELi8ELi8ELi32ELc84ELc78EK16rocblas_bfloat16KffEEvlllT_PT11_llS6_llS4_PT12_llPT13_lli,@function
_ZN12_GLOBAL__N_127rocblas_gemm_batched_kernelIfLi16ELi16ELi32ELi32ELi8ELi32ELi8ELi8ELi32ELc84ELc78EK16rocblas_bfloat16KffEEvlllT_PT11_llS6_llS4_PT12_llPT13_lli: ; @_ZN12_GLOBAL__N_127rocblas_gemm_batched_kernelIfLi16ELi16ELi32ELi32ELi8ELi32ELi8ELi8ELi32ELc84ELc78EK16rocblas_bfloat16KffEEvlllT_PT11_llS6_llS4_PT12_llPT13_lli
; %bb.0:
	s_load_b32 s31, s[0:1], 0x88
	s_bfe_u32 s2, ttmp6, 0x40014
	s_lshr_b32 s3, ttmp7, 16
	s_add_co_i32 s2, s2, 1
	s_bfe_u32 s5, ttmp6, 0x40008
	s_mul_i32 s2, s3, s2
	s_getreg_b32 s4, hwreg(HW_REG_IB_STS2, 6, 4)
	s_add_co_i32 s5, s5, s2
	s_cmp_eq_u32 s4, 0
	s_cselect_b32 s2, s3, s5
	s_mov_b32 s3, 0
	s_wait_kmcnt 0x0
	s_cmp_ge_i32 s2, s31
	s_cbranch_scc1 .LBB455_10
; %bb.1:
	s_bfe_u32 s6, ttmp6, 0x4000c
	s_bfe_u32 s7, ttmp6, 0x40010
	s_add_co_i32 s6, s6, 1
	s_and_b32 s8, ttmp7, 0xffff
	s_add_co_i32 s7, s7, 1
	v_bfe_u32 v4, v0, 10, 10
	v_and_b32_e32 v6, 0x3ff, v0
	s_and_b32 s5, ttmp6, 15
	s_mul_i32 s6, ttmp9, s6
	s_mul_i32 s7, s8, s7
	s_bfe_u32 s9, ttmp6, 0x40004
	s_clause 0x1
	s_load_b256 s[12:19], s[0:1], 0x20
	s_load_b128 s[24:27], s[0:1], 0x40
	s_add_co_i32 s5, s5, s6
	s_add_co_i32 s9, s9, s7
	s_cmp_eq_u32 s4, 0
	v_lshl_add_u32 v1, v4, 4, v6
	v_mov_b32_e32 v5, 0
	s_cselect_b32 s28, ttmp9, s5
	s_cselect_b32 s4, s8, s9
	s_ashr_i32 s29, s28, 31
	v_lshrrev_b32_e32 v8, 3, v1
	s_lshl_b64 s[36:37], s[28:29], 5
	v_mov_b32_e32 v9, v5
	s_lshl_b32 s34, s4, 5
	s_mov_b32 s35, s3
	s_clause 0x3
	s_load_b32 s33, s[0:1], 0x50
	s_load_b256 s[4:11], s[0:1], 0x58
	s_load_b128 s[20:23], s[0:1], 0x78
	s_load_b96 s[28:30], s[0:1], 0x10
	v_add_nc_u64_e32 v[2:3], s[34:35], v[8:9]
	v_dual_mov_b32 v7, v5 :: v_dual_bitop2_b32 v9, 31, v1 bitop3:0x40
	v_dual_lshrrev_b32 v17, 5, v1 :: v_dual_bitop2_b32 v0, 7, v0 bitop3:0x40
	v_lshl_add_u32 v18, v4, 5, 0x400
	v_lshlrev_b32_e32 v19, 2, v6
	s_wait_kmcnt 0x0
	v_mul_u64_e32 v[10:11], s[24:25], v[2:3]
	v_dual_lshlrev_b32 v16, 2, v0 :: v_dual_bitop2_b32 v2, s36, v9 bitop3:0x54
	v_mov_b32_e32 v3, s37
	v_add_nc_u64_e32 v[6:7], s[36:37], v[6:7]
	v_lshlrev_b32_e32 v9, 2, v9
	s_delay_alu instid0(VALU_DEP_4) | instskip(NEXT) | instid1(VALU_DEP_4)
	v_lshl_or_b32 v8, v8, 5, v16
	v_mul_u64_e32 v[12:13], s[14:15], v[2:3]
	v_add_nc_u64_e32 v[2:3], s[34:35], v[4:5]
	v_lshlrev_b32_e32 v4, 1, v0
	v_lshlrev_b64_e32 v[6:7], 2, v[6:7]
	v_cmp_gt_i64_e64 s0, s[28:29], 0
	s_cmp_eq_f32 s33, 0
	v_lshl_or_b32 v20, v17, 7, v9
	v_add_nc_u32_e32 v21, 0x400, v8
	v_mul_u64_e32 v[14:15], s[6:7], v[2:3]
	v_mul_u64_e32 v[2:3], s[20:21], v[2:3]
	s_cselect_b32 s1, -1, 0
	s_lshl_b64 s[14:15], s[20:21], 4
	v_lshl_add_u64 v[0:1], v[10:11], 1, v[4:5]
	v_lshlrev_b32_e32 v4, 1, v17
	v_cndmask_b32_e64 v10, 0, 1, s0
	s_delay_alu instid0(VALU_DEP_3) | instskip(NEXT) | instid1(VALU_DEP_2)
	v_add_nc_u64_e32 v[0:1], s[18:19], v[0:1]
	v_cmp_ne_u32_e64 s0, 1, v10
	s_delay_alu instid0(VALU_DEP_4) | instskip(NEXT) | instid1(VALU_DEP_1)
	v_lshl_add_u64 v[4:5], v[12:13], 1, v[4:5]
	v_add_nc_u64_e32 v[4:5], s[12:13], v[4:5]
	s_lshl_b64 s[12:13], s[16:17], 1
	v_lshl_add_u64 v[8:9], v[14:15], 2, s[4:5]
	s_lshl_b64 s[4:5], s[6:7], 4
	s_lshl_b64 s[6:7], s[26:27], 1
	s_branch .LBB455_3
.LBB455_2:                              ;   in Loop: Header=BB455_3 Depth=1
	s_add_co_i32 s2, s2, 0x10000
	s_delay_alu instid0(SALU_CYCLE_1)
	s_cmp_lt_i32 s2, s31
	s_cbranch_scc0 .LBB455_10
.LBB455_3:                              ; =>This Loop Header: Depth=1
                                        ;     Child Loop BB455_5 Depth 2
	s_wait_xcnt 0x0
	v_dual_mov_b32 v13, 0 :: v_dual_mov_b32 v12, 0
	v_dual_mov_b32 v11, 0 :: v_dual_mov_b32 v10, 0
	s_and_b32 vcc_lo, exec_lo, s0
	s_cbranch_vccnz .LBB455_6
; %bb.4:                                ;   in Loop: Header=BB455_3 Depth=1
	v_mad_nc_u64_u32 v[14:15], s6, s2, v[0:1]
	v_mad_nc_u64_u32 v[16:17], s12, s2, v[4:5]
	v_mov_b32_e32 v10, 0
	s_mov_b64 s[16:17], 0
	s_delay_alu instid0(VALU_DEP_1)
	v_dual_mov_b32 v11, v10 :: v_dual_mov_b32 v12, v10
	v_mov_b32_e32 v13, v10
	v_mad_u32 v15, s7, s2, v15
	v_mad_u32 v17, s13, s2, v17
.LBB455_5:                              ;   Parent Loop BB455_3 Depth=1
                                        ; =>  This Inner Loop Header: Depth=2
	global_load_u16 v22, v[16:17], off
	global_load_u16 v23, v[14:15], off
	s_add_nc_u64 s[16:17], s[16:17], 8
	s_wait_xcnt 0x0
	v_add_nc_u64_e32 v[14:15], 16, v[14:15]
	v_cmp_lt_i64_e64 s18, s[16:17], s[28:29]
	v_add_nc_u64_e32 v[16:17], 16, v[16:17]
	s_and_b32 vcc_lo, exec_lo, s18
	s_wait_loadcnt 0x0
	v_dual_lshlrev_b32 v22, 16, v22 :: v_dual_lshlrev_b32 v23, 16, v23
	ds_store_b32 v20, v22
	ds_store_b32 v21, v23
	s_wait_dscnt 0x0
	s_barrier_signal -1
	s_barrier_wait -1
	ds_load_2addr_b32 v[38:39], v19 offset1:16
	ds_load_2addr_b32 v[40:41], v19 offset0:32 offset1:48
	ds_load_b128 v[22:25], v18
	ds_load_2addr_b32 v[42:43], v19 offset0:64 offset1:80
	ds_load_b128 v[26:29], v18 offset:512
	ds_load_2addr_b32 v[44:45], v19 offset0:96 offset1:112
	ds_load_b128 v[30:33], v18 offset:16
	;; [unrolled: 2-line block ×3, first 2 shown]
	ds_load_2addr_b32 v[48:49], v19 offset0:160 offset1:176
	ds_load_2addr_b32 v[50:51], v19 offset0:192 offset1:208
	;; [unrolled: 1-line block ×3, first 2 shown]
	s_wait_dscnt 0x0
	s_barrier_signal -1
	s_barrier_wait -1
	v_dual_mov_b32 v54, v39 :: v_dual_mov_b32 v55, v38
	v_dual_mov_b32 v38, v41 :: v_dual_mov_b32 v39, v40
	;; [unrolled: 1-line block ×3, first 2 shown]
	s_delay_alu instid0(VALU_DEP_3) | instskip(SKIP_3) | instid1(VALU_DEP_4)
	v_pk_fma_f32 v[12:13], v[54:55], v[22:23], v[12:13] op_sel_hi:[1,0,1]
	v_pk_fma_f32 v[10:11], v[54:55], v[26:27], v[10:11] op_sel_hi:[1,0,1]
	v_dual_mov_b32 v42, v45 :: v_dual_mov_b32 v43, v44
	v_mov_b32_e32 v44, v25
	v_pk_fma_f32 v[12:13], v[38:39], v[22:23], v[12:13] op_sel:[0,1,0]
	s_delay_alu instid0(VALU_DEP_4) | instskip(SKIP_2) | instid1(VALU_DEP_4)
	v_pk_fma_f32 v[10:11], v[38:39], v[26:27], v[10:11] op_sel:[0,1,0]
	v_dual_mov_b32 v22, v29 :: v_dual_mov_b32 v26, v53
	v_mov_b32_e32 v27, v52
	v_pk_fma_f32 v[12:13], v[40:41], v[24:25], v[12:13] op_sel_hi:[1,0,1]
	s_delay_alu instid0(VALU_DEP_4) | instskip(SKIP_2) | instid1(VALU_DEP_4)
	v_pk_fma_f32 v[10:11], v[40:41], v[28:29], v[10:11] op_sel_hi:[1,0,1]
	v_dual_mov_b32 v24, v47 :: v_dual_mov_b32 v25, v46
	v_mov_b32_e32 v28, v37
	v_pk_fma_f32 v[12:13], v[42:43], v[44:45], v[12:13] op_sel_hi:[1,0,1]
	s_delay_alu instid0(VALU_DEP_4) | instskip(SKIP_1) | instid1(VALU_DEP_3)
	v_pk_fma_f32 v[10:11], v[42:43], v[22:23], v[10:11] op_sel_hi:[1,0,1]
	v_dual_mov_b32 v22, v49 :: v_dual_mov_b32 v23, v48
	v_pk_fma_f32 v[12:13], v[24:25], v[30:31], v[12:13] op_sel_hi:[1,0,1]
	s_delay_alu instid0(VALU_DEP_3) | instskip(SKIP_1) | instid1(VALU_DEP_3)
	v_pk_fma_f32 v[10:11], v[24:25], v[34:35], v[10:11] op_sel_hi:[1,0,1]
	v_dual_mov_b32 v24, v51 :: v_dual_mov_b32 v25, v50
	v_pk_fma_f32 v[12:13], v[22:23], v[30:31], v[12:13] op_sel:[0,1,0]
	s_delay_alu instid0(VALU_DEP_3) | instskip(SKIP_1) | instid1(VALU_DEP_3)
	v_pk_fma_f32 v[10:11], v[22:23], v[34:35], v[10:11] op_sel:[0,1,0]
	v_mov_b32_e32 v22, v33
	v_pk_fma_f32 v[12:13], v[24:25], v[32:33], v[12:13] op_sel_hi:[1,0,1]
	s_delay_alu instid0(VALU_DEP_3) | instskip(NEXT) | instid1(VALU_DEP_2)
	v_pk_fma_f32 v[10:11], v[24:25], v[36:37], v[10:11] op_sel_hi:[1,0,1]
	v_pk_fma_f32 v[12:13], v[26:27], v[22:23], v[12:13] op_sel_hi:[1,0,1]
	s_delay_alu instid0(VALU_DEP_2)
	v_pk_fma_f32 v[10:11], v[26:27], v[28:29], v[10:11] op_sel_hi:[1,0,1]
	s_cbranch_vccnz .LBB455_5
.LBB455_6:                              ;   in Loop: Header=BB455_3 Depth=1
	s_mul_u64 s[16:17], s[22:23], s[2:3]
	s_and_not1_b32 vcc_lo, exec_lo, s1
	s_lshl_b64 s[16:17], s[16:17], 2
	s_delay_alu instid0(SALU_CYCLE_1) | instskip(NEXT) | instid1(SALU_CYCLE_1)
	s_add_nc_u64 s[16:17], s[10:11], s[16:17]
	v_lshl_add_u64 v[14:15], v[2:3], 2, s[16:17]
	s_delay_alu instid0(VALU_DEP_1)
	v_add_nc_u64_e32 v[16:17], v[14:15], v[6:7]
	v_lshl_add_u64 v[14:15], s[14:15], 2, v[14:15]
	s_cbranch_vccnz .LBB455_8
; %bb.7:                                ;   in Loop: Header=BB455_3 Depth=1
	s_delay_alu instid0(VALU_DEP_1)
	v_add_nc_u64_e32 v[22:23], v[14:15], v[6:7]
	v_dual_mul_f32 v24, s30, v13 :: v_dual_mul_f32 v25, s30, v12
	v_dual_mul_f32 v26, s30, v11 :: v_dual_mul_f32 v27, s30, v10
	s_clause 0x3
	global_store_b32 v[16:17], v24, off
	global_store_b32 v[16:17], v25, off offset:64
	global_store_b32 v[22:23], v26, off
	global_store_b32 v[22:23], v27, off offset:64
	s_cbranch_execnz .LBB455_2
	s_branch .LBB455_9
.LBB455_8:                              ;   in Loop: Header=BB455_3 Depth=1
.LBB455_9:                              ;   in Loop: Header=BB455_3 Depth=1
	s_mul_u64 s[16:17], s[8:9], s[2:3]
	s_wait_xcnt 0x0
	v_lshl_add_u64 v[22:23], s[16:17], 2, v[8:9]
	s_delay_alu instid0(VALU_DEP_1) | instskip(SKIP_1) | instid1(VALU_DEP_1)
	v_add_nc_u64_e32 v[24:25], v[22:23], v[6:7]
	v_lshl_add_u64 v[22:23], s[4:5], 2, v[22:23]
	v_add_nc_u64_e32 v[22:23], v[22:23], v[6:7]
	global_load_b32 v26, v[24:25], off
	s_wait_loadcnt 0x0
	v_mul_f32_e32 v26, s33, v26
	s_delay_alu instid0(VALU_DEP_1) | instskip(SKIP_4) | instid1(VALU_DEP_1)
	v_fmac_f32_e32 v26, s30, v13
	global_store_b32 v[16:17], v26, off
	global_load_b32 v13, v[24:25], off offset:64
	s_wait_loadcnt 0x0
	v_mul_f32_e32 v13, s33, v13
	v_fmac_f32_e32 v13, s30, v12
	global_store_b32 v[16:17], v13, off offset:64
	global_load_b32 v12, v[22:23], off
	s_wait_loadcnt 0x0
	s_wait_xcnt 0x1
	v_mul_f32_e32 v16, s33, v12
	v_add_nc_u64_e32 v[12:13], v[14:15], v[6:7]
	s_delay_alu instid0(VALU_DEP_2) | instskip(SKIP_4) | instid1(VALU_DEP_1)
	v_fmac_f32_e32 v16, s30, v11
	global_store_b32 v[12:13], v16, off
	global_load_b32 v11, v[22:23], off offset:64
	s_wait_loadcnt 0x0
	v_mul_f32_e32 v11, s33, v11
	v_fmac_f32_e32 v11, s30, v10
	global_store_b32 v[12:13], v11, off offset:64
	s_branch .LBB455_2
.LBB455_10:
	s_endpgm
	.section	.rodata,"a",@progbits
	.p2align	6, 0x0
	.amdhsa_kernel _ZN12_GLOBAL__N_127rocblas_gemm_batched_kernelIfLi16ELi16ELi32ELi32ELi8ELi32ELi8ELi8ELi32ELc84ELc78EK16rocblas_bfloat16KffEEvlllT_PT11_llS6_llS4_PT12_llPT13_lli
		.amdhsa_group_segment_fixed_size 2048
		.amdhsa_private_segment_fixed_size 0
		.amdhsa_kernarg_size 140
		.amdhsa_user_sgpr_count 2
		.amdhsa_user_sgpr_dispatch_ptr 0
		.amdhsa_user_sgpr_queue_ptr 0
		.amdhsa_user_sgpr_kernarg_segment_ptr 1
		.amdhsa_user_sgpr_dispatch_id 0
		.amdhsa_user_sgpr_kernarg_preload_length 0
		.amdhsa_user_sgpr_kernarg_preload_offset 0
		.amdhsa_user_sgpr_private_segment_size 0
		.amdhsa_wavefront_size32 1
		.amdhsa_uses_dynamic_stack 0
		.amdhsa_enable_private_segment 0
		.amdhsa_system_sgpr_workgroup_id_x 1
		.amdhsa_system_sgpr_workgroup_id_y 1
		.amdhsa_system_sgpr_workgroup_id_z 1
		.amdhsa_system_sgpr_workgroup_info 0
		.amdhsa_system_vgpr_workitem_id 1
		.amdhsa_next_free_vgpr 56
		.amdhsa_next_free_sgpr 38
		.amdhsa_named_barrier_count 0
		.amdhsa_reserve_vcc 1
		.amdhsa_float_round_mode_32 0
		.amdhsa_float_round_mode_16_64 0
		.amdhsa_float_denorm_mode_32 3
		.amdhsa_float_denorm_mode_16_64 3
		.amdhsa_fp16_overflow 0
		.amdhsa_memory_ordered 1
		.amdhsa_forward_progress 1
		.amdhsa_inst_pref_size 11
		.amdhsa_round_robin_scheduling 0
		.amdhsa_exception_fp_ieee_invalid_op 0
		.amdhsa_exception_fp_denorm_src 0
		.amdhsa_exception_fp_ieee_div_zero 0
		.amdhsa_exception_fp_ieee_overflow 0
		.amdhsa_exception_fp_ieee_underflow 0
		.amdhsa_exception_fp_ieee_inexact 0
		.amdhsa_exception_int_div_zero 0
	.end_amdhsa_kernel
	.section	.text._ZN12_GLOBAL__N_127rocblas_gemm_batched_kernelIfLi16ELi16ELi32ELi32ELi8ELi32ELi8ELi8ELi32ELc84ELc78EK16rocblas_bfloat16KffEEvlllT_PT11_llS6_llS4_PT12_llPT13_lli,"axG",@progbits,_ZN12_GLOBAL__N_127rocblas_gemm_batched_kernelIfLi16ELi16ELi32ELi32ELi8ELi32ELi8ELi8ELi32ELc84ELc78EK16rocblas_bfloat16KffEEvlllT_PT11_llS6_llS4_PT12_llPT13_lli,comdat
.Lfunc_end455:
	.size	_ZN12_GLOBAL__N_127rocblas_gemm_batched_kernelIfLi16ELi16ELi32ELi32ELi8ELi32ELi8ELi8ELi32ELc84ELc78EK16rocblas_bfloat16KffEEvlllT_PT11_llS6_llS4_PT12_llPT13_lli, .Lfunc_end455-_ZN12_GLOBAL__N_127rocblas_gemm_batched_kernelIfLi16ELi16ELi32ELi32ELi8ELi32ELi8ELi8ELi32ELc84ELc78EK16rocblas_bfloat16KffEEvlllT_PT11_llS6_llS4_PT12_llPT13_lli
                                        ; -- End function
	.set _ZN12_GLOBAL__N_127rocblas_gemm_batched_kernelIfLi16ELi16ELi32ELi32ELi8ELi32ELi8ELi8ELi32ELc84ELc78EK16rocblas_bfloat16KffEEvlllT_PT11_llS6_llS4_PT12_llPT13_lli.num_vgpr, 56
	.set _ZN12_GLOBAL__N_127rocblas_gemm_batched_kernelIfLi16ELi16ELi32ELi32ELi8ELi32ELi8ELi8ELi32ELc84ELc78EK16rocblas_bfloat16KffEEvlllT_PT11_llS6_llS4_PT12_llPT13_lli.num_agpr, 0
	.set _ZN12_GLOBAL__N_127rocblas_gemm_batched_kernelIfLi16ELi16ELi32ELi32ELi8ELi32ELi8ELi8ELi32ELc84ELc78EK16rocblas_bfloat16KffEEvlllT_PT11_llS6_llS4_PT12_llPT13_lli.numbered_sgpr, 38
	.set _ZN12_GLOBAL__N_127rocblas_gemm_batched_kernelIfLi16ELi16ELi32ELi32ELi8ELi32ELi8ELi8ELi32ELc84ELc78EK16rocblas_bfloat16KffEEvlllT_PT11_llS6_llS4_PT12_llPT13_lli.num_named_barrier, 0
	.set _ZN12_GLOBAL__N_127rocblas_gemm_batched_kernelIfLi16ELi16ELi32ELi32ELi8ELi32ELi8ELi8ELi32ELc84ELc78EK16rocblas_bfloat16KffEEvlllT_PT11_llS6_llS4_PT12_llPT13_lli.private_seg_size, 0
	.set _ZN12_GLOBAL__N_127rocblas_gemm_batched_kernelIfLi16ELi16ELi32ELi32ELi8ELi32ELi8ELi8ELi32ELc84ELc78EK16rocblas_bfloat16KffEEvlllT_PT11_llS6_llS4_PT12_llPT13_lli.uses_vcc, 1
	.set _ZN12_GLOBAL__N_127rocblas_gemm_batched_kernelIfLi16ELi16ELi32ELi32ELi8ELi32ELi8ELi8ELi32ELc84ELc78EK16rocblas_bfloat16KffEEvlllT_PT11_llS6_llS4_PT12_llPT13_lli.uses_flat_scratch, 0
	.set _ZN12_GLOBAL__N_127rocblas_gemm_batched_kernelIfLi16ELi16ELi32ELi32ELi8ELi32ELi8ELi8ELi32ELc84ELc78EK16rocblas_bfloat16KffEEvlllT_PT11_llS6_llS4_PT12_llPT13_lli.has_dyn_sized_stack, 0
	.set _ZN12_GLOBAL__N_127rocblas_gemm_batched_kernelIfLi16ELi16ELi32ELi32ELi8ELi32ELi8ELi8ELi32ELc84ELc78EK16rocblas_bfloat16KffEEvlllT_PT11_llS6_llS4_PT12_llPT13_lli.has_recursion, 0
	.set _ZN12_GLOBAL__N_127rocblas_gemm_batched_kernelIfLi16ELi16ELi32ELi32ELi8ELi32ELi8ELi8ELi32ELc84ELc78EK16rocblas_bfloat16KffEEvlllT_PT11_llS6_llS4_PT12_llPT13_lli.has_indirect_call, 0
	.section	.AMDGPU.csdata,"",@progbits
; Kernel info:
; codeLenInByte = 1364
; TotalNumSgprs: 40
; NumVgprs: 56
; ScratchSize: 0
; MemoryBound: 0
; FloatMode: 240
; IeeeMode: 1
; LDSByteSize: 2048 bytes/workgroup (compile time only)
; SGPRBlocks: 0
; VGPRBlocks: 3
; NumSGPRsForWavesPerEU: 40
; NumVGPRsForWavesPerEU: 56
; NamedBarCnt: 0
; Occupancy: 16
; WaveLimiterHint : 0
; COMPUTE_PGM_RSRC2:SCRATCH_EN: 0
; COMPUTE_PGM_RSRC2:USER_SGPR: 2
; COMPUTE_PGM_RSRC2:TRAP_HANDLER: 0
; COMPUTE_PGM_RSRC2:TGID_X_EN: 1
; COMPUTE_PGM_RSRC2:TGID_Y_EN: 1
; COMPUTE_PGM_RSRC2:TGID_Z_EN: 1
; COMPUTE_PGM_RSRC2:TIDIG_COMP_CNT: 1
	.section	.text._ZN12_GLOBAL__N_127rocblas_gemm_batched_kernelIfLi16ELi16ELi32ELi32ELi8ELi32ELi8ELi8ELi32ELc78ELc84EK16rocblas_bfloat16KffEEvlllT_PT11_llS6_llS4_PT12_llPT13_lli,"axG",@progbits,_ZN12_GLOBAL__N_127rocblas_gemm_batched_kernelIfLi16ELi16ELi32ELi32ELi8ELi32ELi8ELi8ELi32ELc78ELc84EK16rocblas_bfloat16KffEEvlllT_PT11_llS6_llS4_PT12_llPT13_lli,comdat
	.globl	_ZN12_GLOBAL__N_127rocblas_gemm_batched_kernelIfLi16ELi16ELi32ELi32ELi8ELi32ELi8ELi8ELi32ELc78ELc84EK16rocblas_bfloat16KffEEvlllT_PT11_llS6_llS4_PT12_llPT13_lli ; -- Begin function _ZN12_GLOBAL__N_127rocblas_gemm_batched_kernelIfLi16ELi16ELi32ELi32ELi8ELi32ELi8ELi8ELi32ELc78ELc84EK16rocblas_bfloat16KffEEvlllT_PT11_llS6_llS4_PT12_llPT13_lli
	.p2align	8
	.type	_ZN12_GLOBAL__N_127rocblas_gemm_batched_kernelIfLi16ELi16ELi32ELi32ELi8ELi32ELi8ELi8ELi32ELc78ELc84EK16rocblas_bfloat16KffEEvlllT_PT11_llS6_llS4_PT12_llPT13_lli,@function
_ZN12_GLOBAL__N_127rocblas_gemm_batched_kernelIfLi16ELi16ELi32ELi32ELi8ELi32ELi8ELi8ELi32ELc78ELc84EK16rocblas_bfloat16KffEEvlllT_PT11_llS6_llS4_PT12_llPT13_lli: ; @_ZN12_GLOBAL__N_127rocblas_gemm_batched_kernelIfLi16ELi16ELi32ELi32ELi8ELi32ELi8ELi8ELi32ELc78ELc84EK16rocblas_bfloat16KffEEvlllT_PT11_llS6_llS4_PT12_llPT13_lli
; %bb.0:
	s_load_b32 s31, s[0:1], 0x88
	s_bfe_u32 s2, ttmp6, 0x40014
	s_lshr_b32 s3, ttmp7, 16
	s_add_co_i32 s2, s2, 1
	s_bfe_u32 s4, ttmp6, 0x40008
	s_mul_i32 s2, s3, s2
	s_getreg_b32 s20, hwreg(HW_REG_IB_STS2, 6, 4)
	s_add_co_i32 s4, s4, s2
	s_cmp_eq_u32 s20, 0
	s_cselect_b32 s2, s3, s4
	s_mov_b32 s3, 0
	s_wait_kmcnt 0x0
	s_cmp_ge_i32 s2, s31
	s_cbranch_scc1 .LBB456_10
; %bb.1:
	s_bfe_u32 s21, ttmp6, 0x4000c
	s_bfe_u32 s23, ttmp6, 0x40010
	s_clause 0x2
	s_load_b256 s[12:19], s[0:1], 0x20
	s_load_b128 s[24:27], s[0:1], 0x40
	s_load_b256 s[4:11], s[0:1], 0x58
	s_add_co_i32 s21, s21, 1
	s_and_b32 s28, ttmp7, 0xffff
	s_add_co_i32 s23, s23, 1
	s_and_b32 s22, ttmp6, 15
	s_mul_i32 s21, ttmp9, s21
	s_mul_i32 s23, s28, s23
	s_bfe_u32 s29, ttmp6, 0x40004
	s_add_co_i32 s22, s22, s21
	s_add_co_i32 s29, s29, s23
	s_cmp_eq_u32 s20, 0
	v_bfe_u32 v2, v0, 10, 10
	v_dual_mov_b32 v3, 0 :: v_dual_bitop2_b32 v17, 7, v0 bitop3:0x40
	s_cselect_b32 s20, s28, s29
	s_cselect_b32 s28, ttmp9, s22
	s_lshl_b32 s34, s20, 5
	s_load_b128 s[20:23], s[0:1], 0x78
	s_mov_b32 s35, s3
	v_and_b32_e32 v4, 0x3ff, v0
	v_add_nc_u64_e32 v[6:7], s[34:35], v[2:3]
	v_mov_b32_e32 v9, v3
	s_ashr_i32 s29, s28, 31
	s_load_b32 s33, s[0:1], 0x50
	v_lshl_add_u32 v1, v2, 4, v4
	s_lshl_b64 s[36:37], s[28:29], 5
	s_load_b96 s[28:30], s[0:1], 0x10
	s_wait_kmcnt 0x0
	v_mul_u64_e32 v[10:11], s[6:7], v[6:7]
	v_dual_lshlrev_b32 v20, 2, v4 :: v_dual_lshrrev_b32 v8, 3, v1
	v_dual_lshrrev_b32 v18, 5, v1 :: v_dual_bitop2_b32 v16, 31, v1 bitop3:0x40
	v_mov_b32_e32 v5, v3
	v_lshl_add_u32 v21, v2, 5, 0x400
	s_delay_alu instid0(VALU_DEP_4) | instskip(NEXT) | instid1(VALU_DEP_4)
	v_mad_nc_u64_u32 v[12:13], s24, v17, v[8:9]
	v_mad_nc_u64_u32 v[14:15], s14, v18, s[36:37]
	v_mul_u64_e32 v[0:1], s[20:21], v[6:7]
	v_dual_lshlrev_b32 v6, 2, v17 :: v_dual_lshlrev_b32 v7, 2, v16
	s_delay_alu instid0(VALU_DEP_1)
	v_lshl_or_b32 v6, v8, 5, v6
	s_cmp_eq_f32 s33, 0
	v_mad_u32 v13, s25, v17, v13
	v_mad_u32 v15, s15, v18, v15
	v_mov_b32_e32 v17, v3
	v_cmp_gt_i64_e64 s0, s[28:29], 0
	v_lshl_or_b32 v18, v18, 7, v7
	v_add_nc_u32_e32 v19, 0x400, v6
	v_add_nc_u64_e32 v[6:7], s[36:37], v[4:5]
	s_cselect_b32 s1, -1, 0
	s_lshl_b64 s[20:21], s[20:21], 4
	s_lshl_b64 s[6:7], s[6:7], 4
	;; [unrolled: 1-line block ×3, first 2 shown]
	v_add_nc_u64_e32 v[4:5], s[34:35], v[12:13]
	v_add_nc_u64_e32 v[8:9], v[14:15], v[16:17]
	v_lshlrev_b64_e32 v[6:7], 2, v[6:7]
	v_lshl_add_u64 v[2:3], v[10:11], 2, s[4:5]
	v_cndmask_b32_e64 v10, 0, 1, s0
	s_lshl_b64 s[4:5], s[26:27], 1
	s_lshl_b64 s[14:15], s[14:15], 4
	v_lshl_add_u64 v[4:5], v[4:5], 1, s[18:19]
	v_lshl_add_u64 v[8:9], v[8:9], 1, s[12:13]
	v_cmp_ne_u32_e64 s0, 1, v10
	s_lshl_b64 s[12:13], s[24:25], 4
	s_branch .LBB456_3
.LBB456_2:                              ;   in Loop: Header=BB456_3 Depth=1
	s_add_co_i32 s2, s2, 0x10000
	s_delay_alu instid0(SALU_CYCLE_1)
	s_cmp_lt_i32 s2, s31
	s_cbranch_scc0 .LBB456_10
.LBB456_3:                              ; =>This Loop Header: Depth=1
                                        ;     Child Loop BB456_5 Depth 2
	s_wait_xcnt 0x0
	v_dual_mov_b32 v13, 0 :: v_dual_mov_b32 v12, 0
	v_dual_mov_b32 v11, 0 :: v_dual_mov_b32 v10, 0
	s_and_b32 vcc_lo, exec_lo, s0
	s_cbranch_vccnz .LBB456_6
; %bb.4:                                ;   in Loop: Header=BB456_3 Depth=1
	v_mad_nc_u64_u32 v[14:15], s4, s2, v[4:5]
	v_mad_nc_u64_u32 v[16:17], s16, s2, v[8:9]
	v_mov_b32_e32 v10, 0
	s_mov_b64 s[18:19], 0
	s_delay_alu instid0(VALU_DEP_1)
	v_dual_mov_b32 v11, v10 :: v_dual_mov_b32 v12, v10
	v_mov_b32_e32 v13, v10
	v_mad_u32 v15, s5, s2, v15
	v_mad_u32 v17, s17, s2, v17
.LBB456_5:                              ;   Parent Loop BB456_3 Depth=1
                                        ; =>  This Inner Loop Header: Depth=2
	global_load_u16 v22, v[16:17], off
	global_load_u16 v23, v[14:15], off
	s_add_nc_u64 s[18:19], s[18:19], 8
	s_wait_xcnt 0x0
	v_add_nc_u64_e32 v[14:15], s[12:13], v[14:15]
	v_cmp_lt_i64_e64 s24, s[18:19], s[28:29]
	v_add_nc_u64_e32 v[16:17], s[14:15], v[16:17]
	s_and_b32 vcc_lo, exec_lo, s24
	s_wait_loadcnt 0x0
	v_dual_lshlrev_b32 v22, 16, v22 :: v_dual_lshlrev_b32 v23, 16, v23
	ds_store_b32 v18, v22
	ds_store_b32 v19, v23
	s_wait_dscnt 0x0
	s_barrier_signal -1
	s_barrier_wait -1
	ds_load_2addr_b32 v[38:39], v20 offset1:16
	ds_load_2addr_b32 v[40:41], v20 offset0:32 offset1:48
	ds_load_b128 v[22:25], v21
	ds_load_2addr_b32 v[42:43], v20 offset0:64 offset1:80
	ds_load_b128 v[26:29], v21 offset:512
	ds_load_2addr_b32 v[44:45], v20 offset0:96 offset1:112
	ds_load_b128 v[30:33], v21 offset:16
	ds_load_2addr_b32 v[46:47], v20 offset0:128 offset1:144
	ds_load_b128 v[34:37], v21 offset:528
	ds_load_2addr_b32 v[48:49], v20 offset0:160 offset1:176
	ds_load_2addr_b32 v[50:51], v20 offset0:192 offset1:208
	ds_load_2addr_b32 v[52:53], v20 offset0:224 offset1:240
	s_wait_dscnt 0x0
	s_barrier_signal -1
	s_barrier_wait -1
	v_dual_mov_b32 v54, v39 :: v_dual_mov_b32 v55, v38
	v_dual_mov_b32 v38, v41 :: v_dual_mov_b32 v39, v40
	;; [unrolled: 1-line block ×3, first 2 shown]
	s_delay_alu instid0(VALU_DEP_3) | instskip(SKIP_3) | instid1(VALU_DEP_4)
	v_pk_fma_f32 v[12:13], v[54:55], v[22:23], v[12:13] op_sel_hi:[1,0,1]
	v_pk_fma_f32 v[10:11], v[54:55], v[26:27], v[10:11] op_sel_hi:[1,0,1]
	v_dual_mov_b32 v42, v45 :: v_dual_mov_b32 v43, v44
	v_mov_b32_e32 v44, v25
	v_pk_fma_f32 v[12:13], v[38:39], v[22:23], v[12:13] op_sel:[0,1,0]
	s_delay_alu instid0(VALU_DEP_4) | instskip(SKIP_2) | instid1(VALU_DEP_4)
	v_pk_fma_f32 v[10:11], v[38:39], v[26:27], v[10:11] op_sel:[0,1,0]
	v_dual_mov_b32 v22, v29 :: v_dual_mov_b32 v26, v53
	v_mov_b32_e32 v27, v52
	v_pk_fma_f32 v[12:13], v[40:41], v[24:25], v[12:13] op_sel_hi:[1,0,1]
	s_delay_alu instid0(VALU_DEP_4) | instskip(SKIP_2) | instid1(VALU_DEP_4)
	v_pk_fma_f32 v[10:11], v[40:41], v[28:29], v[10:11] op_sel_hi:[1,0,1]
	v_dual_mov_b32 v24, v47 :: v_dual_mov_b32 v25, v46
	v_mov_b32_e32 v28, v37
	v_pk_fma_f32 v[12:13], v[42:43], v[44:45], v[12:13] op_sel_hi:[1,0,1]
	s_delay_alu instid0(VALU_DEP_4) | instskip(SKIP_1) | instid1(VALU_DEP_3)
	v_pk_fma_f32 v[10:11], v[42:43], v[22:23], v[10:11] op_sel_hi:[1,0,1]
	v_dual_mov_b32 v22, v49 :: v_dual_mov_b32 v23, v48
	v_pk_fma_f32 v[12:13], v[24:25], v[30:31], v[12:13] op_sel_hi:[1,0,1]
	s_delay_alu instid0(VALU_DEP_3) | instskip(SKIP_1) | instid1(VALU_DEP_3)
	v_pk_fma_f32 v[10:11], v[24:25], v[34:35], v[10:11] op_sel_hi:[1,0,1]
	v_dual_mov_b32 v24, v51 :: v_dual_mov_b32 v25, v50
	v_pk_fma_f32 v[12:13], v[22:23], v[30:31], v[12:13] op_sel:[0,1,0]
	s_delay_alu instid0(VALU_DEP_3) | instskip(SKIP_1) | instid1(VALU_DEP_3)
	v_pk_fma_f32 v[10:11], v[22:23], v[34:35], v[10:11] op_sel:[0,1,0]
	v_mov_b32_e32 v22, v33
	v_pk_fma_f32 v[12:13], v[24:25], v[32:33], v[12:13] op_sel_hi:[1,0,1]
	s_delay_alu instid0(VALU_DEP_3) | instskip(NEXT) | instid1(VALU_DEP_2)
	v_pk_fma_f32 v[10:11], v[24:25], v[36:37], v[10:11] op_sel_hi:[1,0,1]
	v_pk_fma_f32 v[12:13], v[26:27], v[22:23], v[12:13] op_sel_hi:[1,0,1]
	s_delay_alu instid0(VALU_DEP_2)
	v_pk_fma_f32 v[10:11], v[26:27], v[28:29], v[10:11] op_sel_hi:[1,0,1]
	s_cbranch_vccnz .LBB456_5
.LBB456_6:                              ;   in Loop: Header=BB456_3 Depth=1
	s_mul_u64 s[18:19], s[22:23], s[2:3]
	s_and_not1_b32 vcc_lo, exec_lo, s1
	s_lshl_b64 s[18:19], s[18:19], 2
	s_delay_alu instid0(SALU_CYCLE_1) | instskip(NEXT) | instid1(SALU_CYCLE_1)
	s_add_nc_u64 s[18:19], s[10:11], s[18:19]
	v_lshl_add_u64 v[14:15], v[0:1], 2, s[18:19]
	s_delay_alu instid0(VALU_DEP_1)
	v_add_nc_u64_e32 v[16:17], v[14:15], v[6:7]
	v_lshl_add_u64 v[14:15], s[20:21], 2, v[14:15]
	s_cbranch_vccnz .LBB456_8
; %bb.7:                                ;   in Loop: Header=BB456_3 Depth=1
	s_delay_alu instid0(VALU_DEP_1)
	v_add_nc_u64_e32 v[22:23], v[14:15], v[6:7]
	v_dual_mul_f32 v24, s30, v13 :: v_dual_mul_f32 v25, s30, v12
	v_dual_mul_f32 v26, s30, v11 :: v_dual_mul_f32 v27, s30, v10
	s_clause 0x3
	global_store_b32 v[16:17], v24, off
	global_store_b32 v[16:17], v25, off offset:64
	global_store_b32 v[22:23], v26, off
	global_store_b32 v[22:23], v27, off offset:64
	s_cbranch_execnz .LBB456_2
	s_branch .LBB456_9
.LBB456_8:                              ;   in Loop: Header=BB456_3 Depth=1
.LBB456_9:                              ;   in Loop: Header=BB456_3 Depth=1
	s_mul_u64 s[18:19], s[8:9], s[2:3]
	s_wait_xcnt 0x0
	v_lshl_add_u64 v[22:23], s[18:19], 2, v[2:3]
	s_delay_alu instid0(VALU_DEP_1) | instskip(SKIP_1) | instid1(VALU_DEP_1)
	v_add_nc_u64_e32 v[24:25], v[22:23], v[6:7]
	v_lshl_add_u64 v[22:23], s[6:7], 2, v[22:23]
	v_add_nc_u64_e32 v[22:23], v[22:23], v[6:7]
	global_load_b32 v26, v[24:25], off
	s_wait_loadcnt 0x0
	v_mul_f32_e32 v26, s33, v26
	s_delay_alu instid0(VALU_DEP_1) | instskip(SKIP_4) | instid1(VALU_DEP_1)
	v_fmac_f32_e32 v26, s30, v13
	global_store_b32 v[16:17], v26, off
	global_load_b32 v13, v[24:25], off offset:64
	s_wait_loadcnt 0x0
	v_mul_f32_e32 v13, s33, v13
	v_fmac_f32_e32 v13, s30, v12
	global_store_b32 v[16:17], v13, off offset:64
	global_load_b32 v12, v[22:23], off
	s_wait_loadcnt 0x0
	s_wait_xcnt 0x1
	v_mul_f32_e32 v16, s33, v12
	v_add_nc_u64_e32 v[12:13], v[14:15], v[6:7]
	s_delay_alu instid0(VALU_DEP_2) | instskip(SKIP_4) | instid1(VALU_DEP_1)
	v_fmac_f32_e32 v16, s30, v11
	global_store_b32 v[12:13], v16, off
	global_load_b32 v11, v[22:23], off offset:64
	s_wait_loadcnt 0x0
	v_mul_f32_e32 v11, s33, v11
	v_fmac_f32_e32 v11, s30, v10
	global_store_b32 v[12:13], v11, off offset:64
	s_branch .LBB456_2
.LBB456_10:
	s_endpgm
	.section	.rodata,"a",@progbits
	.p2align	6, 0x0
	.amdhsa_kernel _ZN12_GLOBAL__N_127rocblas_gemm_batched_kernelIfLi16ELi16ELi32ELi32ELi8ELi32ELi8ELi8ELi32ELc78ELc84EK16rocblas_bfloat16KffEEvlllT_PT11_llS6_llS4_PT12_llPT13_lli
		.amdhsa_group_segment_fixed_size 2048
		.amdhsa_private_segment_fixed_size 0
		.amdhsa_kernarg_size 140
		.amdhsa_user_sgpr_count 2
		.amdhsa_user_sgpr_dispatch_ptr 0
		.amdhsa_user_sgpr_queue_ptr 0
		.amdhsa_user_sgpr_kernarg_segment_ptr 1
		.amdhsa_user_sgpr_dispatch_id 0
		.amdhsa_user_sgpr_kernarg_preload_length 0
		.amdhsa_user_sgpr_kernarg_preload_offset 0
		.amdhsa_user_sgpr_private_segment_size 0
		.amdhsa_wavefront_size32 1
		.amdhsa_uses_dynamic_stack 0
		.amdhsa_enable_private_segment 0
		.amdhsa_system_sgpr_workgroup_id_x 1
		.amdhsa_system_sgpr_workgroup_id_y 1
		.amdhsa_system_sgpr_workgroup_id_z 1
		.amdhsa_system_sgpr_workgroup_info 0
		.amdhsa_system_vgpr_workitem_id 1
		.amdhsa_next_free_vgpr 56
		.amdhsa_next_free_sgpr 38
		.amdhsa_named_barrier_count 0
		.amdhsa_reserve_vcc 1
		.amdhsa_float_round_mode_32 0
		.amdhsa_float_round_mode_16_64 0
		.amdhsa_float_denorm_mode_32 3
		.amdhsa_float_denorm_mode_16_64 3
		.amdhsa_fp16_overflow 0
		.amdhsa_memory_ordered 1
		.amdhsa_forward_progress 1
		.amdhsa_inst_pref_size 11
		.amdhsa_round_robin_scheduling 0
		.amdhsa_exception_fp_ieee_invalid_op 0
		.amdhsa_exception_fp_denorm_src 0
		.amdhsa_exception_fp_ieee_div_zero 0
		.amdhsa_exception_fp_ieee_overflow 0
		.amdhsa_exception_fp_ieee_underflow 0
		.amdhsa_exception_fp_ieee_inexact 0
		.amdhsa_exception_int_div_zero 0
	.end_amdhsa_kernel
	.section	.text._ZN12_GLOBAL__N_127rocblas_gemm_batched_kernelIfLi16ELi16ELi32ELi32ELi8ELi32ELi8ELi8ELi32ELc78ELc84EK16rocblas_bfloat16KffEEvlllT_PT11_llS6_llS4_PT12_llPT13_lli,"axG",@progbits,_ZN12_GLOBAL__N_127rocblas_gemm_batched_kernelIfLi16ELi16ELi32ELi32ELi8ELi32ELi8ELi8ELi32ELc78ELc84EK16rocblas_bfloat16KffEEvlllT_PT11_llS6_llS4_PT12_llPT13_lli,comdat
.Lfunc_end456:
	.size	_ZN12_GLOBAL__N_127rocblas_gemm_batched_kernelIfLi16ELi16ELi32ELi32ELi8ELi32ELi8ELi8ELi32ELc78ELc84EK16rocblas_bfloat16KffEEvlllT_PT11_llS6_llS4_PT12_llPT13_lli, .Lfunc_end456-_ZN12_GLOBAL__N_127rocblas_gemm_batched_kernelIfLi16ELi16ELi32ELi32ELi8ELi32ELi8ELi8ELi32ELc78ELc84EK16rocblas_bfloat16KffEEvlllT_PT11_llS6_llS4_PT12_llPT13_lli
                                        ; -- End function
	.set _ZN12_GLOBAL__N_127rocblas_gemm_batched_kernelIfLi16ELi16ELi32ELi32ELi8ELi32ELi8ELi8ELi32ELc78ELc84EK16rocblas_bfloat16KffEEvlllT_PT11_llS6_llS4_PT12_llPT13_lli.num_vgpr, 56
	.set _ZN12_GLOBAL__N_127rocblas_gemm_batched_kernelIfLi16ELi16ELi32ELi32ELi8ELi32ELi8ELi8ELi32ELc78ELc84EK16rocblas_bfloat16KffEEvlllT_PT11_llS6_llS4_PT12_llPT13_lli.num_agpr, 0
	.set _ZN12_GLOBAL__N_127rocblas_gemm_batched_kernelIfLi16ELi16ELi32ELi32ELi8ELi32ELi8ELi8ELi32ELc78ELc84EK16rocblas_bfloat16KffEEvlllT_PT11_llS6_llS4_PT12_llPT13_lli.numbered_sgpr, 38
	.set _ZN12_GLOBAL__N_127rocblas_gemm_batched_kernelIfLi16ELi16ELi32ELi32ELi8ELi32ELi8ELi8ELi32ELc78ELc84EK16rocblas_bfloat16KffEEvlllT_PT11_llS6_llS4_PT12_llPT13_lli.num_named_barrier, 0
	.set _ZN12_GLOBAL__N_127rocblas_gemm_batched_kernelIfLi16ELi16ELi32ELi32ELi8ELi32ELi8ELi8ELi32ELc78ELc84EK16rocblas_bfloat16KffEEvlllT_PT11_llS6_llS4_PT12_llPT13_lli.private_seg_size, 0
	.set _ZN12_GLOBAL__N_127rocblas_gemm_batched_kernelIfLi16ELi16ELi32ELi32ELi8ELi32ELi8ELi8ELi32ELc78ELc84EK16rocblas_bfloat16KffEEvlllT_PT11_llS6_llS4_PT12_llPT13_lli.uses_vcc, 1
	.set _ZN12_GLOBAL__N_127rocblas_gemm_batched_kernelIfLi16ELi16ELi32ELi32ELi8ELi32ELi8ELi8ELi32ELc78ELc84EK16rocblas_bfloat16KffEEvlllT_PT11_llS6_llS4_PT12_llPT13_lli.uses_flat_scratch, 0
	.set _ZN12_GLOBAL__N_127rocblas_gemm_batched_kernelIfLi16ELi16ELi32ELi32ELi8ELi32ELi8ELi8ELi32ELc78ELc84EK16rocblas_bfloat16KffEEvlllT_PT11_llS6_llS4_PT12_llPT13_lli.has_dyn_sized_stack, 0
	.set _ZN12_GLOBAL__N_127rocblas_gemm_batched_kernelIfLi16ELi16ELi32ELi32ELi8ELi32ELi8ELi8ELi32ELc78ELc84EK16rocblas_bfloat16KffEEvlllT_PT11_llS6_llS4_PT12_llPT13_lli.has_recursion, 0
	.set _ZN12_GLOBAL__N_127rocblas_gemm_batched_kernelIfLi16ELi16ELi32ELi32ELi8ELi32ELi8ELi8ELi32ELc78ELc84EK16rocblas_bfloat16KffEEvlllT_PT11_llS6_llS4_PT12_llPT13_lli.has_indirect_call, 0
	.section	.AMDGPU.csdata,"",@progbits
; Kernel info:
; codeLenInByte = 1376
; TotalNumSgprs: 40
; NumVgprs: 56
; ScratchSize: 0
; MemoryBound: 0
; FloatMode: 240
; IeeeMode: 1
; LDSByteSize: 2048 bytes/workgroup (compile time only)
; SGPRBlocks: 0
; VGPRBlocks: 3
; NumSGPRsForWavesPerEU: 40
; NumVGPRsForWavesPerEU: 56
; NamedBarCnt: 0
; Occupancy: 16
; WaveLimiterHint : 0
; COMPUTE_PGM_RSRC2:SCRATCH_EN: 0
; COMPUTE_PGM_RSRC2:USER_SGPR: 2
; COMPUTE_PGM_RSRC2:TRAP_HANDLER: 0
; COMPUTE_PGM_RSRC2:TGID_X_EN: 1
; COMPUTE_PGM_RSRC2:TGID_Y_EN: 1
; COMPUTE_PGM_RSRC2:TGID_Z_EN: 1
; COMPUTE_PGM_RSRC2:TIDIG_COMP_CNT: 1
	.section	.text._ZN12_GLOBAL__N_127rocblas_gemm_batched_kernelIfLi16ELi16ELi32ELi32ELi8ELi32ELi8ELi8ELi32ELc84ELc84EK16rocblas_bfloat16KffEEvlllT_PT11_llS6_llS4_PT12_llPT13_lli,"axG",@progbits,_ZN12_GLOBAL__N_127rocblas_gemm_batched_kernelIfLi16ELi16ELi32ELi32ELi8ELi32ELi8ELi8ELi32ELc84ELc84EK16rocblas_bfloat16KffEEvlllT_PT11_llS6_llS4_PT12_llPT13_lli,comdat
	.globl	_ZN12_GLOBAL__N_127rocblas_gemm_batched_kernelIfLi16ELi16ELi32ELi32ELi8ELi32ELi8ELi8ELi32ELc84ELc84EK16rocblas_bfloat16KffEEvlllT_PT11_llS6_llS4_PT12_llPT13_lli ; -- Begin function _ZN12_GLOBAL__N_127rocblas_gemm_batched_kernelIfLi16ELi16ELi32ELi32ELi8ELi32ELi8ELi8ELi32ELc84ELc84EK16rocblas_bfloat16KffEEvlllT_PT11_llS6_llS4_PT12_llPT13_lli
	.p2align	8
	.type	_ZN12_GLOBAL__N_127rocblas_gemm_batched_kernelIfLi16ELi16ELi32ELi32ELi8ELi32ELi8ELi8ELi32ELc84ELc84EK16rocblas_bfloat16KffEEvlllT_PT11_llS6_llS4_PT12_llPT13_lli,@function
_ZN12_GLOBAL__N_127rocblas_gemm_batched_kernelIfLi16ELi16ELi32ELi32ELi8ELi32ELi8ELi8ELi32ELc84ELc84EK16rocblas_bfloat16KffEEvlllT_PT11_llS6_llS4_PT12_llPT13_lli: ; @_ZN12_GLOBAL__N_127rocblas_gemm_batched_kernelIfLi16ELi16ELi32ELi32ELi8ELi32ELi8ELi8ELi32ELc84ELc84EK16rocblas_bfloat16KffEEvlllT_PT11_llS6_llS4_PT12_llPT13_lli
; %bb.0:
	s_load_b32 s31, s[0:1], 0x88
	s_bfe_u32 s2, ttmp6, 0x40014
	s_lshr_b32 s3, ttmp7, 16
	s_add_co_i32 s2, s2, 1
	s_bfe_u32 s4, ttmp6, 0x40008
	s_mul_i32 s2, s3, s2
	s_getreg_b32 s28, hwreg(HW_REG_IB_STS2, 6, 4)
	s_add_co_i32 s4, s4, s2
	s_cmp_eq_u32 s28, 0
	s_cselect_b32 s2, s3, s4
	s_mov_b32 s3, 0
	s_wait_kmcnt 0x0
	s_cmp_ge_i32 s2, s31
	s_cbranch_scc1 .LBB457_10
; %bb.1:
	v_bfe_u32 v2, v0, 10, 10
	v_and_b32_e32 v4, 0x3ff, v0
	s_bfe_u32 s29, ttmp6, 0x4000c
	s_bfe_u32 s33, ttmp6, 0x40010
	s_add_co_i32 s29, s29, 1
	s_and_b32 s34, ttmp7, 0xffff
	s_add_co_i32 s33, s33, 1
	s_clause 0x3
	s_load_b256 s[12:19], s[0:1], 0x20
	s_load_b128 s[24:27], s[0:1], 0x40
	s_load_b128 s[20:23], s[0:1], 0x78
	s_load_b256 s[4:11], s[0:1], 0x58
	s_and_b32 s30, ttmp6, 15
	s_mul_i32 s29, ttmp9, s29
	s_mul_i32 s33, s34, s33
	s_bfe_u32 s35, ttmp6, 0x40004
	v_lshl_add_u32 v5, v2, 4, v4
	s_add_co_i32 s30, s30, s29
	s_add_co_i32 s35, s35, s33
	s_cmp_eq_u32 s28, 0
	s_delay_alu instid0(VALU_DEP_1)
	v_dual_mov_b32 v3, 0 :: v_dual_bitop2_b32 v16, 31, v5 bitop3:0x40
	s_cselect_b32 s28, ttmp9, s30
	s_cselect_b32 s30, s34, s35
	s_ashr_i32 s29, s28, 31
	s_lshl_b32 s36, s30, 5
	s_lshl_b64 s[34:35], s[28:29], 5
	s_mov_b32 s37, s3
	v_dual_mov_b32 v7, s35 :: v_dual_bitop2_b32 v6, s34, v16 bitop3:0x54
	v_add_nc_u64_e32 v[8:9], s[36:37], v[2:3]
	v_dual_lshrrev_b32 v10, 3, v5 :: v_dual_bitop2_b32 v17, 7, v0 bitop3:0x40
	v_mov_b32_e32 v11, v3
	s_wait_kmcnt 0x0
	v_mul_u64_e32 v[6:7], s[14:15], v[6:7]
	s_clause 0x1
	s_load_b32 s33, s[0:1], 0x50
	s_load_b96 s[28:30], s[0:1], 0x10
	v_mul_u64_e32 v[12:13], s[6:7], v[8:9]
	v_mul_u64_e32 v[0:1], s[20:21], v[8:9]
	v_lshrrev_b32_e32 v8, 5, v5
	v_mad_nc_u64_u32 v[14:15], s24, v17, v[10:11]
	v_dual_lshlrev_b32 v11, 2, v17 :: v_dual_lshlrev_b32 v9, 2, v16
	v_dual_mov_b32 v5, v3 :: v_dual_lshlrev_b32 v20, 2, v4
	v_lshl_add_u32 v21, v2, 5, 0x400
	s_delay_alu instid0(VALU_DEP_3)
	v_lshl_or_b32 v10, v10, 5, v11
	v_lshlrev_b32_e32 v2, 1, v8
	v_lshl_or_b32 v18, v8, 7, v9
	v_add_nc_u64_e32 v[8:9], s[34:35], v[4:5]
	v_mad_u32 v15, s25, v17, v15
	v_add_nc_u32_e32 v19, 0x400, v10
	s_wait_kmcnt 0x0
	s_cmp_eq_f32 s33, 0
	v_cmp_gt_i64_e64 s0, s[28:29], 0
	s_cselect_b32 s1, -1, 0
	s_lshl_b64 s[14:15], s[20:21], 4
	s_lshl_b64 s[6:7], s[6:7], 4
	v_add_nc_u64_e32 v[10:11], s[36:37], v[14:15]
	v_cndmask_b32_e64 v14, 0, 1, s0
	s_lshl_b64 s[16:17], s[16:17], 1
	v_lshl_add_u64 v[4:5], v[6:7], 1, v[2:3]
	v_lshlrev_b64_e32 v[6:7], 2, v[8:9]
	s_delay_alu instid0(VALU_DEP_3)
	v_cmp_ne_u32_e64 s0, 1, v14
	v_lshl_add_u64 v[2:3], v[12:13], 2, s[4:5]
	v_lshl_add_u64 v[8:9], v[10:11], 1, s[18:19]
	v_add_nc_u64_e32 v[4:5], s[12:13], v[4:5]
	s_lshl_b64 s[4:5], s[26:27], 1
	s_lshl_b64 s[12:13], s[24:25], 4
	s_branch .LBB457_3
.LBB457_2:                              ;   in Loop: Header=BB457_3 Depth=1
	s_add_co_i32 s2, s2, 0x10000
	s_delay_alu instid0(SALU_CYCLE_1)
	s_cmp_lt_i32 s2, s31
	s_cbranch_scc0 .LBB457_10
.LBB457_3:                              ; =>This Loop Header: Depth=1
                                        ;     Child Loop BB457_5 Depth 2
	s_wait_xcnt 0x0
	v_dual_mov_b32 v13, 0 :: v_dual_mov_b32 v12, 0
	v_dual_mov_b32 v11, 0 :: v_dual_mov_b32 v10, 0
	s_and_b32 vcc_lo, exec_lo, s0
	s_cbranch_vccnz .LBB457_6
; %bb.4:                                ;   in Loop: Header=BB457_3 Depth=1
	v_mad_nc_u64_u32 v[14:15], s4, s2, v[8:9]
	v_mad_nc_u64_u32 v[16:17], s16, s2, v[4:5]
	v_mov_b32_e32 v10, 0
	s_mov_b64 s[18:19], 0
	s_delay_alu instid0(VALU_DEP_1)
	v_dual_mov_b32 v11, v10 :: v_dual_mov_b32 v12, v10
	v_mov_b32_e32 v13, v10
	v_mad_u32 v15, s5, s2, v15
	v_mad_u32 v17, s17, s2, v17
.LBB457_5:                              ;   Parent Loop BB457_3 Depth=1
                                        ; =>  This Inner Loop Header: Depth=2
	global_load_u16 v22, v[16:17], off
	global_load_u16 v23, v[14:15], off
	s_add_nc_u64 s[18:19], s[18:19], 8
	s_wait_xcnt 0x0
	v_add_nc_u64_e32 v[14:15], s[12:13], v[14:15]
	v_cmp_lt_i64_e64 s20, s[18:19], s[28:29]
	v_add_nc_u64_e32 v[16:17], 16, v[16:17]
	s_and_b32 vcc_lo, exec_lo, s20
	s_wait_loadcnt 0x0
	v_dual_lshlrev_b32 v22, 16, v22 :: v_dual_lshlrev_b32 v23, 16, v23
	ds_store_b32 v18, v22
	ds_store_b32 v19, v23
	s_wait_dscnt 0x0
	s_barrier_signal -1
	s_barrier_wait -1
	ds_load_2addr_b32 v[38:39], v20 offset1:16
	ds_load_2addr_b32 v[40:41], v20 offset0:32 offset1:48
	ds_load_b128 v[22:25], v21
	ds_load_2addr_b32 v[42:43], v20 offset0:64 offset1:80
	ds_load_b128 v[26:29], v21 offset:512
	ds_load_2addr_b32 v[44:45], v20 offset0:96 offset1:112
	ds_load_b128 v[30:33], v21 offset:16
	;; [unrolled: 2-line block ×3, first 2 shown]
	ds_load_2addr_b32 v[48:49], v20 offset0:160 offset1:176
	ds_load_2addr_b32 v[50:51], v20 offset0:192 offset1:208
	;; [unrolled: 1-line block ×3, first 2 shown]
	s_wait_dscnt 0x0
	s_barrier_signal -1
	s_barrier_wait -1
	v_dual_mov_b32 v54, v39 :: v_dual_mov_b32 v55, v38
	v_dual_mov_b32 v38, v41 :: v_dual_mov_b32 v39, v40
	;; [unrolled: 1-line block ×3, first 2 shown]
	s_delay_alu instid0(VALU_DEP_3) | instskip(SKIP_3) | instid1(VALU_DEP_4)
	v_pk_fma_f32 v[12:13], v[54:55], v[22:23], v[12:13] op_sel_hi:[1,0,1]
	v_pk_fma_f32 v[10:11], v[54:55], v[26:27], v[10:11] op_sel_hi:[1,0,1]
	v_dual_mov_b32 v42, v45 :: v_dual_mov_b32 v43, v44
	v_mov_b32_e32 v44, v25
	v_pk_fma_f32 v[12:13], v[38:39], v[22:23], v[12:13] op_sel:[0,1,0]
	s_delay_alu instid0(VALU_DEP_4) | instskip(SKIP_2) | instid1(VALU_DEP_4)
	v_pk_fma_f32 v[10:11], v[38:39], v[26:27], v[10:11] op_sel:[0,1,0]
	v_dual_mov_b32 v22, v29 :: v_dual_mov_b32 v26, v53
	v_mov_b32_e32 v27, v52
	v_pk_fma_f32 v[12:13], v[40:41], v[24:25], v[12:13] op_sel_hi:[1,0,1]
	s_delay_alu instid0(VALU_DEP_4) | instskip(SKIP_2) | instid1(VALU_DEP_4)
	v_pk_fma_f32 v[10:11], v[40:41], v[28:29], v[10:11] op_sel_hi:[1,0,1]
	v_dual_mov_b32 v24, v47 :: v_dual_mov_b32 v25, v46
	v_mov_b32_e32 v28, v37
	v_pk_fma_f32 v[12:13], v[42:43], v[44:45], v[12:13] op_sel_hi:[1,0,1]
	s_delay_alu instid0(VALU_DEP_4) | instskip(SKIP_1) | instid1(VALU_DEP_3)
	v_pk_fma_f32 v[10:11], v[42:43], v[22:23], v[10:11] op_sel_hi:[1,0,1]
	v_dual_mov_b32 v22, v49 :: v_dual_mov_b32 v23, v48
	v_pk_fma_f32 v[12:13], v[24:25], v[30:31], v[12:13] op_sel_hi:[1,0,1]
	s_delay_alu instid0(VALU_DEP_3) | instskip(SKIP_1) | instid1(VALU_DEP_3)
	v_pk_fma_f32 v[10:11], v[24:25], v[34:35], v[10:11] op_sel_hi:[1,0,1]
	v_dual_mov_b32 v24, v51 :: v_dual_mov_b32 v25, v50
	v_pk_fma_f32 v[12:13], v[22:23], v[30:31], v[12:13] op_sel:[0,1,0]
	s_delay_alu instid0(VALU_DEP_3) | instskip(SKIP_1) | instid1(VALU_DEP_3)
	v_pk_fma_f32 v[10:11], v[22:23], v[34:35], v[10:11] op_sel:[0,1,0]
	v_mov_b32_e32 v22, v33
	v_pk_fma_f32 v[12:13], v[24:25], v[32:33], v[12:13] op_sel_hi:[1,0,1]
	s_delay_alu instid0(VALU_DEP_3) | instskip(NEXT) | instid1(VALU_DEP_2)
	v_pk_fma_f32 v[10:11], v[24:25], v[36:37], v[10:11] op_sel_hi:[1,0,1]
	v_pk_fma_f32 v[12:13], v[26:27], v[22:23], v[12:13] op_sel_hi:[1,0,1]
	s_delay_alu instid0(VALU_DEP_2)
	v_pk_fma_f32 v[10:11], v[26:27], v[28:29], v[10:11] op_sel_hi:[1,0,1]
	s_cbranch_vccnz .LBB457_5
.LBB457_6:                              ;   in Loop: Header=BB457_3 Depth=1
	s_mul_u64 s[18:19], s[22:23], s[2:3]
	s_and_not1_b32 vcc_lo, exec_lo, s1
	s_lshl_b64 s[18:19], s[18:19], 2
	s_delay_alu instid0(SALU_CYCLE_1) | instskip(NEXT) | instid1(SALU_CYCLE_1)
	s_add_nc_u64 s[18:19], s[10:11], s[18:19]
	v_lshl_add_u64 v[14:15], v[0:1], 2, s[18:19]
	s_delay_alu instid0(VALU_DEP_1)
	v_add_nc_u64_e32 v[16:17], v[14:15], v[6:7]
	v_lshl_add_u64 v[14:15], s[14:15], 2, v[14:15]
	s_cbranch_vccnz .LBB457_8
; %bb.7:                                ;   in Loop: Header=BB457_3 Depth=1
	s_delay_alu instid0(VALU_DEP_1)
	v_add_nc_u64_e32 v[22:23], v[14:15], v[6:7]
	v_dual_mul_f32 v24, s30, v13 :: v_dual_mul_f32 v25, s30, v12
	v_dual_mul_f32 v26, s30, v11 :: v_dual_mul_f32 v27, s30, v10
	s_clause 0x3
	global_store_b32 v[16:17], v24, off
	global_store_b32 v[16:17], v25, off offset:64
	global_store_b32 v[22:23], v26, off
	global_store_b32 v[22:23], v27, off offset:64
	s_cbranch_execnz .LBB457_2
	s_branch .LBB457_9
.LBB457_8:                              ;   in Loop: Header=BB457_3 Depth=1
.LBB457_9:                              ;   in Loop: Header=BB457_3 Depth=1
	s_mul_u64 s[18:19], s[8:9], s[2:3]
	s_wait_xcnt 0x0
	v_lshl_add_u64 v[22:23], s[18:19], 2, v[2:3]
	s_delay_alu instid0(VALU_DEP_1) | instskip(SKIP_1) | instid1(VALU_DEP_1)
	v_add_nc_u64_e32 v[24:25], v[22:23], v[6:7]
	v_lshl_add_u64 v[22:23], s[6:7], 2, v[22:23]
	v_add_nc_u64_e32 v[22:23], v[22:23], v[6:7]
	global_load_b32 v26, v[24:25], off
	s_wait_loadcnt 0x0
	v_mul_f32_e32 v26, s33, v26
	s_delay_alu instid0(VALU_DEP_1) | instskip(SKIP_4) | instid1(VALU_DEP_1)
	v_fmac_f32_e32 v26, s30, v13
	global_store_b32 v[16:17], v26, off
	global_load_b32 v13, v[24:25], off offset:64
	s_wait_loadcnt 0x0
	v_mul_f32_e32 v13, s33, v13
	v_fmac_f32_e32 v13, s30, v12
	global_store_b32 v[16:17], v13, off offset:64
	global_load_b32 v12, v[22:23], off
	s_wait_loadcnt 0x0
	s_wait_xcnt 0x1
	v_mul_f32_e32 v16, s33, v12
	v_add_nc_u64_e32 v[12:13], v[14:15], v[6:7]
	s_delay_alu instid0(VALU_DEP_2) | instskip(SKIP_4) | instid1(VALU_DEP_1)
	v_fmac_f32_e32 v16, s30, v11
	global_store_b32 v[12:13], v16, off
	global_load_b32 v11, v[22:23], off offset:64
	s_wait_loadcnt 0x0
	v_mul_f32_e32 v11, s33, v11
	v_fmac_f32_e32 v11, s30, v10
	global_store_b32 v[12:13], v11, off offset:64
	s_branch .LBB457_2
.LBB457_10:
	s_endpgm
	.section	.rodata,"a",@progbits
	.p2align	6, 0x0
	.amdhsa_kernel _ZN12_GLOBAL__N_127rocblas_gemm_batched_kernelIfLi16ELi16ELi32ELi32ELi8ELi32ELi8ELi8ELi32ELc84ELc84EK16rocblas_bfloat16KffEEvlllT_PT11_llS6_llS4_PT12_llPT13_lli
		.amdhsa_group_segment_fixed_size 2048
		.amdhsa_private_segment_fixed_size 0
		.amdhsa_kernarg_size 140
		.amdhsa_user_sgpr_count 2
		.amdhsa_user_sgpr_dispatch_ptr 0
		.amdhsa_user_sgpr_queue_ptr 0
		.amdhsa_user_sgpr_kernarg_segment_ptr 1
		.amdhsa_user_sgpr_dispatch_id 0
		.amdhsa_user_sgpr_kernarg_preload_length 0
		.amdhsa_user_sgpr_kernarg_preload_offset 0
		.amdhsa_user_sgpr_private_segment_size 0
		.amdhsa_wavefront_size32 1
		.amdhsa_uses_dynamic_stack 0
		.amdhsa_enable_private_segment 0
		.amdhsa_system_sgpr_workgroup_id_x 1
		.amdhsa_system_sgpr_workgroup_id_y 1
		.amdhsa_system_sgpr_workgroup_id_z 1
		.amdhsa_system_sgpr_workgroup_info 0
		.amdhsa_system_vgpr_workitem_id 1
		.amdhsa_next_free_vgpr 56
		.amdhsa_next_free_sgpr 38
		.amdhsa_named_barrier_count 0
		.amdhsa_reserve_vcc 1
		.amdhsa_float_round_mode_32 0
		.amdhsa_float_round_mode_16_64 0
		.amdhsa_float_denorm_mode_32 3
		.amdhsa_float_denorm_mode_16_64 3
		.amdhsa_fp16_overflow 0
		.amdhsa_memory_ordered 1
		.amdhsa_forward_progress 1
		.amdhsa_inst_pref_size 11
		.amdhsa_round_robin_scheduling 0
		.amdhsa_exception_fp_ieee_invalid_op 0
		.amdhsa_exception_fp_denorm_src 0
		.amdhsa_exception_fp_ieee_div_zero 0
		.amdhsa_exception_fp_ieee_overflow 0
		.amdhsa_exception_fp_ieee_underflow 0
		.amdhsa_exception_fp_ieee_inexact 0
		.amdhsa_exception_int_div_zero 0
	.end_amdhsa_kernel
	.section	.text._ZN12_GLOBAL__N_127rocblas_gemm_batched_kernelIfLi16ELi16ELi32ELi32ELi8ELi32ELi8ELi8ELi32ELc84ELc84EK16rocblas_bfloat16KffEEvlllT_PT11_llS6_llS4_PT12_llPT13_lli,"axG",@progbits,_ZN12_GLOBAL__N_127rocblas_gemm_batched_kernelIfLi16ELi16ELi32ELi32ELi8ELi32ELi8ELi8ELi32ELc84ELc84EK16rocblas_bfloat16KffEEvlllT_PT11_llS6_llS4_PT12_llPT13_lli,comdat
.Lfunc_end457:
	.size	_ZN12_GLOBAL__N_127rocblas_gemm_batched_kernelIfLi16ELi16ELi32ELi32ELi8ELi32ELi8ELi8ELi32ELc84ELc84EK16rocblas_bfloat16KffEEvlllT_PT11_llS6_llS4_PT12_llPT13_lli, .Lfunc_end457-_ZN12_GLOBAL__N_127rocblas_gemm_batched_kernelIfLi16ELi16ELi32ELi32ELi8ELi32ELi8ELi8ELi32ELc84ELc84EK16rocblas_bfloat16KffEEvlllT_PT11_llS6_llS4_PT12_llPT13_lli
                                        ; -- End function
	.set _ZN12_GLOBAL__N_127rocblas_gemm_batched_kernelIfLi16ELi16ELi32ELi32ELi8ELi32ELi8ELi8ELi32ELc84ELc84EK16rocblas_bfloat16KffEEvlllT_PT11_llS6_llS4_PT12_llPT13_lli.num_vgpr, 56
	.set _ZN12_GLOBAL__N_127rocblas_gemm_batched_kernelIfLi16ELi16ELi32ELi32ELi8ELi32ELi8ELi8ELi32ELc84ELc84EK16rocblas_bfloat16KffEEvlllT_PT11_llS6_llS4_PT12_llPT13_lli.num_agpr, 0
	.set _ZN12_GLOBAL__N_127rocblas_gemm_batched_kernelIfLi16ELi16ELi32ELi32ELi8ELi32ELi8ELi8ELi32ELc84ELc84EK16rocblas_bfloat16KffEEvlllT_PT11_llS6_llS4_PT12_llPT13_lli.numbered_sgpr, 38
	.set _ZN12_GLOBAL__N_127rocblas_gemm_batched_kernelIfLi16ELi16ELi32ELi32ELi8ELi32ELi8ELi8ELi32ELc84ELc84EK16rocblas_bfloat16KffEEvlllT_PT11_llS6_llS4_PT12_llPT13_lli.num_named_barrier, 0
	.set _ZN12_GLOBAL__N_127rocblas_gemm_batched_kernelIfLi16ELi16ELi32ELi32ELi8ELi32ELi8ELi8ELi32ELc84ELc84EK16rocblas_bfloat16KffEEvlllT_PT11_llS6_llS4_PT12_llPT13_lli.private_seg_size, 0
	.set _ZN12_GLOBAL__N_127rocblas_gemm_batched_kernelIfLi16ELi16ELi32ELi32ELi8ELi32ELi8ELi8ELi32ELc84ELc84EK16rocblas_bfloat16KffEEvlllT_PT11_llS6_llS4_PT12_llPT13_lli.uses_vcc, 1
	.set _ZN12_GLOBAL__N_127rocblas_gemm_batched_kernelIfLi16ELi16ELi32ELi32ELi8ELi32ELi8ELi8ELi32ELc84ELc84EK16rocblas_bfloat16KffEEvlllT_PT11_llS6_llS4_PT12_llPT13_lli.uses_flat_scratch, 0
	.set _ZN12_GLOBAL__N_127rocblas_gemm_batched_kernelIfLi16ELi16ELi32ELi32ELi8ELi32ELi8ELi8ELi32ELc84ELc84EK16rocblas_bfloat16KffEEvlllT_PT11_llS6_llS4_PT12_llPT13_lli.has_dyn_sized_stack, 0
	.set _ZN12_GLOBAL__N_127rocblas_gemm_batched_kernelIfLi16ELi16ELi32ELi32ELi8ELi32ELi8ELi8ELi32ELc84ELc84EK16rocblas_bfloat16KffEEvlllT_PT11_llS6_llS4_PT12_llPT13_lli.has_recursion, 0
	.set _ZN12_GLOBAL__N_127rocblas_gemm_batched_kernelIfLi16ELi16ELi32ELi32ELi8ELi32ELi8ELi8ELi32ELc84ELc84EK16rocblas_bfloat16KffEEvlllT_PT11_llS6_llS4_PT12_llPT13_lli.has_indirect_call, 0
	.section	.AMDGPU.csdata,"",@progbits
; Kernel info:
; codeLenInByte = 1380
; TotalNumSgprs: 40
; NumVgprs: 56
; ScratchSize: 0
; MemoryBound: 0
; FloatMode: 240
; IeeeMode: 1
; LDSByteSize: 2048 bytes/workgroup (compile time only)
; SGPRBlocks: 0
; VGPRBlocks: 3
; NumSGPRsForWavesPerEU: 40
; NumVGPRsForWavesPerEU: 56
; NamedBarCnt: 0
; Occupancy: 16
; WaveLimiterHint : 0
; COMPUTE_PGM_RSRC2:SCRATCH_EN: 0
; COMPUTE_PGM_RSRC2:USER_SGPR: 2
; COMPUTE_PGM_RSRC2:TRAP_HANDLER: 0
; COMPUTE_PGM_RSRC2:TGID_X_EN: 1
; COMPUTE_PGM_RSRC2:TGID_Y_EN: 1
; COMPUTE_PGM_RSRC2:TGID_Z_EN: 1
; COMPUTE_PGM_RSRC2:TIDIG_COMP_CNT: 1
	.section	.text._ZN12_GLOBAL__N_127rocblas_gemm_batched_kernelIfLi16ELi16ELi32ELi32ELi8ELi32ELi8ELi8ELi32ELc67ELc67EK16rocblas_bfloat16KffEEvlllT_PT11_llS6_llS4_PT12_llPT13_lli,"axG",@progbits,_ZN12_GLOBAL__N_127rocblas_gemm_batched_kernelIfLi16ELi16ELi32ELi32ELi8ELi32ELi8ELi8ELi32ELc67ELc67EK16rocblas_bfloat16KffEEvlllT_PT11_llS6_llS4_PT12_llPT13_lli,comdat
	.globl	_ZN12_GLOBAL__N_127rocblas_gemm_batched_kernelIfLi16ELi16ELi32ELi32ELi8ELi32ELi8ELi8ELi32ELc67ELc67EK16rocblas_bfloat16KffEEvlllT_PT11_llS6_llS4_PT12_llPT13_lli ; -- Begin function _ZN12_GLOBAL__N_127rocblas_gemm_batched_kernelIfLi16ELi16ELi32ELi32ELi8ELi32ELi8ELi8ELi32ELc67ELc67EK16rocblas_bfloat16KffEEvlllT_PT11_llS6_llS4_PT12_llPT13_lli
	.p2align	8
	.type	_ZN12_GLOBAL__N_127rocblas_gemm_batched_kernelIfLi16ELi16ELi32ELi32ELi8ELi32ELi8ELi8ELi32ELc67ELc67EK16rocblas_bfloat16KffEEvlllT_PT11_llS6_llS4_PT12_llPT13_lli,@function
_ZN12_GLOBAL__N_127rocblas_gemm_batched_kernelIfLi16ELi16ELi32ELi32ELi8ELi32ELi8ELi8ELi32ELc67ELc67EK16rocblas_bfloat16KffEEvlllT_PT11_llS6_llS4_PT12_llPT13_lli: ; @_ZN12_GLOBAL__N_127rocblas_gemm_batched_kernelIfLi16ELi16ELi32ELi32ELi8ELi32ELi8ELi8ELi32ELc67ELc67EK16rocblas_bfloat16KffEEvlllT_PT11_llS6_llS4_PT12_llPT13_lli
; %bb.0:
	s_load_b32 s31, s[0:1], 0x88
	s_bfe_u32 s2, ttmp6, 0x40014
	s_lshr_b32 s3, ttmp7, 16
	s_add_co_i32 s2, s2, 1
	s_bfe_u32 s4, ttmp6, 0x40008
	s_mul_i32 s2, s3, s2
	s_getreg_b32 s28, hwreg(HW_REG_IB_STS2, 6, 4)
	s_add_co_i32 s4, s4, s2
	s_cmp_eq_u32 s28, 0
	s_cselect_b32 s2, s3, s4
	s_mov_b32 s3, 0
	s_wait_kmcnt 0x0
	s_cmp_ge_i32 s2, s31
	s_cbranch_scc1 .LBB458_10
; %bb.1:
	v_bfe_u32 v2, v0, 10, 10
	v_and_b32_e32 v4, 0x3ff, v0
	s_bfe_u32 s29, ttmp6, 0x4000c
	s_bfe_u32 s33, ttmp6, 0x40010
	s_add_co_i32 s29, s29, 1
	s_and_b32 s34, ttmp7, 0xffff
	s_add_co_i32 s33, s33, 1
	s_clause 0x3
	s_load_b256 s[12:19], s[0:1], 0x20
	s_load_b128 s[24:27], s[0:1], 0x40
	s_load_b128 s[20:23], s[0:1], 0x78
	s_load_b256 s[4:11], s[0:1], 0x58
	s_and_b32 s30, ttmp6, 15
	s_mul_i32 s29, ttmp9, s29
	s_mul_i32 s33, s34, s33
	s_bfe_u32 s35, ttmp6, 0x40004
	v_lshl_add_u32 v5, v2, 4, v4
	s_add_co_i32 s30, s30, s29
	s_add_co_i32 s35, s35, s33
	s_cmp_eq_u32 s28, 0
	s_delay_alu instid0(VALU_DEP_1)
	v_dual_mov_b32 v3, 0 :: v_dual_bitop2_b32 v16, 31, v5 bitop3:0x40
	s_cselect_b32 s28, ttmp9, s30
	s_cselect_b32 s30, s34, s35
	s_ashr_i32 s29, s28, 31
	s_lshl_b32 s36, s30, 5
	s_lshl_b64 s[34:35], s[28:29], 5
	s_mov_b32 s37, s3
	v_dual_mov_b32 v7, s35 :: v_dual_bitop2_b32 v6, s34, v16 bitop3:0x54
	v_add_nc_u64_e32 v[8:9], s[36:37], v[2:3]
	v_dual_lshrrev_b32 v10, 3, v5 :: v_dual_bitop2_b32 v17, 7, v0 bitop3:0x40
	v_mov_b32_e32 v11, v3
	s_wait_kmcnt 0x0
	v_mul_u64_e32 v[6:7], s[14:15], v[6:7]
	s_clause 0x1
	s_load_b32 s33, s[0:1], 0x50
	s_load_b96 s[28:30], s[0:1], 0x10
	v_mul_u64_e32 v[12:13], s[6:7], v[8:9]
	v_mul_u64_e32 v[0:1], s[20:21], v[8:9]
	v_lshrrev_b32_e32 v8, 5, v5
	v_mad_nc_u64_u32 v[14:15], s24, v17, v[10:11]
	v_dual_lshlrev_b32 v11, 2, v17 :: v_dual_lshlrev_b32 v9, 2, v16
	v_dual_mov_b32 v5, v3 :: v_dual_lshlrev_b32 v20, 2, v4
	v_lshl_add_u32 v21, v2, 5, 0x400
	s_delay_alu instid0(VALU_DEP_3)
	v_lshl_or_b32 v10, v10, 5, v11
	v_lshlrev_b32_e32 v2, 1, v8
	v_lshl_or_b32 v18, v8, 7, v9
	v_add_nc_u64_e32 v[8:9], s[34:35], v[4:5]
	v_mad_u32 v15, s25, v17, v15
	v_add_nc_u32_e32 v19, 0x400, v10
	s_wait_kmcnt 0x0
	s_cmp_eq_f32 s33, 0
	v_cmp_gt_i64_e64 s0, s[28:29], 0
	s_cselect_b32 s1, -1, 0
	s_lshl_b64 s[14:15], s[20:21], 4
	s_lshl_b64 s[6:7], s[6:7], 4
	v_add_nc_u64_e32 v[10:11], s[36:37], v[14:15]
	v_cndmask_b32_e64 v14, 0, 1, s0
	s_lshl_b64 s[16:17], s[16:17], 1
	v_lshl_add_u64 v[4:5], v[6:7], 1, v[2:3]
	v_lshlrev_b64_e32 v[6:7], 2, v[8:9]
	s_delay_alu instid0(VALU_DEP_3)
	v_cmp_ne_u32_e64 s0, 1, v14
	v_lshl_add_u64 v[2:3], v[12:13], 2, s[4:5]
	v_lshl_add_u64 v[8:9], v[10:11], 1, s[18:19]
	v_add_nc_u64_e32 v[4:5], s[12:13], v[4:5]
	s_lshl_b64 s[4:5], s[26:27], 1
	s_lshl_b64 s[12:13], s[24:25], 4
	s_branch .LBB458_3
.LBB458_2:                              ;   in Loop: Header=BB458_3 Depth=1
	s_add_co_i32 s2, s2, 0x10000
	s_delay_alu instid0(SALU_CYCLE_1)
	s_cmp_lt_i32 s2, s31
	s_cbranch_scc0 .LBB458_10
.LBB458_3:                              ; =>This Loop Header: Depth=1
                                        ;     Child Loop BB458_5 Depth 2
	s_wait_xcnt 0x0
	v_dual_mov_b32 v13, 0 :: v_dual_mov_b32 v12, 0
	v_dual_mov_b32 v11, 0 :: v_dual_mov_b32 v10, 0
	s_and_b32 vcc_lo, exec_lo, s0
	s_cbranch_vccnz .LBB458_6
; %bb.4:                                ;   in Loop: Header=BB458_3 Depth=1
	v_mad_nc_u64_u32 v[14:15], s4, s2, v[8:9]
	v_mad_nc_u64_u32 v[16:17], s16, s2, v[4:5]
	v_mov_b32_e32 v10, 0
	s_mov_b64 s[18:19], 0
	s_delay_alu instid0(VALU_DEP_1)
	v_dual_mov_b32 v11, v10 :: v_dual_mov_b32 v12, v10
	v_mov_b32_e32 v13, v10
	v_mad_u32 v15, s5, s2, v15
	v_mad_u32 v17, s17, s2, v17
.LBB458_5:                              ;   Parent Loop BB458_3 Depth=1
                                        ; =>  This Inner Loop Header: Depth=2
	global_load_u16 v22, v[16:17], off
	global_load_u16 v23, v[14:15], off
	s_add_nc_u64 s[18:19], s[18:19], 8
	s_wait_xcnt 0x0
	v_add_nc_u64_e32 v[14:15], s[12:13], v[14:15]
	v_cmp_lt_i64_e64 s20, s[18:19], s[28:29]
	v_add_nc_u64_e32 v[16:17], 16, v[16:17]
	s_and_b32 vcc_lo, exec_lo, s20
	s_wait_loadcnt 0x0
	v_dual_lshlrev_b32 v22, 16, v22 :: v_dual_lshlrev_b32 v23, 16, v23
	ds_store_b32 v18, v22
	ds_store_b32 v19, v23
	s_wait_dscnt 0x0
	s_barrier_signal -1
	s_barrier_wait -1
	ds_load_2addr_b32 v[38:39], v20 offset1:16
	ds_load_2addr_b32 v[40:41], v20 offset0:32 offset1:48
	ds_load_b128 v[22:25], v21
	ds_load_2addr_b32 v[42:43], v20 offset0:64 offset1:80
	ds_load_b128 v[26:29], v21 offset:512
	ds_load_2addr_b32 v[44:45], v20 offset0:96 offset1:112
	ds_load_b128 v[30:33], v21 offset:16
	;; [unrolled: 2-line block ×3, first 2 shown]
	ds_load_2addr_b32 v[48:49], v20 offset0:160 offset1:176
	ds_load_2addr_b32 v[50:51], v20 offset0:192 offset1:208
	;; [unrolled: 1-line block ×3, first 2 shown]
	s_wait_dscnt 0x0
	s_barrier_signal -1
	s_barrier_wait -1
	v_dual_mov_b32 v54, v39 :: v_dual_mov_b32 v55, v38
	v_dual_mov_b32 v38, v41 :: v_dual_mov_b32 v39, v40
	;; [unrolled: 1-line block ×3, first 2 shown]
	s_delay_alu instid0(VALU_DEP_3) | instskip(SKIP_3) | instid1(VALU_DEP_4)
	v_pk_fma_f32 v[12:13], v[54:55], v[22:23], v[12:13] op_sel_hi:[1,0,1]
	v_pk_fma_f32 v[10:11], v[54:55], v[26:27], v[10:11] op_sel_hi:[1,0,1]
	v_dual_mov_b32 v42, v45 :: v_dual_mov_b32 v43, v44
	v_mov_b32_e32 v44, v25
	v_pk_fma_f32 v[12:13], v[38:39], v[22:23], v[12:13] op_sel:[0,1,0]
	s_delay_alu instid0(VALU_DEP_4) | instskip(SKIP_2) | instid1(VALU_DEP_4)
	v_pk_fma_f32 v[10:11], v[38:39], v[26:27], v[10:11] op_sel:[0,1,0]
	v_dual_mov_b32 v22, v29 :: v_dual_mov_b32 v26, v53
	v_mov_b32_e32 v27, v52
	v_pk_fma_f32 v[12:13], v[40:41], v[24:25], v[12:13] op_sel_hi:[1,0,1]
	s_delay_alu instid0(VALU_DEP_4) | instskip(SKIP_2) | instid1(VALU_DEP_4)
	v_pk_fma_f32 v[10:11], v[40:41], v[28:29], v[10:11] op_sel_hi:[1,0,1]
	v_dual_mov_b32 v24, v47 :: v_dual_mov_b32 v25, v46
	v_mov_b32_e32 v28, v37
	v_pk_fma_f32 v[12:13], v[42:43], v[44:45], v[12:13] op_sel_hi:[1,0,1]
	s_delay_alu instid0(VALU_DEP_4) | instskip(SKIP_1) | instid1(VALU_DEP_3)
	v_pk_fma_f32 v[10:11], v[42:43], v[22:23], v[10:11] op_sel_hi:[1,0,1]
	v_dual_mov_b32 v22, v49 :: v_dual_mov_b32 v23, v48
	v_pk_fma_f32 v[12:13], v[24:25], v[30:31], v[12:13] op_sel_hi:[1,0,1]
	s_delay_alu instid0(VALU_DEP_3) | instskip(SKIP_1) | instid1(VALU_DEP_3)
	v_pk_fma_f32 v[10:11], v[24:25], v[34:35], v[10:11] op_sel_hi:[1,0,1]
	v_dual_mov_b32 v24, v51 :: v_dual_mov_b32 v25, v50
	v_pk_fma_f32 v[12:13], v[22:23], v[30:31], v[12:13] op_sel:[0,1,0]
	s_delay_alu instid0(VALU_DEP_3) | instskip(SKIP_1) | instid1(VALU_DEP_3)
	v_pk_fma_f32 v[10:11], v[22:23], v[34:35], v[10:11] op_sel:[0,1,0]
	v_mov_b32_e32 v22, v33
	v_pk_fma_f32 v[12:13], v[24:25], v[32:33], v[12:13] op_sel_hi:[1,0,1]
	s_delay_alu instid0(VALU_DEP_3) | instskip(NEXT) | instid1(VALU_DEP_2)
	v_pk_fma_f32 v[10:11], v[24:25], v[36:37], v[10:11] op_sel_hi:[1,0,1]
	v_pk_fma_f32 v[12:13], v[26:27], v[22:23], v[12:13] op_sel_hi:[1,0,1]
	s_delay_alu instid0(VALU_DEP_2)
	v_pk_fma_f32 v[10:11], v[26:27], v[28:29], v[10:11] op_sel_hi:[1,0,1]
	s_cbranch_vccnz .LBB458_5
.LBB458_6:                              ;   in Loop: Header=BB458_3 Depth=1
	s_mul_u64 s[18:19], s[22:23], s[2:3]
	s_and_not1_b32 vcc_lo, exec_lo, s1
	s_lshl_b64 s[18:19], s[18:19], 2
	s_delay_alu instid0(SALU_CYCLE_1) | instskip(NEXT) | instid1(SALU_CYCLE_1)
	s_add_nc_u64 s[18:19], s[10:11], s[18:19]
	v_lshl_add_u64 v[14:15], v[0:1], 2, s[18:19]
	s_delay_alu instid0(VALU_DEP_1)
	v_add_nc_u64_e32 v[16:17], v[14:15], v[6:7]
	v_lshl_add_u64 v[14:15], s[14:15], 2, v[14:15]
	s_cbranch_vccnz .LBB458_8
; %bb.7:                                ;   in Loop: Header=BB458_3 Depth=1
	s_delay_alu instid0(VALU_DEP_1)
	v_add_nc_u64_e32 v[22:23], v[14:15], v[6:7]
	v_dual_mul_f32 v24, s30, v13 :: v_dual_mul_f32 v25, s30, v12
	v_dual_mul_f32 v26, s30, v11 :: v_dual_mul_f32 v27, s30, v10
	s_clause 0x3
	global_store_b32 v[16:17], v24, off
	global_store_b32 v[16:17], v25, off offset:64
	global_store_b32 v[22:23], v26, off
	global_store_b32 v[22:23], v27, off offset:64
	s_cbranch_execnz .LBB458_2
	s_branch .LBB458_9
.LBB458_8:                              ;   in Loop: Header=BB458_3 Depth=1
.LBB458_9:                              ;   in Loop: Header=BB458_3 Depth=1
	s_mul_u64 s[18:19], s[8:9], s[2:3]
	s_wait_xcnt 0x0
	v_lshl_add_u64 v[22:23], s[18:19], 2, v[2:3]
	s_delay_alu instid0(VALU_DEP_1) | instskip(SKIP_1) | instid1(VALU_DEP_1)
	v_add_nc_u64_e32 v[24:25], v[22:23], v[6:7]
	v_lshl_add_u64 v[22:23], s[6:7], 2, v[22:23]
	v_add_nc_u64_e32 v[22:23], v[22:23], v[6:7]
	global_load_b32 v26, v[24:25], off
	s_wait_loadcnt 0x0
	v_mul_f32_e32 v26, s33, v26
	s_delay_alu instid0(VALU_DEP_1) | instskip(SKIP_4) | instid1(VALU_DEP_1)
	v_fmac_f32_e32 v26, s30, v13
	global_store_b32 v[16:17], v26, off
	global_load_b32 v13, v[24:25], off offset:64
	s_wait_loadcnt 0x0
	v_mul_f32_e32 v13, s33, v13
	v_fmac_f32_e32 v13, s30, v12
	global_store_b32 v[16:17], v13, off offset:64
	global_load_b32 v12, v[22:23], off
	s_wait_loadcnt 0x0
	s_wait_xcnt 0x1
	v_mul_f32_e32 v16, s33, v12
	v_add_nc_u64_e32 v[12:13], v[14:15], v[6:7]
	s_delay_alu instid0(VALU_DEP_2) | instskip(SKIP_4) | instid1(VALU_DEP_1)
	v_fmac_f32_e32 v16, s30, v11
	global_store_b32 v[12:13], v16, off
	global_load_b32 v11, v[22:23], off offset:64
	s_wait_loadcnt 0x0
	v_mul_f32_e32 v11, s33, v11
	v_fmac_f32_e32 v11, s30, v10
	global_store_b32 v[12:13], v11, off offset:64
	s_branch .LBB458_2
.LBB458_10:
	s_endpgm
	.section	.rodata,"a",@progbits
	.p2align	6, 0x0
	.amdhsa_kernel _ZN12_GLOBAL__N_127rocblas_gemm_batched_kernelIfLi16ELi16ELi32ELi32ELi8ELi32ELi8ELi8ELi32ELc67ELc67EK16rocblas_bfloat16KffEEvlllT_PT11_llS6_llS4_PT12_llPT13_lli
		.amdhsa_group_segment_fixed_size 2048
		.amdhsa_private_segment_fixed_size 0
		.amdhsa_kernarg_size 140
		.amdhsa_user_sgpr_count 2
		.amdhsa_user_sgpr_dispatch_ptr 0
		.amdhsa_user_sgpr_queue_ptr 0
		.amdhsa_user_sgpr_kernarg_segment_ptr 1
		.amdhsa_user_sgpr_dispatch_id 0
		.amdhsa_user_sgpr_kernarg_preload_length 0
		.amdhsa_user_sgpr_kernarg_preload_offset 0
		.amdhsa_user_sgpr_private_segment_size 0
		.amdhsa_wavefront_size32 1
		.amdhsa_uses_dynamic_stack 0
		.amdhsa_enable_private_segment 0
		.amdhsa_system_sgpr_workgroup_id_x 1
		.amdhsa_system_sgpr_workgroup_id_y 1
		.amdhsa_system_sgpr_workgroup_id_z 1
		.amdhsa_system_sgpr_workgroup_info 0
		.amdhsa_system_vgpr_workitem_id 1
		.amdhsa_next_free_vgpr 56
		.amdhsa_next_free_sgpr 38
		.amdhsa_named_barrier_count 0
		.amdhsa_reserve_vcc 1
		.amdhsa_float_round_mode_32 0
		.amdhsa_float_round_mode_16_64 0
		.amdhsa_float_denorm_mode_32 3
		.amdhsa_float_denorm_mode_16_64 3
		.amdhsa_fp16_overflow 0
		.amdhsa_memory_ordered 1
		.amdhsa_forward_progress 1
		.amdhsa_inst_pref_size 11
		.amdhsa_round_robin_scheduling 0
		.amdhsa_exception_fp_ieee_invalid_op 0
		.amdhsa_exception_fp_denorm_src 0
		.amdhsa_exception_fp_ieee_div_zero 0
		.amdhsa_exception_fp_ieee_overflow 0
		.amdhsa_exception_fp_ieee_underflow 0
		.amdhsa_exception_fp_ieee_inexact 0
		.amdhsa_exception_int_div_zero 0
	.end_amdhsa_kernel
	.section	.text._ZN12_GLOBAL__N_127rocblas_gemm_batched_kernelIfLi16ELi16ELi32ELi32ELi8ELi32ELi8ELi8ELi32ELc67ELc67EK16rocblas_bfloat16KffEEvlllT_PT11_llS6_llS4_PT12_llPT13_lli,"axG",@progbits,_ZN12_GLOBAL__N_127rocblas_gemm_batched_kernelIfLi16ELi16ELi32ELi32ELi8ELi32ELi8ELi8ELi32ELc67ELc67EK16rocblas_bfloat16KffEEvlllT_PT11_llS6_llS4_PT12_llPT13_lli,comdat
.Lfunc_end458:
	.size	_ZN12_GLOBAL__N_127rocblas_gemm_batched_kernelIfLi16ELi16ELi32ELi32ELi8ELi32ELi8ELi8ELi32ELc67ELc67EK16rocblas_bfloat16KffEEvlllT_PT11_llS6_llS4_PT12_llPT13_lli, .Lfunc_end458-_ZN12_GLOBAL__N_127rocblas_gemm_batched_kernelIfLi16ELi16ELi32ELi32ELi8ELi32ELi8ELi8ELi32ELc67ELc67EK16rocblas_bfloat16KffEEvlllT_PT11_llS6_llS4_PT12_llPT13_lli
                                        ; -- End function
	.set _ZN12_GLOBAL__N_127rocblas_gemm_batched_kernelIfLi16ELi16ELi32ELi32ELi8ELi32ELi8ELi8ELi32ELc67ELc67EK16rocblas_bfloat16KffEEvlllT_PT11_llS6_llS4_PT12_llPT13_lli.num_vgpr, 56
	.set _ZN12_GLOBAL__N_127rocblas_gemm_batched_kernelIfLi16ELi16ELi32ELi32ELi8ELi32ELi8ELi8ELi32ELc67ELc67EK16rocblas_bfloat16KffEEvlllT_PT11_llS6_llS4_PT12_llPT13_lli.num_agpr, 0
	.set _ZN12_GLOBAL__N_127rocblas_gemm_batched_kernelIfLi16ELi16ELi32ELi32ELi8ELi32ELi8ELi8ELi32ELc67ELc67EK16rocblas_bfloat16KffEEvlllT_PT11_llS6_llS4_PT12_llPT13_lli.numbered_sgpr, 38
	.set _ZN12_GLOBAL__N_127rocblas_gemm_batched_kernelIfLi16ELi16ELi32ELi32ELi8ELi32ELi8ELi8ELi32ELc67ELc67EK16rocblas_bfloat16KffEEvlllT_PT11_llS6_llS4_PT12_llPT13_lli.num_named_barrier, 0
	.set _ZN12_GLOBAL__N_127rocblas_gemm_batched_kernelIfLi16ELi16ELi32ELi32ELi8ELi32ELi8ELi8ELi32ELc67ELc67EK16rocblas_bfloat16KffEEvlllT_PT11_llS6_llS4_PT12_llPT13_lli.private_seg_size, 0
	.set _ZN12_GLOBAL__N_127rocblas_gemm_batched_kernelIfLi16ELi16ELi32ELi32ELi8ELi32ELi8ELi8ELi32ELc67ELc67EK16rocblas_bfloat16KffEEvlllT_PT11_llS6_llS4_PT12_llPT13_lli.uses_vcc, 1
	.set _ZN12_GLOBAL__N_127rocblas_gemm_batched_kernelIfLi16ELi16ELi32ELi32ELi8ELi32ELi8ELi8ELi32ELc67ELc67EK16rocblas_bfloat16KffEEvlllT_PT11_llS6_llS4_PT12_llPT13_lli.uses_flat_scratch, 0
	.set _ZN12_GLOBAL__N_127rocblas_gemm_batched_kernelIfLi16ELi16ELi32ELi32ELi8ELi32ELi8ELi8ELi32ELc67ELc67EK16rocblas_bfloat16KffEEvlllT_PT11_llS6_llS4_PT12_llPT13_lli.has_dyn_sized_stack, 0
	.set _ZN12_GLOBAL__N_127rocblas_gemm_batched_kernelIfLi16ELi16ELi32ELi32ELi8ELi32ELi8ELi8ELi32ELc67ELc67EK16rocblas_bfloat16KffEEvlllT_PT11_llS6_llS4_PT12_llPT13_lli.has_recursion, 0
	.set _ZN12_GLOBAL__N_127rocblas_gemm_batched_kernelIfLi16ELi16ELi32ELi32ELi8ELi32ELi8ELi8ELi32ELc67ELc67EK16rocblas_bfloat16KffEEvlllT_PT11_llS6_llS4_PT12_llPT13_lli.has_indirect_call, 0
	.section	.AMDGPU.csdata,"",@progbits
; Kernel info:
; codeLenInByte = 1380
; TotalNumSgprs: 40
; NumVgprs: 56
; ScratchSize: 0
; MemoryBound: 0
; FloatMode: 240
; IeeeMode: 1
; LDSByteSize: 2048 bytes/workgroup (compile time only)
; SGPRBlocks: 0
; VGPRBlocks: 3
; NumSGPRsForWavesPerEU: 40
; NumVGPRsForWavesPerEU: 56
; NamedBarCnt: 0
; Occupancy: 16
; WaveLimiterHint : 0
; COMPUTE_PGM_RSRC2:SCRATCH_EN: 0
; COMPUTE_PGM_RSRC2:USER_SGPR: 2
; COMPUTE_PGM_RSRC2:TRAP_HANDLER: 0
; COMPUTE_PGM_RSRC2:TGID_X_EN: 1
; COMPUTE_PGM_RSRC2:TGID_Y_EN: 1
; COMPUTE_PGM_RSRC2:TGID_Z_EN: 1
; COMPUTE_PGM_RSRC2:TIDIG_COMP_CNT: 1
	.section	.text._ZN12_GLOBAL__N_127rocblas_gemm_batched_kernelIfLi16ELi16ELi32ELi32ELi8ELi32ELi8ELi8ELi32ELc67ELc78EK16rocblas_bfloat16KffEEvlllT_PT11_llS6_llS4_PT12_llPT13_lli,"axG",@progbits,_ZN12_GLOBAL__N_127rocblas_gemm_batched_kernelIfLi16ELi16ELi32ELi32ELi8ELi32ELi8ELi8ELi32ELc67ELc78EK16rocblas_bfloat16KffEEvlllT_PT11_llS6_llS4_PT12_llPT13_lli,comdat
	.globl	_ZN12_GLOBAL__N_127rocblas_gemm_batched_kernelIfLi16ELi16ELi32ELi32ELi8ELi32ELi8ELi8ELi32ELc67ELc78EK16rocblas_bfloat16KffEEvlllT_PT11_llS6_llS4_PT12_llPT13_lli ; -- Begin function _ZN12_GLOBAL__N_127rocblas_gemm_batched_kernelIfLi16ELi16ELi32ELi32ELi8ELi32ELi8ELi8ELi32ELc67ELc78EK16rocblas_bfloat16KffEEvlllT_PT11_llS6_llS4_PT12_llPT13_lli
	.p2align	8
	.type	_ZN12_GLOBAL__N_127rocblas_gemm_batched_kernelIfLi16ELi16ELi32ELi32ELi8ELi32ELi8ELi8ELi32ELc67ELc78EK16rocblas_bfloat16KffEEvlllT_PT11_llS6_llS4_PT12_llPT13_lli,@function
_ZN12_GLOBAL__N_127rocblas_gemm_batched_kernelIfLi16ELi16ELi32ELi32ELi8ELi32ELi8ELi8ELi32ELc67ELc78EK16rocblas_bfloat16KffEEvlllT_PT11_llS6_llS4_PT12_llPT13_lli: ; @_ZN12_GLOBAL__N_127rocblas_gemm_batched_kernelIfLi16ELi16ELi32ELi32ELi8ELi32ELi8ELi8ELi32ELc67ELc78EK16rocblas_bfloat16KffEEvlllT_PT11_llS6_llS4_PT12_llPT13_lli
; %bb.0:
	s_load_b32 s31, s[0:1], 0x88
	s_bfe_u32 s2, ttmp6, 0x40014
	s_lshr_b32 s3, ttmp7, 16
	s_add_co_i32 s2, s2, 1
	s_bfe_u32 s5, ttmp6, 0x40008
	s_mul_i32 s2, s3, s2
	s_getreg_b32 s4, hwreg(HW_REG_IB_STS2, 6, 4)
	s_add_co_i32 s5, s5, s2
	s_cmp_eq_u32 s4, 0
	s_cselect_b32 s2, s3, s5
	s_mov_b32 s3, 0
	s_wait_kmcnt 0x0
	s_cmp_ge_i32 s2, s31
	s_cbranch_scc1 .LBB459_10
; %bb.1:
	s_bfe_u32 s6, ttmp6, 0x4000c
	s_bfe_u32 s7, ttmp6, 0x40010
	s_add_co_i32 s6, s6, 1
	s_and_b32 s8, ttmp7, 0xffff
	s_add_co_i32 s7, s7, 1
	v_bfe_u32 v4, v0, 10, 10
	v_and_b32_e32 v6, 0x3ff, v0
	s_and_b32 s5, ttmp6, 15
	s_mul_i32 s6, ttmp9, s6
	s_mul_i32 s7, s8, s7
	s_bfe_u32 s9, ttmp6, 0x40004
	s_clause 0x1
	s_load_b256 s[12:19], s[0:1], 0x20
	s_load_b128 s[24:27], s[0:1], 0x40
	s_add_co_i32 s5, s5, s6
	s_add_co_i32 s9, s9, s7
	s_cmp_eq_u32 s4, 0
	v_lshl_add_u32 v1, v4, 4, v6
	v_mov_b32_e32 v5, 0
	s_cselect_b32 s28, ttmp9, s5
	s_cselect_b32 s4, s8, s9
	s_ashr_i32 s29, s28, 31
	v_lshrrev_b32_e32 v8, 3, v1
	s_lshl_b64 s[36:37], s[28:29], 5
	v_mov_b32_e32 v9, v5
	s_lshl_b32 s34, s4, 5
	s_mov_b32 s35, s3
	s_clause 0x3
	s_load_b32 s33, s[0:1], 0x50
	s_load_b256 s[4:11], s[0:1], 0x58
	s_load_b128 s[20:23], s[0:1], 0x78
	s_load_b96 s[28:30], s[0:1], 0x10
	v_add_nc_u64_e32 v[2:3], s[34:35], v[8:9]
	v_dual_mov_b32 v7, v5 :: v_dual_bitop2_b32 v9, 31, v1 bitop3:0x40
	v_dual_lshrrev_b32 v17, 5, v1 :: v_dual_bitop2_b32 v0, 7, v0 bitop3:0x40
	v_lshl_add_u32 v18, v4, 5, 0x400
	v_lshlrev_b32_e32 v19, 2, v6
	s_wait_kmcnt 0x0
	v_mul_u64_e32 v[10:11], s[24:25], v[2:3]
	v_dual_lshlrev_b32 v16, 2, v0 :: v_dual_bitop2_b32 v2, s36, v9 bitop3:0x54
	v_mov_b32_e32 v3, s37
	v_add_nc_u64_e32 v[6:7], s[36:37], v[6:7]
	v_lshlrev_b32_e32 v9, 2, v9
	s_delay_alu instid0(VALU_DEP_4) | instskip(NEXT) | instid1(VALU_DEP_4)
	v_lshl_or_b32 v8, v8, 5, v16
	v_mul_u64_e32 v[12:13], s[14:15], v[2:3]
	v_add_nc_u64_e32 v[2:3], s[34:35], v[4:5]
	v_lshlrev_b32_e32 v4, 1, v0
	v_lshlrev_b64_e32 v[6:7], 2, v[6:7]
	v_cmp_gt_i64_e64 s0, s[28:29], 0
	s_cmp_eq_f32 s33, 0
	v_lshl_or_b32 v20, v17, 7, v9
	v_add_nc_u32_e32 v21, 0x400, v8
	v_mul_u64_e32 v[14:15], s[6:7], v[2:3]
	v_mul_u64_e32 v[2:3], s[20:21], v[2:3]
	s_cselect_b32 s1, -1, 0
	s_lshl_b64 s[14:15], s[20:21], 4
	v_lshl_add_u64 v[0:1], v[10:11], 1, v[4:5]
	v_lshlrev_b32_e32 v4, 1, v17
	v_cndmask_b32_e64 v10, 0, 1, s0
	s_delay_alu instid0(VALU_DEP_3) | instskip(NEXT) | instid1(VALU_DEP_2)
	v_add_nc_u64_e32 v[0:1], s[18:19], v[0:1]
	v_cmp_ne_u32_e64 s0, 1, v10
	s_delay_alu instid0(VALU_DEP_4) | instskip(NEXT) | instid1(VALU_DEP_1)
	v_lshl_add_u64 v[4:5], v[12:13], 1, v[4:5]
	v_add_nc_u64_e32 v[4:5], s[12:13], v[4:5]
	s_lshl_b64 s[12:13], s[16:17], 1
	v_lshl_add_u64 v[8:9], v[14:15], 2, s[4:5]
	s_lshl_b64 s[4:5], s[6:7], 4
	s_lshl_b64 s[6:7], s[26:27], 1
	s_branch .LBB459_3
.LBB459_2:                              ;   in Loop: Header=BB459_3 Depth=1
	s_add_co_i32 s2, s2, 0x10000
	s_delay_alu instid0(SALU_CYCLE_1)
	s_cmp_lt_i32 s2, s31
	s_cbranch_scc0 .LBB459_10
.LBB459_3:                              ; =>This Loop Header: Depth=1
                                        ;     Child Loop BB459_5 Depth 2
	s_wait_xcnt 0x0
	v_dual_mov_b32 v13, 0 :: v_dual_mov_b32 v12, 0
	v_dual_mov_b32 v11, 0 :: v_dual_mov_b32 v10, 0
	s_and_b32 vcc_lo, exec_lo, s0
	s_cbranch_vccnz .LBB459_6
; %bb.4:                                ;   in Loop: Header=BB459_3 Depth=1
	v_mad_nc_u64_u32 v[14:15], s6, s2, v[0:1]
	v_mad_nc_u64_u32 v[16:17], s12, s2, v[4:5]
	v_mov_b32_e32 v10, 0
	s_mov_b64 s[16:17], 0
	s_delay_alu instid0(VALU_DEP_1)
	v_dual_mov_b32 v11, v10 :: v_dual_mov_b32 v12, v10
	v_mov_b32_e32 v13, v10
	v_mad_u32 v15, s7, s2, v15
	v_mad_u32 v17, s13, s2, v17
.LBB459_5:                              ;   Parent Loop BB459_3 Depth=1
                                        ; =>  This Inner Loop Header: Depth=2
	global_load_u16 v22, v[16:17], off
	global_load_u16 v23, v[14:15], off
	s_add_nc_u64 s[16:17], s[16:17], 8
	s_wait_xcnt 0x0
	v_add_nc_u64_e32 v[14:15], 16, v[14:15]
	v_cmp_lt_i64_e64 s18, s[16:17], s[28:29]
	v_add_nc_u64_e32 v[16:17], 16, v[16:17]
	s_and_b32 vcc_lo, exec_lo, s18
	s_wait_loadcnt 0x0
	v_dual_lshlrev_b32 v22, 16, v22 :: v_dual_lshlrev_b32 v23, 16, v23
	ds_store_b32 v20, v22
	ds_store_b32 v21, v23
	s_wait_dscnt 0x0
	s_barrier_signal -1
	s_barrier_wait -1
	ds_load_2addr_b32 v[38:39], v19 offset1:16
	ds_load_2addr_b32 v[40:41], v19 offset0:32 offset1:48
	ds_load_b128 v[22:25], v18
	ds_load_2addr_b32 v[42:43], v19 offset0:64 offset1:80
	ds_load_b128 v[26:29], v18 offset:512
	ds_load_2addr_b32 v[44:45], v19 offset0:96 offset1:112
	ds_load_b128 v[30:33], v18 offset:16
	;; [unrolled: 2-line block ×3, first 2 shown]
	ds_load_2addr_b32 v[48:49], v19 offset0:160 offset1:176
	ds_load_2addr_b32 v[50:51], v19 offset0:192 offset1:208
	;; [unrolled: 1-line block ×3, first 2 shown]
	s_wait_dscnt 0x0
	s_barrier_signal -1
	s_barrier_wait -1
	v_dual_mov_b32 v54, v39 :: v_dual_mov_b32 v55, v38
	v_dual_mov_b32 v38, v41 :: v_dual_mov_b32 v39, v40
	;; [unrolled: 1-line block ×3, first 2 shown]
	s_delay_alu instid0(VALU_DEP_3) | instskip(SKIP_3) | instid1(VALU_DEP_4)
	v_pk_fma_f32 v[12:13], v[54:55], v[22:23], v[12:13] op_sel_hi:[1,0,1]
	v_pk_fma_f32 v[10:11], v[54:55], v[26:27], v[10:11] op_sel_hi:[1,0,1]
	v_dual_mov_b32 v42, v45 :: v_dual_mov_b32 v43, v44
	v_mov_b32_e32 v44, v25
	v_pk_fma_f32 v[12:13], v[38:39], v[22:23], v[12:13] op_sel:[0,1,0]
	s_delay_alu instid0(VALU_DEP_4) | instskip(SKIP_2) | instid1(VALU_DEP_4)
	v_pk_fma_f32 v[10:11], v[38:39], v[26:27], v[10:11] op_sel:[0,1,0]
	v_dual_mov_b32 v22, v29 :: v_dual_mov_b32 v26, v53
	v_mov_b32_e32 v27, v52
	v_pk_fma_f32 v[12:13], v[40:41], v[24:25], v[12:13] op_sel_hi:[1,0,1]
	s_delay_alu instid0(VALU_DEP_4) | instskip(SKIP_2) | instid1(VALU_DEP_4)
	v_pk_fma_f32 v[10:11], v[40:41], v[28:29], v[10:11] op_sel_hi:[1,0,1]
	v_dual_mov_b32 v24, v47 :: v_dual_mov_b32 v25, v46
	v_mov_b32_e32 v28, v37
	v_pk_fma_f32 v[12:13], v[42:43], v[44:45], v[12:13] op_sel_hi:[1,0,1]
	s_delay_alu instid0(VALU_DEP_4) | instskip(SKIP_1) | instid1(VALU_DEP_3)
	v_pk_fma_f32 v[10:11], v[42:43], v[22:23], v[10:11] op_sel_hi:[1,0,1]
	v_dual_mov_b32 v22, v49 :: v_dual_mov_b32 v23, v48
	v_pk_fma_f32 v[12:13], v[24:25], v[30:31], v[12:13] op_sel_hi:[1,0,1]
	s_delay_alu instid0(VALU_DEP_3) | instskip(SKIP_1) | instid1(VALU_DEP_3)
	v_pk_fma_f32 v[10:11], v[24:25], v[34:35], v[10:11] op_sel_hi:[1,0,1]
	v_dual_mov_b32 v24, v51 :: v_dual_mov_b32 v25, v50
	v_pk_fma_f32 v[12:13], v[22:23], v[30:31], v[12:13] op_sel:[0,1,0]
	s_delay_alu instid0(VALU_DEP_3) | instskip(SKIP_1) | instid1(VALU_DEP_3)
	v_pk_fma_f32 v[10:11], v[22:23], v[34:35], v[10:11] op_sel:[0,1,0]
	v_mov_b32_e32 v22, v33
	v_pk_fma_f32 v[12:13], v[24:25], v[32:33], v[12:13] op_sel_hi:[1,0,1]
	s_delay_alu instid0(VALU_DEP_3) | instskip(NEXT) | instid1(VALU_DEP_2)
	v_pk_fma_f32 v[10:11], v[24:25], v[36:37], v[10:11] op_sel_hi:[1,0,1]
	v_pk_fma_f32 v[12:13], v[26:27], v[22:23], v[12:13] op_sel_hi:[1,0,1]
	s_delay_alu instid0(VALU_DEP_2)
	v_pk_fma_f32 v[10:11], v[26:27], v[28:29], v[10:11] op_sel_hi:[1,0,1]
	s_cbranch_vccnz .LBB459_5
.LBB459_6:                              ;   in Loop: Header=BB459_3 Depth=1
	s_mul_u64 s[16:17], s[22:23], s[2:3]
	s_and_not1_b32 vcc_lo, exec_lo, s1
	s_lshl_b64 s[16:17], s[16:17], 2
	s_delay_alu instid0(SALU_CYCLE_1) | instskip(NEXT) | instid1(SALU_CYCLE_1)
	s_add_nc_u64 s[16:17], s[10:11], s[16:17]
	v_lshl_add_u64 v[14:15], v[2:3], 2, s[16:17]
	s_delay_alu instid0(VALU_DEP_1)
	v_add_nc_u64_e32 v[16:17], v[14:15], v[6:7]
	v_lshl_add_u64 v[14:15], s[14:15], 2, v[14:15]
	s_cbranch_vccnz .LBB459_8
; %bb.7:                                ;   in Loop: Header=BB459_3 Depth=1
	s_delay_alu instid0(VALU_DEP_1)
	v_add_nc_u64_e32 v[22:23], v[14:15], v[6:7]
	v_dual_mul_f32 v24, s30, v13 :: v_dual_mul_f32 v25, s30, v12
	v_dual_mul_f32 v26, s30, v11 :: v_dual_mul_f32 v27, s30, v10
	s_clause 0x3
	global_store_b32 v[16:17], v24, off
	global_store_b32 v[16:17], v25, off offset:64
	global_store_b32 v[22:23], v26, off
	global_store_b32 v[22:23], v27, off offset:64
	s_cbranch_execnz .LBB459_2
	s_branch .LBB459_9
.LBB459_8:                              ;   in Loop: Header=BB459_3 Depth=1
.LBB459_9:                              ;   in Loop: Header=BB459_3 Depth=1
	s_mul_u64 s[16:17], s[8:9], s[2:3]
	s_wait_xcnt 0x0
	v_lshl_add_u64 v[22:23], s[16:17], 2, v[8:9]
	s_delay_alu instid0(VALU_DEP_1) | instskip(SKIP_1) | instid1(VALU_DEP_1)
	v_add_nc_u64_e32 v[24:25], v[22:23], v[6:7]
	v_lshl_add_u64 v[22:23], s[4:5], 2, v[22:23]
	v_add_nc_u64_e32 v[22:23], v[22:23], v[6:7]
	global_load_b32 v26, v[24:25], off
	s_wait_loadcnt 0x0
	v_mul_f32_e32 v26, s33, v26
	s_delay_alu instid0(VALU_DEP_1) | instskip(SKIP_4) | instid1(VALU_DEP_1)
	v_fmac_f32_e32 v26, s30, v13
	global_store_b32 v[16:17], v26, off
	global_load_b32 v13, v[24:25], off offset:64
	s_wait_loadcnt 0x0
	v_mul_f32_e32 v13, s33, v13
	v_fmac_f32_e32 v13, s30, v12
	global_store_b32 v[16:17], v13, off offset:64
	global_load_b32 v12, v[22:23], off
	s_wait_loadcnt 0x0
	s_wait_xcnt 0x1
	v_mul_f32_e32 v16, s33, v12
	v_add_nc_u64_e32 v[12:13], v[14:15], v[6:7]
	s_delay_alu instid0(VALU_DEP_2) | instskip(SKIP_4) | instid1(VALU_DEP_1)
	v_fmac_f32_e32 v16, s30, v11
	global_store_b32 v[12:13], v16, off
	global_load_b32 v11, v[22:23], off offset:64
	s_wait_loadcnt 0x0
	v_mul_f32_e32 v11, s33, v11
	v_fmac_f32_e32 v11, s30, v10
	global_store_b32 v[12:13], v11, off offset:64
	s_branch .LBB459_2
.LBB459_10:
	s_endpgm
	.section	.rodata,"a",@progbits
	.p2align	6, 0x0
	.amdhsa_kernel _ZN12_GLOBAL__N_127rocblas_gemm_batched_kernelIfLi16ELi16ELi32ELi32ELi8ELi32ELi8ELi8ELi32ELc67ELc78EK16rocblas_bfloat16KffEEvlllT_PT11_llS6_llS4_PT12_llPT13_lli
		.amdhsa_group_segment_fixed_size 2048
		.amdhsa_private_segment_fixed_size 0
		.amdhsa_kernarg_size 140
		.amdhsa_user_sgpr_count 2
		.amdhsa_user_sgpr_dispatch_ptr 0
		.amdhsa_user_sgpr_queue_ptr 0
		.amdhsa_user_sgpr_kernarg_segment_ptr 1
		.amdhsa_user_sgpr_dispatch_id 0
		.amdhsa_user_sgpr_kernarg_preload_length 0
		.amdhsa_user_sgpr_kernarg_preload_offset 0
		.amdhsa_user_sgpr_private_segment_size 0
		.amdhsa_wavefront_size32 1
		.amdhsa_uses_dynamic_stack 0
		.amdhsa_enable_private_segment 0
		.amdhsa_system_sgpr_workgroup_id_x 1
		.amdhsa_system_sgpr_workgroup_id_y 1
		.amdhsa_system_sgpr_workgroup_id_z 1
		.amdhsa_system_sgpr_workgroup_info 0
		.amdhsa_system_vgpr_workitem_id 1
		.amdhsa_next_free_vgpr 56
		.amdhsa_next_free_sgpr 38
		.amdhsa_named_barrier_count 0
		.amdhsa_reserve_vcc 1
		.amdhsa_float_round_mode_32 0
		.amdhsa_float_round_mode_16_64 0
		.amdhsa_float_denorm_mode_32 3
		.amdhsa_float_denorm_mode_16_64 3
		.amdhsa_fp16_overflow 0
		.amdhsa_memory_ordered 1
		.amdhsa_forward_progress 1
		.amdhsa_inst_pref_size 11
		.amdhsa_round_robin_scheduling 0
		.amdhsa_exception_fp_ieee_invalid_op 0
		.amdhsa_exception_fp_denorm_src 0
		.amdhsa_exception_fp_ieee_div_zero 0
		.amdhsa_exception_fp_ieee_overflow 0
		.amdhsa_exception_fp_ieee_underflow 0
		.amdhsa_exception_fp_ieee_inexact 0
		.amdhsa_exception_int_div_zero 0
	.end_amdhsa_kernel
	.section	.text._ZN12_GLOBAL__N_127rocblas_gemm_batched_kernelIfLi16ELi16ELi32ELi32ELi8ELi32ELi8ELi8ELi32ELc67ELc78EK16rocblas_bfloat16KffEEvlllT_PT11_llS6_llS4_PT12_llPT13_lli,"axG",@progbits,_ZN12_GLOBAL__N_127rocblas_gemm_batched_kernelIfLi16ELi16ELi32ELi32ELi8ELi32ELi8ELi8ELi32ELc67ELc78EK16rocblas_bfloat16KffEEvlllT_PT11_llS6_llS4_PT12_llPT13_lli,comdat
.Lfunc_end459:
	.size	_ZN12_GLOBAL__N_127rocblas_gemm_batched_kernelIfLi16ELi16ELi32ELi32ELi8ELi32ELi8ELi8ELi32ELc67ELc78EK16rocblas_bfloat16KffEEvlllT_PT11_llS6_llS4_PT12_llPT13_lli, .Lfunc_end459-_ZN12_GLOBAL__N_127rocblas_gemm_batched_kernelIfLi16ELi16ELi32ELi32ELi8ELi32ELi8ELi8ELi32ELc67ELc78EK16rocblas_bfloat16KffEEvlllT_PT11_llS6_llS4_PT12_llPT13_lli
                                        ; -- End function
	.set _ZN12_GLOBAL__N_127rocblas_gemm_batched_kernelIfLi16ELi16ELi32ELi32ELi8ELi32ELi8ELi8ELi32ELc67ELc78EK16rocblas_bfloat16KffEEvlllT_PT11_llS6_llS4_PT12_llPT13_lli.num_vgpr, 56
	.set _ZN12_GLOBAL__N_127rocblas_gemm_batched_kernelIfLi16ELi16ELi32ELi32ELi8ELi32ELi8ELi8ELi32ELc67ELc78EK16rocblas_bfloat16KffEEvlllT_PT11_llS6_llS4_PT12_llPT13_lli.num_agpr, 0
	.set _ZN12_GLOBAL__N_127rocblas_gemm_batched_kernelIfLi16ELi16ELi32ELi32ELi8ELi32ELi8ELi8ELi32ELc67ELc78EK16rocblas_bfloat16KffEEvlllT_PT11_llS6_llS4_PT12_llPT13_lli.numbered_sgpr, 38
	.set _ZN12_GLOBAL__N_127rocblas_gemm_batched_kernelIfLi16ELi16ELi32ELi32ELi8ELi32ELi8ELi8ELi32ELc67ELc78EK16rocblas_bfloat16KffEEvlllT_PT11_llS6_llS4_PT12_llPT13_lli.num_named_barrier, 0
	.set _ZN12_GLOBAL__N_127rocblas_gemm_batched_kernelIfLi16ELi16ELi32ELi32ELi8ELi32ELi8ELi8ELi32ELc67ELc78EK16rocblas_bfloat16KffEEvlllT_PT11_llS6_llS4_PT12_llPT13_lli.private_seg_size, 0
	.set _ZN12_GLOBAL__N_127rocblas_gemm_batched_kernelIfLi16ELi16ELi32ELi32ELi8ELi32ELi8ELi8ELi32ELc67ELc78EK16rocblas_bfloat16KffEEvlllT_PT11_llS6_llS4_PT12_llPT13_lli.uses_vcc, 1
	.set _ZN12_GLOBAL__N_127rocblas_gemm_batched_kernelIfLi16ELi16ELi32ELi32ELi8ELi32ELi8ELi8ELi32ELc67ELc78EK16rocblas_bfloat16KffEEvlllT_PT11_llS6_llS4_PT12_llPT13_lli.uses_flat_scratch, 0
	.set _ZN12_GLOBAL__N_127rocblas_gemm_batched_kernelIfLi16ELi16ELi32ELi32ELi8ELi32ELi8ELi8ELi32ELc67ELc78EK16rocblas_bfloat16KffEEvlllT_PT11_llS6_llS4_PT12_llPT13_lli.has_dyn_sized_stack, 0
	.set _ZN12_GLOBAL__N_127rocblas_gemm_batched_kernelIfLi16ELi16ELi32ELi32ELi8ELi32ELi8ELi8ELi32ELc67ELc78EK16rocblas_bfloat16KffEEvlllT_PT11_llS6_llS4_PT12_llPT13_lli.has_recursion, 0
	.set _ZN12_GLOBAL__N_127rocblas_gemm_batched_kernelIfLi16ELi16ELi32ELi32ELi8ELi32ELi8ELi8ELi32ELc67ELc78EK16rocblas_bfloat16KffEEvlllT_PT11_llS6_llS4_PT12_llPT13_lli.has_indirect_call, 0
	.section	.AMDGPU.csdata,"",@progbits
; Kernel info:
; codeLenInByte = 1364
; TotalNumSgprs: 40
; NumVgprs: 56
; ScratchSize: 0
; MemoryBound: 0
; FloatMode: 240
; IeeeMode: 1
; LDSByteSize: 2048 bytes/workgroup (compile time only)
; SGPRBlocks: 0
; VGPRBlocks: 3
; NumSGPRsForWavesPerEU: 40
; NumVGPRsForWavesPerEU: 56
; NamedBarCnt: 0
; Occupancy: 16
; WaveLimiterHint : 0
; COMPUTE_PGM_RSRC2:SCRATCH_EN: 0
; COMPUTE_PGM_RSRC2:USER_SGPR: 2
; COMPUTE_PGM_RSRC2:TRAP_HANDLER: 0
; COMPUTE_PGM_RSRC2:TGID_X_EN: 1
; COMPUTE_PGM_RSRC2:TGID_Y_EN: 1
; COMPUTE_PGM_RSRC2:TGID_Z_EN: 1
; COMPUTE_PGM_RSRC2:TIDIG_COMP_CNT: 1
	.section	.text._ZN12_GLOBAL__N_127rocblas_gemm_batched_kernelIfLi16ELi16ELi32ELi32ELi8ELi32ELi8ELi8ELi32ELc67ELc84EK16rocblas_bfloat16KffEEvlllT_PT11_llS6_llS4_PT12_llPT13_lli,"axG",@progbits,_ZN12_GLOBAL__N_127rocblas_gemm_batched_kernelIfLi16ELi16ELi32ELi32ELi8ELi32ELi8ELi8ELi32ELc67ELc84EK16rocblas_bfloat16KffEEvlllT_PT11_llS6_llS4_PT12_llPT13_lli,comdat
	.globl	_ZN12_GLOBAL__N_127rocblas_gemm_batched_kernelIfLi16ELi16ELi32ELi32ELi8ELi32ELi8ELi8ELi32ELc67ELc84EK16rocblas_bfloat16KffEEvlllT_PT11_llS6_llS4_PT12_llPT13_lli ; -- Begin function _ZN12_GLOBAL__N_127rocblas_gemm_batched_kernelIfLi16ELi16ELi32ELi32ELi8ELi32ELi8ELi8ELi32ELc67ELc84EK16rocblas_bfloat16KffEEvlllT_PT11_llS6_llS4_PT12_llPT13_lli
	.p2align	8
	.type	_ZN12_GLOBAL__N_127rocblas_gemm_batched_kernelIfLi16ELi16ELi32ELi32ELi8ELi32ELi8ELi8ELi32ELc67ELc84EK16rocblas_bfloat16KffEEvlllT_PT11_llS6_llS4_PT12_llPT13_lli,@function
_ZN12_GLOBAL__N_127rocblas_gemm_batched_kernelIfLi16ELi16ELi32ELi32ELi8ELi32ELi8ELi8ELi32ELc67ELc84EK16rocblas_bfloat16KffEEvlllT_PT11_llS6_llS4_PT12_llPT13_lli: ; @_ZN12_GLOBAL__N_127rocblas_gemm_batched_kernelIfLi16ELi16ELi32ELi32ELi8ELi32ELi8ELi8ELi32ELc67ELc84EK16rocblas_bfloat16KffEEvlllT_PT11_llS6_llS4_PT12_llPT13_lli
; %bb.0:
	s_load_b32 s31, s[0:1], 0x88
	s_bfe_u32 s2, ttmp6, 0x40014
	s_lshr_b32 s3, ttmp7, 16
	s_add_co_i32 s2, s2, 1
	s_bfe_u32 s4, ttmp6, 0x40008
	s_mul_i32 s2, s3, s2
	s_getreg_b32 s28, hwreg(HW_REG_IB_STS2, 6, 4)
	s_add_co_i32 s4, s4, s2
	s_cmp_eq_u32 s28, 0
	s_cselect_b32 s2, s3, s4
	s_mov_b32 s3, 0
	s_wait_kmcnt 0x0
	s_cmp_ge_i32 s2, s31
	s_cbranch_scc1 .LBB460_10
; %bb.1:
	v_bfe_u32 v2, v0, 10, 10
	v_and_b32_e32 v4, 0x3ff, v0
	s_bfe_u32 s29, ttmp6, 0x4000c
	s_bfe_u32 s33, ttmp6, 0x40010
	s_add_co_i32 s29, s29, 1
	s_and_b32 s34, ttmp7, 0xffff
	s_add_co_i32 s33, s33, 1
	s_clause 0x3
	s_load_b256 s[12:19], s[0:1], 0x20
	s_load_b128 s[24:27], s[0:1], 0x40
	s_load_b128 s[20:23], s[0:1], 0x78
	s_load_b256 s[4:11], s[0:1], 0x58
	s_and_b32 s30, ttmp6, 15
	s_mul_i32 s29, ttmp9, s29
	s_mul_i32 s33, s34, s33
	s_bfe_u32 s35, ttmp6, 0x40004
	v_lshl_add_u32 v5, v2, 4, v4
	s_add_co_i32 s30, s30, s29
	s_add_co_i32 s35, s35, s33
	s_cmp_eq_u32 s28, 0
	s_delay_alu instid0(VALU_DEP_1)
	v_dual_mov_b32 v3, 0 :: v_dual_bitop2_b32 v16, 31, v5 bitop3:0x40
	s_cselect_b32 s28, ttmp9, s30
	s_cselect_b32 s30, s34, s35
	s_ashr_i32 s29, s28, 31
	s_lshl_b32 s36, s30, 5
	s_lshl_b64 s[34:35], s[28:29], 5
	s_mov_b32 s37, s3
	v_dual_mov_b32 v7, s35 :: v_dual_bitop2_b32 v6, s34, v16 bitop3:0x54
	v_add_nc_u64_e32 v[8:9], s[36:37], v[2:3]
	v_dual_lshrrev_b32 v10, 3, v5 :: v_dual_bitop2_b32 v17, 7, v0 bitop3:0x40
	v_mov_b32_e32 v11, v3
	s_wait_kmcnt 0x0
	v_mul_u64_e32 v[6:7], s[14:15], v[6:7]
	s_clause 0x1
	s_load_b32 s33, s[0:1], 0x50
	s_load_b96 s[28:30], s[0:1], 0x10
	v_mul_u64_e32 v[12:13], s[6:7], v[8:9]
	v_mul_u64_e32 v[0:1], s[20:21], v[8:9]
	v_lshrrev_b32_e32 v8, 5, v5
	v_mad_nc_u64_u32 v[14:15], s24, v17, v[10:11]
	v_dual_lshlrev_b32 v11, 2, v17 :: v_dual_lshlrev_b32 v9, 2, v16
	v_dual_mov_b32 v5, v3 :: v_dual_lshlrev_b32 v20, 2, v4
	v_lshl_add_u32 v21, v2, 5, 0x400
	s_delay_alu instid0(VALU_DEP_3)
	v_lshl_or_b32 v10, v10, 5, v11
	v_lshlrev_b32_e32 v2, 1, v8
	v_lshl_or_b32 v18, v8, 7, v9
	v_add_nc_u64_e32 v[8:9], s[34:35], v[4:5]
	v_mad_u32 v15, s25, v17, v15
	v_add_nc_u32_e32 v19, 0x400, v10
	s_wait_kmcnt 0x0
	s_cmp_eq_f32 s33, 0
	v_cmp_gt_i64_e64 s0, s[28:29], 0
	s_cselect_b32 s1, -1, 0
	s_lshl_b64 s[14:15], s[20:21], 4
	s_lshl_b64 s[6:7], s[6:7], 4
	v_add_nc_u64_e32 v[10:11], s[36:37], v[14:15]
	v_cndmask_b32_e64 v14, 0, 1, s0
	s_lshl_b64 s[16:17], s[16:17], 1
	v_lshl_add_u64 v[4:5], v[6:7], 1, v[2:3]
	v_lshlrev_b64_e32 v[6:7], 2, v[8:9]
	s_delay_alu instid0(VALU_DEP_3)
	v_cmp_ne_u32_e64 s0, 1, v14
	v_lshl_add_u64 v[2:3], v[12:13], 2, s[4:5]
	v_lshl_add_u64 v[8:9], v[10:11], 1, s[18:19]
	v_add_nc_u64_e32 v[4:5], s[12:13], v[4:5]
	s_lshl_b64 s[4:5], s[26:27], 1
	s_lshl_b64 s[12:13], s[24:25], 4
	s_branch .LBB460_3
.LBB460_2:                              ;   in Loop: Header=BB460_3 Depth=1
	s_add_co_i32 s2, s2, 0x10000
	s_delay_alu instid0(SALU_CYCLE_1)
	s_cmp_lt_i32 s2, s31
	s_cbranch_scc0 .LBB460_10
.LBB460_3:                              ; =>This Loop Header: Depth=1
                                        ;     Child Loop BB460_5 Depth 2
	s_wait_xcnt 0x0
	v_dual_mov_b32 v13, 0 :: v_dual_mov_b32 v12, 0
	v_dual_mov_b32 v11, 0 :: v_dual_mov_b32 v10, 0
	s_and_b32 vcc_lo, exec_lo, s0
	s_cbranch_vccnz .LBB460_6
; %bb.4:                                ;   in Loop: Header=BB460_3 Depth=1
	v_mad_nc_u64_u32 v[14:15], s4, s2, v[8:9]
	v_mad_nc_u64_u32 v[16:17], s16, s2, v[4:5]
	v_mov_b32_e32 v10, 0
	s_mov_b64 s[18:19], 0
	s_delay_alu instid0(VALU_DEP_1)
	v_dual_mov_b32 v11, v10 :: v_dual_mov_b32 v12, v10
	v_mov_b32_e32 v13, v10
	v_mad_u32 v15, s5, s2, v15
	v_mad_u32 v17, s17, s2, v17
.LBB460_5:                              ;   Parent Loop BB460_3 Depth=1
                                        ; =>  This Inner Loop Header: Depth=2
	global_load_u16 v22, v[16:17], off
	global_load_u16 v23, v[14:15], off
	s_add_nc_u64 s[18:19], s[18:19], 8
	s_wait_xcnt 0x0
	v_add_nc_u64_e32 v[14:15], s[12:13], v[14:15]
	v_cmp_lt_i64_e64 s20, s[18:19], s[28:29]
	v_add_nc_u64_e32 v[16:17], 16, v[16:17]
	s_and_b32 vcc_lo, exec_lo, s20
	s_wait_loadcnt 0x0
	v_dual_lshlrev_b32 v22, 16, v22 :: v_dual_lshlrev_b32 v23, 16, v23
	ds_store_b32 v18, v22
	ds_store_b32 v19, v23
	s_wait_dscnt 0x0
	s_barrier_signal -1
	s_barrier_wait -1
	ds_load_2addr_b32 v[38:39], v20 offset1:16
	ds_load_2addr_b32 v[40:41], v20 offset0:32 offset1:48
	ds_load_b128 v[22:25], v21
	ds_load_2addr_b32 v[42:43], v20 offset0:64 offset1:80
	ds_load_b128 v[26:29], v21 offset:512
	ds_load_2addr_b32 v[44:45], v20 offset0:96 offset1:112
	ds_load_b128 v[30:33], v21 offset:16
	;; [unrolled: 2-line block ×3, first 2 shown]
	ds_load_2addr_b32 v[48:49], v20 offset0:160 offset1:176
	ds_load_2addr_b32 v[50:51], v20 offset0:192 offset1:208
	;; [unrolled: 1-line block ×3, first 2 shown]
	s_wait_dscnt 0x0
	s_barrier_signal -1
	s_barrier_wait -1
	v_dual_mov_b32 v54, v39 :: v_dual_mov_b32 v55, v38
	v_dual_mov_b32 v38, v41 :: v_dual_mov_b32 v39, v40
	;; [unrolled: 1-line block ×3, first 2 shown]
	s_delay_alu instid0(VALU_DEP_3) | instskip(SKIP_3) | instid1(VALU_DEP_4)
	v_pk_fma_f32 v[12:13], v[54:55], v[22:23], v[12:13] op_sel_hi:[1,0,1]
	v_pk_fma_f32 v[10:11], v[54:55], v[26:27], v[10:11] op_sel_hi:[1,0,1]
	v_dual_mov_b32 v42, v45 :: v_dual_mov_b32 v43, v44
	v_mov_b32_e32 v44, v25
	v_pk_fma_f32 v[12:13], v[38:39], v[22:23], v[12:13] op_sel:[0,1,0]
	s_delay_alu instid0(VALU_DEP_4) | instskip(SKIP_2) | instid1(VALU_DEP_4)
	v_pk_fma_f32 v[10:11], v[38:39], v[26:27], v[10:11] op_sel:[0,1,0]
	v_dual_mov_b32 v22, v29 :: v_dual_mov_b32 v26, v53
	v_mov_b32_e32 v27, v52
	v_pk_fma_f32 v[12:13], v[40:41], v[24:25], v[12:13] op_sel_hi:[1,0,1]
	s_delay_alu instid0(VALU_DEP_4) | instskip(SKIP_2) | instid1(VALU_DEP_4)
	v_pk_fma_f32 v[10:11], v[40:41], v[28:29], v[10:11] op_sel_hi:[1,0,1]
	v_dual_mov_b32 v24, v47 :: v_dual_mov_b32 v25, v46
	v_mov_b32_e32 v28, v37
	v_pk_fma_f32 v[12:13], v[42:43], v[44:45], v[12:13] op_sel_hi:[1,0,1]
	s_delay_alu instid0(VALU_DEP_4) | instskip(SKIP_1) | instid1(VALU_DEP_3)
	v_pk_fma_f32 v[10:11], v[42:43], v[22:23], v[10:11] op_sel_hi:[1,0,1]
	v_dual_mov_b32 v22, v49 :: v_dual_mov_b32 v23, v48
	v_pk_fma_f32 v[12:13], v[24:25], v[30:31], v[12:13] op_sel_hi:[1,0,1]
	s_delay_alu instid0(VALU_DEP_3) | instskip(SKIP_1) | instid1(VALU_DEP_3)
	v_pk_fma_f32 v[10:11], v[24:25], v[34:35], v[10:11] op_sel_hi:[1,0,1]
	v_dual_mov_b32 v24, v51 :: v_dual_mov_b32 v25, v50
	v_pk_fma_f32 v[12:13], v[22:23], v[30:31], v[12:13] op_sel:[0,1,0]
	s_delay_alu instid0(VALU_DEP_3) | instskip(SKIP_1) | instid1(VALU_DEP_3)
	v_pk_fma_f32 v[10:11], v[22:23], v[34:35], v[10:11] op_sel:[0,1,0]
	v_mov_b32_e32 v22, v33
	v_pk_fma_f32 v[12:13], v[24:25], v[32:33], v[12:13] op_sel_hi:[1,0,1]
	s_delay_alu instid0(VALU_DEP_3) | instskip(NEXT) | instid1(VALU_DEP_2)
	v_pk_fma_f32 v[10:11], v[24:25], v[36:37], v[10:11] op_sel_hi:[1,0,1]
	v_pk_fma_f32 v[12:13], v[26:27], v[22:23], v[12:13] op_sel_hi:[1,0,1]
	s_delay_alu instid0(VALU_DEP_2)
	v_pk_fma_f32 v[10:11], v[26:27], v[28:29], v[10:11] op_sel_hi:[1,0,1]
	s_cbranch_vccnz .LBB460_5
.LBB460_6:                              ;   in Loop: Header=BB460_3 Depth=1
	s_mul_u64 s[18:19], s[22:23], s[2:3]
	s_and_not1_b32 vcc_lo, exec_lo, s1
	s_lshl_b64 s[18:19], s[18:19], 2
	s_delay_alu instid0(SALU_CYCLE_1) | instskip(NEXT) | instid1(SALU_CYCLE_1)
	s_add_nc_u64 s[18:19], s[10:11], s[18:19]
	v_lshl_add_u64 v[14:15], v[0:1], 2, s[18:19]
	s_delay_alu instid0(VALU_DEP_1)
	v_add_nc_u64_e32 v[16:17], v[14:15], v[6:7]
	v_lshl_add_u64 v[14:15], s[14:15], 2, v[14:15]
	s_cbranch_vccnz .LBB460_8
; %bb.7:                                ;   in Loop: Header=BB460_3 Depth=1
	s_delay_alu instid0(VALU_DEP_1)
	v_add_nc_u64_e32 v[22:23], v[14:15], v[6:7]
	v_dual_mul_f32 v24, s30, v13 :: v_dual_mul_f32 v25, s30, v12
	v_dual_mul_f32 v26, s30, v11 :: v_dual_mul_f32 v27, s30, v10
	s_clause 0x3
	global_store_b32 v[16:17], v24, off
	global_store_b32 v[16:17], v25, off offset:64
	global_store_b32 v[22:23], v26, off
	global_store_b32 v[22:23], v27, off offset:64
	s_cbranch_execnz .LBB460_2
	s_branch .LBB460_9
.LBB460_8:                              ;   in Loop: Header=BB460_3 Depth=1
.LBB460_9:                              ;   in Loop: Header=BB460_3 Depth=1
	s_mul_u64 s[18:19], s[8:9], s[2:3]
	s_wait_xcnt 0x0
	v_lshl_add_u64 v[22:23], s[18:19], 2, v[2:3]
	s_delay_alu instid0(VALU_DEP_1) | instskip(SKIP_1) | instid1(VALU_DEP_1)
	v_add_nc_u64_e32 v[24:25], v[22:23], v[6:7]
	v_lshl_add_u64 v[22:23], s[6:7], 2, v[22:23]
	v_add_nc_u64_e32 v[22:23], v[22:23], v[6:7]
	global_load_b32 v26, v[24:25], off
	s_wait_loadcnt 0x0
	v_mul_f32_e32 v26, s33, v26
	s_delay_alu instid0(VALU_DEP_1) | instskip(SKIP_4) | instid1(VALU_DEP_1)
	v_fmac_f32_e32 v26, s30, v13
	global_store_b32 v[16:17], v26, off
	global_load_b32 v13, v[24:25], off offset:64
	s_wait_loadcnt 0x0
	v_mul_f32_e32 v13, s33, v13
	v_fmac_f32_e32 v13, s30, v12
	global_store_b32 v[16:17], v13, off offset:64
	global_load_b32 v12, v[22:23], off
	s_wait_loadcnt 0x0
	s_wait_xcnt 0x1
	v_mul_f32_e32 v16, s33, v12
	v_add_nc_u64_e32 v[12:13], v[14:15], v[6:7]
	s_delay_alu instid0(VALU_DEP_2) | instskip(SKIP_4) | instid1(VALU_DEP_1)
	v_fmac_f32_e32 v16, s30, v11
	global_store_b32 v[12:13], v16, off
	global_load_b32 v11, v[22:23], off offset:64
	s_wait_loadcnt 0x0
	v_mul_f32_e32 v11, s33, v11
	v_fmac_f32_e32 v11, s30, v10
	global_store_b32 v[12:13], v11, off offset:64
	s_branch .LBB460_2
.LBB460_10:
	s_endpgm
	.section	.rodata,"a",@progbits
	.p2align	6, 0x0
	.amdhsa_kernel _ZN12_GLOBAL__N_127rocblas_gemm_batched_kernelIfLi16ELi16ELi32ELi32ELi8ELi32ELi8ELi8ELi32ELc67ELc84EK16rocblas_bfloat16KffEEvlllT_PT11_llS6_llS4_PT12_llPT13_lli
		.amdhsa_group_segment_fixed_size 2048
		.amdhsa_private_segment_fixed_size 0
		.amdhsa_kernarg_size 140
		.amdhsa_user_sgpr_count 2
		.amdhsa_user_sgpr_dispatch_ptr 0
		.amdhsa_user_sgpr_queue_ptr 0
		.amdhsa_user_sgpr_kernarg_segment_ptr 1
		.amdhsa_user_sgpr_dispatch_id 0
		.amdhsa_user_sgpr_kernarg_preload_length 0
		.amdhsa_user_sgpr_kernarg_preload_offset 0
		.amdhsa_user_sgpr_private_segment_size 0
		.amdhsa_wavefront_size32 1
		.amdhsa_uses_dynamic_stack 0
		.amdhsa_enable_private_segment 0
		.amdhsa_system_sgpr_workgroup_id_x 1
		.amdhsa_system_sgpr_workgroup_id_y 1
		.amdhsa_system_sgpr_workgroup_id_z 1
		.amdhsa_system_sgpr_workgroup_info 0
		.amdhsa_system_vgpr_workitem_id 1
		.amdhsa_next_free_vgpr 56
		.amdhsa_next_free_sgpr 38
		.amdhsa_named_barrier_count 0
		.amdhsa_reserve_vcc 1
		.amdhsa_float_round_mode_32 0
		.amdhsa_float_round_mode_16_64 0
		.amdhsa_float_denorm_mode_32 3
		.amdhsa_float_denorm_mode_16_64 3
		.amdhsa_fp16_overflow 0
		.amdhsa_memory_ordered 1
		.amdhsa_forward_progress 1
		.amdhsa_inst_pref_size 11
		.amdhsa_round_robin_scheduling 0
		.amdhsa_exception_fp_ieee_invalid_op 0
		.amdhsa_exception_fp_denorm_src 0
		.amdhsa_exception_fp_ieee_div_zero 0
		.amdhsa_exception_fp_ieee_overflow 0
		.amdhsa_exception_fp_ieee_underflow 0
		.amdhsa_exception_fp_ieee_inexact 0
		.amdhsa_exception_int_div_zero 0
	.end_amdhsa_kernel
	.section	.text._ZN12_GLOBAL__N_127rocblas_gemm_batched_kernelIfLi16ELi16ELi32ELi32ELi8ELi32ELi8ELi8ELi32ELc67ELc84EK16rocblas_bfloat16KffEEvlllT_PT11_llS6_llS4_PT12_llPT13_lli,"axG",@progbits,_ZN12_GLOBAL__N_127rocblas_gemm_batched_kernelIfLi16ELi16ELi32ELi32ELi8ELi32ELi8ELi8ELi32ELc67ELc84EK16rocblas_bfloat16KffEEvlllT_PT11_llS6_llS4_PT12_llPT13_lli,comdat
.Lfunc_end460:
	.size	_ZN12_GLOBAL__N_127rocblas_gemm_batched_kernelIfLi16ELi16ELi32ELi32ELi8ELi32ELi8ELi8ELi32ELc67ELc84EK16rocblas_bfloat16KffEEvlllT_PT11_llS6_llS4_PT12_llPT13_lli, .Lfunc_end460-_ZN12_GLOBAL__N_127rocblas_gemm_batched_kernelIfLi16ELi16ELi32ELi32ELi8ELi32ELi8ELi8ELi32ELc67ELc84EK16rocblas_bfloat16KffEEvlllT_PT11_llS6_llS4_PT12_llPT13_lli
                                        ; -- End function
	.set _ZN12_GLOBAL__N_127rocblas_gemm_batched_kernelIfLi16ELi16ELi32ELi32ELi8ELi32ELi8ELi8ELi32ELc67ELc84EK16rocblas_bfloat16KffEEvlllT_PT11_llS6_llS4_PT12_llPT13_lli.num_vgpr, 56
	.set _ZN12_GLOBAL__N_127rocblas_gemm_batched_kernelIfLi16ELi16ELi32ELi32ELi8ELi32ELi8ELi8ELi32ELc67ELc84EK16rocblas_bfloat16KffEEvlllT_PT11_llS6_llS4_PT12_llPT13_lli.num_agpr, 0
	.set _ZN12_GLOBAL__N_127rocblas_gemm_batched_kernelIfLi16ELi16ELi32ELi32ELi8ELi32ELi8ELi8ELi32ELc67ELc84EK16rocblas_bfloat16KffEEvlllT_PT11_llS6_llS4_PT12_llPT13_lli.numbered_sgpr, 38
	.set _ZN12_GLOBAL__N_127rocblas_gemm_batched_kernelIfLi16ELi16ELi32ELi32ELi8ELi32ELi8ELi8ELi32ELc67ELc84EK16rocblas_bfloat16KffEEvlllT_PT11_llS6_llS4_PT12_llPT13_lli.num_named_barrier, 0
	.set _ZN12_GLOBAL__N_127rocblas_gemm_batched_kernelIfLi16ELi16ELi32ELi32ELi8ELi32ELi8ELi8ELi32ELc67ELc84EK16rocblas_bfloat16KffEEvlllT_PT11_llS6_llS4_PT12_llPT13_lli.private_seg_size, 0
	.set _ZN12_GLOBAL__N_127rocblas_gemm_batched_kernelIfLi16ELi16ELi32ELi32ELi8ELi32ELi8ELi8ELi32ELc67ELc84EK16rocblas_bfloat16KffEEvlllT_PT11_llS6_llS4_PT12_llPT13_lli.uses_vcc, 1
	.set _ZN12_GLOBAL__N_127rocblas_gemm_batched_kernelIfLi16ELi16ELi32ELi32ELi8ELi32ELi8ELi8ELi32ELc67ELc84EK16rocblas_bfloat16KffEEvlllT_PT11_llS6_llS4_PT12_llPT13_lli.uses_flat_scratch, 0
	.set _ZN12_GLOBAL__N_127rocblas_gemm_batched_kernelIfLi16ELi16ELi32ELi32ELi8ELi32ELi8ELi8ELi32ELc67ELc84EK16rocblas_bfloat16KffEEvlllT_PT11_llS6_llS4_PT12_llPT13_lli.has_dyn_sized_stack, 0
	.set _ZN12_GLOBAL__N_127rocblas_gemm_batched_kernelIfLi16ELi16ELi32ELi32ELi8ELi32ELi8ELi8ELi32ELc67ELc84EK16rocblas_bfloat16KffEEvlllT_PT11_llS6_llS4_PT12_llPT13_lli.has_recursion, 0
	.set _ZN12_GLOBAL__N_127rocblas_gemm_batched_kernelIfLi16ELi16ELi32ELi32ELi8ELi32ELi8ELi8ELi32ELc67ELc84EK16rocblas_bfloat16KffEEvlllT_PT11_llS6_llS4_PT12_llPT13_lli.has_indirect_call, 0
	.section	.AMDGPU.csdata,"",@progbits
; Kernel info:
; codeLenInByte = 1380
; TotalNumSgprs: 40
; NumVgprs: 56
; ScratchSize: 0
; MemoryBound: 0
; FloatMode: 240
; IeeeMode: 1
; LDSByteSize: 2048 bytes/workgroup (compile time only)
; SGPRBlocks: 0
; VGPRBlocks: 3
; NumSGPRsForWavesPerEU: 40
; NumVGPRsForWavesPerEU: 56
; NamedBarCnt: 0
; Occupancy: 16
; WaveLimiterHint : 0
; COMPUTE_PGM_RSRC2:SCRATCH_EN: 0
; COMPUTE_PGM_RSRC2:USER_SGPR: 2
; COMPUTE_PGM_RSRC2:TRAP_HANDLER: 0
; COMPUTE_PGM_RSRC2:TGID_X_EN: 1
; COMPUTE_PGM_RSRC2:TGID_Y_EN: 1
; COMPUTE_PGM_RSRC2:TGID_Z_EN: 1
; COMPUTE_PGM_RSRC2:TIDIG_COMP_CNT: 1
	.section	.text._ZN12_GLOBAL__N_127rocblas_gemm_batched_kernelIfLi16ELi16ELi32ELi32ELi8ELi32ELi8ELi8ELi32ELc78ELc67EK16rocblas_bfloat16KffEEvlllT_PT11_llS6_llS4_PT12_llPT13_lli,"axG",@progbits,_ZN12_GLOBAL__N_127rocblas_gemm_batched_kernelIfLi16ELi16ELi32ELi32ELi8ELi32ELi8ELi8ELi32ELc78ELc67EK16rocblas_bfloat16KffEEvlllT_PT11_llS6_llS4_PT12_llPT13_lli,comdat
	.globl	_ZN12_GLOBAL__N_127rocblas_gemm_batched_kernelIfLi16ELi16ELi32ELi32ELi8ELi32ELi8ELi8ELi32ELc78ELc67EK16rocblas_bfloat16KffEEvlllT_PT11_llS6_llS4_PT12_llPT13_lli ; -- Begin function _ZN12_GLOBAL__N_127rocblas_gemm_batched_kernelIfLi16ELi16ELi32ELi32ELi8ELi32ELi8ELi8ELi32ELc78ELc67EK16rocblas_bfloat16KffEEvlllT_PT11_llS6_llS4_PT12_llPT13_lli
	.p2align	8
	.type	_ZN12_GLOBAL__N_127rocblas_gemm_batched_kernelIfLi16ELi16ELi32ELi32ELi8ELi32ELi8ELi8ELi32ELc78ELc67EK16rocblas_bfloat16KffEEvlllT_PT11_llS6_llS4_PT12_llPT13_lli,@function
_ZN12_GLOBAL__N_127rocblas_gemm_batched_kernelIfLi16ELi16ELi32ELi32ELi8ELi32ELi8ELi8ELi32ELc78ELc67EK16rocblas_bfloat16KffEEvlllT_PT11_llS6_llS4_PT12_llPT13_lli: ; @_ZN12_GLOBAL__N_127rocblas_gemm_batched_kernelIfLi16ELi16ELi32ELi32ELi8ELi32ELi8ELi8ELi32ELc78ELc67EK16rocblas_bfloat16KffEEvlllT_PT11_llS6_llS4_PT12_llPT13_lli
; %bb.0:
	s_load_b32 s31, s[0:1], 0x88
	s_bfe_u32 s2, ttmp6, 0x40014
	s_lshr_b32 s3, ttmp7, 16
	s_add_co_i32 s2, s2, 1
	s_bfe_u32 s4, ttmp6, 0x40008
	s_mul_i32 s2, s3, s2
	s_getreg_b32 s20, hwreg(HW_REG_IB_STS2, 6, 4)
	s_add_co_i32 s4, s4, s2
	s_cmp_eq_u32 s20, 0
	s_cselect_b32 s2, s3, s4
	s_mov_b32 s3, 0
	s_wait_kmcnt 0x0
	s_cmp_ge_i32 s2, s31
	s_cbranch_scc1 .LBB461_10
; %bb.1:
	s_bfe_u32 s21, ttmp6, 0x4000c
	s_bfe_u32 s23, ttmp6, 0x40010
	s_clause 0x2
	s_load_b256 s[12:19], s[0:1], 0x20
	s_load_b128 s[24:27], s[0:1], 0x40
	s_load_b256 s[4:11], s[0:1], 0x58
	s_add_co_i32 s21, s21, 1
	s_and_b32 s28, ttmp7, 0xffff
	s_add_co_i32 s23, s23, 1
	s_and_b32 s22, ttmp6, 15
	s_mul_i32 s21, ttmp9, s21
	s_mul_i32 s23, s28, s23
	s_bfe_u32 s29, ttmp6, 0x40004
	s_add_co_i32 s22, s22, s21
	s_add_co_i32 s29, s29, s23
	s_cmp_eq_u32 s20, 0
	v_bfe_u32 v2, v0, 10, 10
	v_dual_mov_b32 v3, 0 :: v_dual_bitop2_b32 v17, 7, v0 bitop3:0x40
	s_cselect_b32 s20, s28, s29
	s_cselect_b32 s28, ttmp9, s22
	s_lshl_b32 s34, s20, 5
	s_load_b128 s[20:23], s[0:1], 0x78
	s_mov_b32 s35, s3
	v_and_b32_e32 v4, 0x3ff, v0
	v_add_nc_u64_e32 v[6:7], s[34:35], v[2:3]
	v_mov_b32_e32 v9, v3
	s_ashr_i32 s29, s28, 31
	s_load_b32 s33, s[0:1], 0x50
	v_lshl_add_u32 v1, v2, 4, v4
	s_lshl_b64 s[36:37], s[28:29], 5
	s_load_b96 s[28:30], s[0:1], 0x10
	s_wait_kmcnt 0x0
	v_mul_u64_e32 v[10:11], s[6:7], v[6:7]
	v_dual_lshlrev_b32 v20, 2, v4 :: v_dual_lshrrev_b32 v8, 3, v1
	v_dual_lshrrev_b32 v18, 5, v1 :: v_dual_bitop2_b32 v16, 31, v1 bitop3:0x40
	v_mov_b32_e32 v5, v3
	v_lshl_add_u32 v21, v2, 5, 0x400
	s_delay_alu instid0(VALU_DEP_4) | instskip(NEXT) | instid1(VALU_DEP_4)
	v_mad_nc_u64_u32 v[12:13], s24, v17, v[8:9]
	v_mad_nc_u64_u32 v[14:15], s14, v18, s[36:37]
	v_mul_u64_e32 v[0:1], s[20:21], v[6:7]
	v_dual_lshlrev_b32 v6, 2, v17 :: v_dual_lshlrev_b32 v7, 2, v16
	s_delay_alu instid0(VALU_DEP_1)
	v_lshl_or_b32 v6, v8, 5, v6
	s_cmp_eq_f32 s33, 0
	v_mad_u32 v13, s25, v17, v13
	v_mad_u32 v15, s15, v18, v15
	v_mov_b32_e32 v17, v3
	v_cmp_gt_i64_e64 s0, s[28:29], 0
	v_lshl_or_b32 v18, v18, 7, v7
	v_add_nc_u32_e32 v19, 0x400, v6
	v_add_nc_u64_e32 v[6:7], s[36:37], v[4:5]
	s_cselect_b32 s1, -1, 0
	s_lshl_b64 s[20:21], s[20:21], 4
	s_lshl_b64 s[6:7], s[6:7], 4
	;; [unrolled: 1-line block ×3, first 2 shown]
	v_add_nc_u64_e32 v[4:5], s[34:35], v[12:13]
	v_add_nc_u64_e32 v[8:9], v[14:15], v[16:17]
	v_lshlrev_b64_e32 v[6:7], 2, v[6:7]
	v_lshl_add_u64 v[2:3], v[10:11], 2, s[4:5]
	v_cndmask_b32_e64 v10, 0, 1, s0
	s_lshl_b64 s[4:5], s[26:27], 1
	s_lshl_b64 s[14:15], s[14:15], 4
	v_lshl_add_u64 v[4:5], v[4:5], 1, s[18:19]
	v_lshl_add_u64 v[8:9], v[8:9], 1, s[12:13]
	v_cmp_ne_u32_e64 s0, 1, v10
	s_lshl_b64 s[12:13], s[24:25], 4
	s_branch .LBB461_3
.LBB461_2:                              ;   in Loop: Header=BB461_3 Depth=1
	s_add_co_i32 s2, s2, 0x10000
	s_delay_alu instid0(SALU_CYCLE_1)
	s_cmp_lt_i32 s2, s31
	s_cbranch_scc0 .LBB461_10
.LBB461_3:                              ; =>This Loop Header: Depth=1
                                        ;     Child Loop BB461_5 Depth 2
	s_wait_xcnt 0x0
	v_dual_mov_b32 v13, 0 :: v_dual_mov_b32 v12, 0
	v_dual_mov_b32 v11, 0 :: v_dual_mov_b32 v10, 0
	s_and_b32 vcc_lo, exec_lo, s0
	s_cbranch_vccnz .LBB461_6
; %bb.4:                                ;   in Loop: Header=BB461_3 Depth=1
	v_mad_nc_u64_u32 v[14:15], s4, s2, v[4:5]
	v_mad_nc_u64_u32 v[16:17], s16, s2, v[8:9]
	v_mov_b32_e32 v10, 0
	s_mov_b64 s[18:19], 0
	s_delay_alu instid0(VALU_DEP_1)
	v_dual_mov_b32 v11, v10 :: v_dual_mov_b32 v12, v10
	v_mov_b32_e32 v13, v10
	v_mad_u32 v15, s5, s2, v15
	v_mad_u32 v17, s17, s2, v17
.LBB461_5:                              ;   Parent Loop BB461_3 Depth=1
                                        ; =>  This Inner Loop Header: Depth=2
	global_load_u16 v22, v[16:17], off
	global_load_u16 v23, v[14:15], off
	s_add_nc_u64 s[18:19], s[18:19], 8
	s_wait_xcnt 0x0
	v_add_nc_u64_e32 v[14:15], s[12:13], v[14:15]
	v_cmp_lt_i64_e64 s24, s[18:19], s[28:29]
	v_add_nc_u64_e32 v[16:17], s[14:15], v[16:17]
	s_and_b32 vcc_lo, exec_lo, s24
	s_wait_loadcnt 0x0
	v_dual_lshlrev_b32 v22, 16, v22 :: v_dual_lshlrev_b32 v23, 16, v23
	ds_store_b32 v18, v22
	ds_store_b32 v19, v23
	s_wait_dscnt 0x0
	s_barrier_signal -1
	s_barrier_wait -1
	ds_load_2addr_b32 v[38:39], v20 offset1:16
	ds_load_2addr_b32 v[40:41], v20 offset0:32 offset1:48
	ds_load_b128 v[22:25], v21
	ds_load_2addr_b32 v[42:43], v20 offset0:64 offset1:80
	ds_load_b128 v[26:29], v21 offset:512
	ds_load_2addr_b32 v[44:45], v20 offset0:96 offset1:112
	ds_load_b128 v[30:33], v21 offset:16
	;; [unrolled: 2-line block ×3, first 2 shown]
	ds_load_2addr_b32 v[48:49], v20 offset0:160 offset1:176
	ds_load_2addr_b32 v[50:51], v20 offset0:192 offset1:208
	;; [unrolled: 1-line block ×3, first 2 shown]
	s_wait_dscnt 0x0
	s_barrier_signal -1
	s_barrier_wait -1
	v_dual_mov_b32 v54, v39 :: v_dual_mov_b32 v55, v38
	v_dual_mov_b32 v38, v41 :: v_dual_mov_b32 v39, v40
	;; [unrolled: 1-line block ×3, first 2 shown]
	s_delay_alu instid0(VALU_DEP_3) | instskip(SKIP_3) | instid1(VALU_DEP_4)
	v_pk_fma_f32 v[12:13], v[54:55], v[22:23], v[12:13] op_sel_hi:[1,0,1]
	v_pk_fma_f32 v[10:11], v[54:55], v[26:27], v[10:11] op_sel_hi:[1,0,1]
	v_dual_mov_b32 v42, v45 :: v_dual_mov_b32 v43, v44
	v_mov_b32_e32 v44, v25
	v_pk_fma_f32 v[12:13], v[38:39], v[22:23], v[12:13] op_sel:[0,1,0]
	s_delay_alu instid0(VALU_DEP_4) | instskip(SKIP_2) | instid1(VALU_DEP_4)
	v_pk_fma_f32 v[10:11], v[38:39], v[26:27], v[10:11] op_sel:[0,1,0]
	v_dual_mov_b32 v22, v29 :: v_dual_mov_b32 v26, v53
	v_mov_b32_e32 v27, v52
	v_pk_fma_f32 v[12:13], v[40:41], v[24:25], v[12:13] op_sel_hi:[1,0,1]
	s_delay_alu instid0(VALU_DEP_4) | instskip(SKIP_2) | instid1(VALU_DEP_4)
	v_pk_fma_f32 v[10:11], v[40:41], v[28:29], v[10:11] op_sel_hi:[1,0,1]
	v_dual_mov_b32 v24, v47 :: v_dual_mov_b32 v25, v46
	v_mov_b32_e32 v28, v37
	v_pk_fma_f32 v[12:13], v[42:43], v[44:45], v[12:13] op_sel_hi:[1,0,1]
	s_delay_alu instid0(VALU_DEP_4) | instskip(SKIP_1) | instid1(VALU_DEP_3)
	v_pk_fma_f32 v[10:11], v[42:43], v[22:23], v[10:11] op_sel_hi:[1,0,1]
	v_dual_mov_b32 v22, v49 :: v_dual_mov_b32 v23, v48
	v_pk_fma_f32 v[12:13], v[24:25], v[30:31], v[12:13] op_sel_hi:[1,0,1]
	s_delay_alu instid0(VALU_DEP_3) | instskip(SKIP_1) | instid1(VALU_DEP_3)
	v_pk_fma_f32 v[10:11], v[24:25], v[34:35], v[10:11] op_sel_hi:[1,0,1]
	v_dual_mov_b32 v24, v51 :: v_dual_mov_b32 v25, v50
	v_pk_fma_f32 v[12:13], v[22:23], v[30:31], v[12:13] op_sel:[0,1,0]
	s_delay_alu instid0(VALU_DEP_3) | instskip(SKIP_1) | instid1(VALU_DEP_3)
	v_pk_fma_f32 v[10:11], v[22:23], v[34:35], v[10:11] op_sel:[0,1,0]
	v_mov_b32_e32 v22, v33
	v_pk_fma_f32 v[12:13], v[24:25], v[32:33], v[12:13] op_sel_hi:[1,0,1]
	s_delay_alu instid0(VALU_DEP_3) | instskip(NEXT) | instid1(VALU_DEP_2)
	v_pk_fma_f32 v[10:11], v[24:25], v[36:37], v[10:11] op_sel_hi:[1,0,1]
	v_pk_fma_f32 v[12:13], v[26:27], v[22:23], v[12:13] op_sel_hi:[1,0,1]
	s_delay_alu instid0(VALU_DEP_2)
	v_pk_fma_f32 v[10:11], v[26:27], v[28:29], v[10:11] op_sel_hi:[1,0,1]
	s_cbranch_vccnz .LBB461_5
.LBB461_6:                              ;   in Loop: Header=BB461_3 Depth=1
	s_mul_u64 s[18:19], s[22:23], s[2:3]
	s_and_not1_b32 vcc_lo, exec_lo, s1
	s_lshl_b64 s[18:19], s[18:19], 2
	s_delay_alu instid0(SALU_CYCLE_1) | instskip(NEXT) | instid1(SALU_CYCLE_1)
	s_add_nc_u64 s[18:19], s[10:11], s[18:19]
	v_lshl_add_u64 v[14:15], v[0:1], 2, s[18:19]
	s_delay_alu instid0(VALU_DEP_1)
	v_add_nc_u64_e32 v[16:17], v[14:15], v[6:7]
	v_lshl_add_u64 v[14:15], s[20:21], 2, v[14:15]
	s_cbranch_vccnz .LBB461_8
; %bb.7:                                ;   in Loop: Header=BB461_3 Depth=1
	s_delay_alu instid0(VALU_DEP_1)
	v_add_nc_u64_e32 v[22:23], v[14:15], v[6:7]
	v_dual_mul_f32 v24, s30, v13 :: v_dual_mul_f32 v25, s30, v12
	v_dual_mul_f32 v26, s30, v11 :: v_dual_mul_f32 v27, s30, v10
	s_clause 0x3
	global_store_b32 v[16:17], v24, off
	global_store_b32 v[16:17], v25, off offset:64
	global_store_b32 v[22:23], v26, off
	global_store_b32 v[22:23], v27, off offset:64
	s_cbranch_execnz .LBB461_2
	s_branch .LBB461_9
.LBB461_8:                              ;   in Loop: Header=BB461_3 Depth=1
.LBB461_9:                              ;   in Loop: Header=BB461_3 Depth=1
	s_mul_u64 s[18:19], s[8:9], s[2:3]
	s_wait_xcnt 0x0
	v_lshl_add_u64 v[22:23], s[18:19], 2, v[2:3]
	s_delay_alu instid0(VALU_DEP_1) | instskip(SKIP_1) | instid1(VALU_DEP_1)
	v_add_nc_u64_e32 v[24:25], v[22:23], v[6:7]
	v_lshl_add_u64 v[22:23], s[6:7], 2, v[22:23]
	v_add_nc_u64_e32 v[22:23], v[22:23], v[6:7]
	global_load_b32 v26, v[24:25], off
	s_wait_loadcnt 0x0
	v_mul_f32_e32 v26, s33, v26
	s_delay_alu instid0(VALU_DEP_1) | instskip(SKIP_4) | instid1(VALU_DEP_1)
	v_fmac_f32_e32 v26, s30, v13
	global_store_b32 v[16:17], v26, off
	global_load_b32 v13, v[24:25], off offset:64
	s_wait_loadcnt 0x0
	v_mul_f32_e32 v13, s33, v13
	v_fmac_f32_e32 v13, s30, v12
	global_store_b32 v[16:17], v13, off offset:64
	global_load_b32 v12, v[22:23], off
	s_wait_loadcnt 0x0
	s_wait_xcnt 0x1
	v_mul_f32_e32 v16, s33, v12
	v_add_nc_u64_e32 v[12:13], v[14:15], v[6:7]
	s_delay_alu instid0(VALU_DEP_2) | instskip(SKIP_4) | instid1(VALU_DEP_1)
	v_fmac_f32_e32 v16, s30, v11
	global_store_b32 v[12:13], v16, off
	global_load_b32 v11, v[22:23], off offset:64
	s_wait_loadcnt 0x0
	v_mul_f32_e32 v11, s33, v11
	v_fmac_f32_e32 v11, s30, v10
	global_store_b32 v[12:13], v11, off offset:64
	s_branch .LBB461_2
.LBB461_10:
	s_endpgm
	.section	.rodata,"a",@progbits
	.p2align	6, 0x0
	.amdhsa_kernel _ZN12_GLOBAL__N_127rocblas_gemm_batched_kernelIfLi16ELi16ELi32ELi32ELi8ELi32ELi8ELi8ELi32ELc78ELc67EK16rocblas_bfloat16KffEEvlllT_PT11_llS6_llS4_PT12_llPT13_lli
		.amdhsa_group_segment_fixed_size 2048
		.amdhsa_private_segment_fixed_size 0
		.amdhsa_kernarg_size 140
		.amdhsa_user_sgpr_count 2
		.amdhsa_user_sgpr_dispatch_ptr 0
		.amdhsa_user_sgpr_queue_ptr 0
		.amdhsa_user_sgpr_kernarg_segment_ptr 1
		.amdhsa_user_sgpr_dispatch_id 0
		.amdhsa_user_sgpr_kernarg_preload_length 0
		.amdhsa_user_sgpr_kernarg_preload_offset 0
		.amdhsa_user_sgpr_private_segment_size 0
		.amdhsa_wavefront_size32 1
		.amdhsa_uses_dynamic_stack 0
		.amdhsa_enable_private_segment 0
		.amdhsa_system_sgpr_workgroup_id_x 1
		.amdhsa_system_sgpr_workgroup_id_y 1
		.amdhsa_system_sgpr_workgroup_id_z 1
		.amdhsa_system_sgpr_workgroup_info 0
		.amdhsa_system_vgpr_workitem_id 1
		.amdhsa_next_free_vgpr 56
		.amdhsa_next_free_sgpr 38
		.amdhsa_named_barrier_count 0
		.amdhsa_reserve_vcc 1
		.amdhsa_float_round_mode_32 0
		.amdhsa_float_round_mode_16_64 0
		.amdhsa_float_denorm_mode_32 3
		.amdhsa_float_denorm_mode_16_64 3
		.amdhsa_fp16_overflow 0
		.amdhsa_memory_ordered 1
		.amdhsa_forward_progress 1
		.amdhsa_inst_pref_size 11
		.amdhsa_round_robin_scheduling 0
		.amdhsa_exception_fp_ieee_invalid_op 0
		.amdhsa_exception_fp_denorm_src 0
		.amdhsa_exception_fp_ieee_div_zero 0
		.amdhsa_exception_fp_ieee_overflow 0
		.amdhsa_exception_fp_ieee_underflow 0
		.amdhsa_exception_fp_ieee_inexact 0
		.amdhsa_exception_int_div_zero 0
	.end_amdhsa_kernel
	.section	.text._ZN12_GLOBAL__N_127rocblas_gemm_batched_kernelIfLi16ELi16ELi32ELi32ELi8ELi32ELi8ELi8ELi32ELc78ELc67EK16rocblas_bfloat16KffEEvlllT_PT11_llS6_llS4_PT12_llPT13_lli,"axG",@progbits,_ZN12_GLOBAL__N_127rocblas_gemm_batched_kernelIfLi16ELi16ELi32ELi32ELi8ELi32ELi8ELi8ELi32ELc78ELc67EK16rocblas_bfloat16KffEEvlllT_PT11_llS6_llS4_PT12_llPT13_lli,comdat
.Lfunc_end461:
	.size	_ZN12_GLOBAL__N_127rocblas_gemm_batched_kernelIfLi16ELi16ELi32ELi32ELi8ELi32ELi8ELi8ELi32ELc78ELc67EK16rocblas_bfloat16KffEEvlllT_PT11_llS6_llS4_PT12_llPT13_lli, .Lfunc_end461-_ZN12_GLOBAL__N_127rocblas_gemm_batched_kernelIfLi16ELi16ELi32ELi32ELi8ELi32ELi8ELi8ELi32ELc78ELc67EK16rocblas_bfloat16KffEEvlllT_PT11_llS6_llS4_PT12_llPT13_lli
                                        ; -- End function
	.set _ZN12_GLOBAL__N_127rocblas_gemm_batched_kernelIfLi16ELi16ELi32ELi32ELi8ELi32ELi8ELi8ELi32ELc78ELc67EK16rocblas_bfloat16KffEEvlllT_PT11_llS6_llS4_PT12_llPT13_lli.num_vgpr, 56
	.set _ZN12_GLOBAL__N_127rocblas_gemm_batched_kernelIfLi16ELi16ELi32ELi32ELi8ELi32ELi8ELi8ELi32ELc78ELc67EK16rocblas_bfloat16KffEEvlllT_PT11_llS6_llS4_PT12_llPT13_lli.num_agpr, 0
	.set _ZN12_GLOBAL__N_127rocblas_gemm_batched_kernelIfLi16ELi16ELi32ELi32ELi8ELi32ELi8ELi8ELi32ELc78ELc67EK16rocblas_bfloat16KffEEvlllT_PT11_llS6_llS4_PT12_llPT13_lli.numbered_sgpr, 38
	.set _ZN12_GLOBAL__N_127rocblas_gemm_batched_kernelIfLi16ELi16ELi32ELi32ELi8ELi32ELi8ELi8ELi32ELc78ELc67EK16rocblas_bfloat16KffEEvlllT_PT11_llS6_llS4_PT12_llPT13_lli.num_named_barrier, 0
	.set _ZN12_GLOBAL__N_127rocblas_gemm_batched_kernelIfLi16ELi16ELi32ELi32ELi8ELi32ELi8ELi8ELi32ELc78ELc67EK16rocblas_bfloat16KffEEvlllT_PT11_llS6_llS4_PT12_llPT13_lli.private_seg_size, 0
	.set _ZN12_GLOBAL__N_127rocblas_gemm_batched_kernelIfLi16ELi16ELi32ELi32ELi8ELi32ELi8ELi8ELi32ELc78ELc67EK16rocblas_bfloat16KffEEvlllT_PT11_llS6_llS4_PT12_llPT13_lli.uses_vcc, 1
	.set _ZN12_GLOBAL__N_127rocblas_gemm_batched_kernelIfLi16ELi16ELi32ELi32ELi8ELi32ELi8ELi8ELi32ELc78ELc67EK16rocblas_bfloat16KffEEvlllT_PT11_llS6_llS4_PT12_llPT13_lli.uses_flat_scratch, 0
	.set _ZN12_GLOBAL__N_127rocblas_gemm_batched_kernelIfLi16ELi16ELi32ELi32ELi8ELi32ELi8ELi8ELi32ELc78ELc67EK16rocblas_bfloat16KffEEvlllT_PT11_llS6_llS4_PT12_llPT13_lli.has_dyn_sized_stack, 0
	.set _ZN12_GLOBAL__N_127rocblas_gemm_batched_kernelIfLi16ELi16ELi32ELi32ELi8ELi32ELi8ELi8ELi32ELc78ELc67EK16rocblas_bfloat16KffEEvlllT_PT11_llS6_llS4_PT12_llPT13_lli.has_recursion, 0
	.set _ZN12_GLOBAL__N_127rocblas_gemm_batched_kernelIfLi16ELi16ELi32ELi32ELi8ELi32ELi8ELi8ELi32ELc78ELc67EK16rocblas_bfloat16KffEEvlllT_PT11_llS6_llS4_PT12_llPT13_lli.has_indirect_call, 0
	.section	.AMDGPU.csdata,"",@progbits
; Kernel info:
; codeLenInByte = 1376
; TotalNumSgprs: 40
; NumVgprs: 56
; ScratchSize: 0
; MemoryBound: 0
; FloatMode: 240
; IeeeMode: 1
; LDSByteSize: 2048 bytes/workgroup (compile time only)
; SGPRBlocks: 0
; VGPRBlocks: 3
; NumSGPRsForWavesPerEU: 40
; NumVGPRsForWavesPerEU: 56
; NamedBarCnt: 0
; Occupancy: 16
; WaveLimiterHint : 0
; COMPUTE_PGM_RSRC2:SCRATCH_EN: 0
; COMPUTE_PGM_RSRC2:USER_SGPR: 2
; COMPUTE_PGM_RSRC2:TRAP_HANDLER: 0
; COMPUTE_PGM_RSRC2:TGID_X_EN: 1
; COMPUTE_PGM_RSRC2:TGID_Y_EN: 1
; COMPUTE_PGM_RSRC2:TGID_Z_EN: 1
; COMPUTE_PGM_RSRC2:TIDIG_COMP_CNT: 1
	.section	.text._ZN12_GLOBAL__N_127rocblas_gemm_batched_kernelIfLi16ELi16ELi32ELi32ELi8ELi32ELi8ELi8ELi32ELc84ELc67EK16rocblas_bfloat16KffEEvlllT_PT11_llS6_llS4_PT12_llPT13_lli,"axG",@progbits,_ZN12_GLOBAL__N_127rocblas_gemm_batched_kernelIfLi16ELi16ELi32ELi32ELi8ELi32ELi8ELi8ELi32ELc84ELc67EK16rocblas_bfloat16KffEEvlllT_PT11_llS6_llS4_PT12_llPT13_lli,comdat
	.globl	_ZN12_GLOBAL__N_127rocblas_gemm_batched_kernelIfLi16ELi16ELi32ELi32ELi8ELi32ELi8ELi8ELi32ELc84ELc67EK16rocblas_bfloat16KffEEvlllT_PT11_llS6_llS4_PT12_llPT13_lli ; -- Begin function _ZN12_GLOBAL__N_127rocblas_gemm_batched_kernelIfLi16ELi16ELi32ELi32ELi8ELi32ELi8ELi8ELi32ELc84ELc67EK16rocblas_bfloat16KffEEvlllT_PT11_llS6_llS4_PT12_llPT13_lli
	.p2align	8
	.type	_ZN12_GLOBAL__N_127rocblas_gemm_batched_kernelIfLi16ELi16ELi32ELi32ELi8ELi32ELi8ELi8ELi32ELc84ELc67EK16rocblas_bfloat16KffEEvlllT_PT11_llS6_llS4_PT12_llPT13_lli,@function
_ZN12_GLOBAL__N_127rocblas_gemm_batched_kernelIfLi16ELi16ELi32ELi32ELi8ELi32ELi8ELi8ELi32ELc84ELc67EK16rocblas_bfloat16KffEEvlllT_PT11_llS6_llS4_PT12_llPT13_lli: ; @_ZN12_GLOBAL__N_127rocblas_gemm_batched_kernelIfLi16ELi16ELi32ELi32ELi8ELi32ELi8ELi8ELi32ELc84ELc67EK16rocblas_bfloat16KffEEvlllT_PT11_llS6_llS4_PT12_llPT13_lli
; %bb.0:
	s_load_b32 s31, s[0:1], 0x88
	s_bfe_u32 s2, ttmp6, 0x40014
	s_lshr_b32 s3, ttmp7, 16
	s_add_co_i32 s2, s2, 1
	s_bfe_u32 s4, ttmp6, 0x40008
	s_mul_i32 s2, s3, s2
	s_getreg_b32 s28, hwreg(HW_REG_IB_STS2, 6, 4)
	s_add_co_i32 s4, s4, s2
	s_cmp_eq_u32 s28, 0
	s_cselect_b32 s2, s3, s4
	s_mov_b32 s3, 0
	s_wait_kmcnt 0x0
	s_cmp_ge_i32 s2, s31
	s_cbranch_scc1 .LBB462_10
; %bb.1:
	v_bfe_u32 v2, v0, 10, 10
	v_and_b32_e32 v4, 0x3ff, v0
	s_bfe_u32 s29, ttmp6, 0x4000c
	s_bfe_u32 s33, ttmp6, 0x40010
	s_add_co_i32 s29, s29, 1
	s_and_b32 s34, ttmp7, 0xffff
	s_add_co_i32 s33, s33, 1
	s_clause 0x3
	s_load_b256 s[12:19], s[0:1], 0x20
	s_load_b128 s[24:27], s[0:1], 0x40
	s_load_b128 s[20:23], s[0:1], 0x78
	s_load_b256 s[4:11], s[0:1], 0x58
	s_and_b32 s30, ttmp6, 15
	s_mul_i32 s29, ttmp9, s29
	s_mul_i32 s33, s34, s33
	s_bfe_u32 s35, ttmp6, 0x40004
	v_lshl_add_u32 v5, v2, 4, v4
	s_add_co_i32 s30, s30, s29
	s_add_co_i32 s35, s35, s33
	s_cmp_eq_u32 s28, 0
	s_delay_alu instid0(VALU_DEP_1)
	v_dual_mov_b32 v3, 0 :: v_dual_bitop2_b32 v16, 31, v5 bitop3:0x40
	s_cselect_b32 s28, ttmp9, s30
	s_cselect_b32 s30, s34, s35
	s_ashr_i32 s29, s28, 31
	s_lshl_b32 s36, s30, 5
	s_lshl_b64 s[34:35], s[28:29], 5
	s_mov_b32 s37, s3
	v_dual_mov_b32 v7, s35 :: v_dual_bitop2_b32 v6, s34, v16 bitop3:0x54
	v_add_nc_u64_e32 v[8:9], s[36:37], v[2:3]
	v_dual_lshrrev_b32 v10, 3, v5 :: v_dual_bitop2_b32 v17, 7, v0 bitop3:0x40
	v_mov_b32_e32 v11, v3
	s_wait_kmcnt 0x0
	v_mul_u64_e32 v[6:7], s[14:15], v[6:7]
	s_clause 0x1
	s_load_b32 s33, s[0:1], 0x50
	s_load_b96 s[28:30], s[0:1], 0x10
	v_mul_u64_e32 v[12:13], s[6:7], v[8:9]
	v_mul_u64_e32 v[0:1], s[20:21], v[8:9]
	v_lshrrev_b32_e32 v8, 5, v5
	v_mad_nc_u64_u32 v[14:15], s24, v17, v[10:11]
	v_dual_lshlrev_b32 v11, 2, v17 :: v_dual_lshlrev_b32 v9, 2, v16
	v_dual_mov_b32 v5, v3 :: v_dual_lshlrev_b32 v20, 2, v4
	v_lshl_add_u32 v21, v2, 5, 0x400
	s_delay_alu instid0(VALU_DEP_3)
	v_lshl_or_b32 v10, v10, 5, v11
	v_lshlrev_b32_e32 v2, 1, v8
	v_lshl_or_b32 v18, v8, 7, v9
	v_add_nc_u64_e32 v[8:9], s[34:35], v[4:5]
	v_mad_u32 v15, s25, v17, v15
	v_add_nc_u32_e32 v19, 0x400, v10
	s_wait_kmcnt 0x0
	s_cmp_eq_f32 s33, 0
	v_cmp_gt_i64_e64 s0, s[28:29], 0
	s_cselect_b32 s1, -1, 0
	s_lshl_b64 s[14:15], s[20:21], 4
	s_lshl_b64 s[6:7], s[6:7], 4
	v_add_nc_u64_e32 v[10:11], s[36:37], v[14:15]
	v_cndmask_b32_e64 v14, 0, 1, s0
	s_lshl_b64 s[16:17], s[16:17], 1
	v_lshl_add_u64 v[4:5], v[6:7], 1, v[2:3]
	v_lshlrev_b64_e32 v[6:7], 2, v[8:9]
	s_delay_alu instid0(VALU_DEP_3)
	v_cmp_ne_u32_e64 s0, 1, v14
	v_lshl_add_u64 v[2:3], v[12:13], 2, s[4:5]
	v_lshl_add_u64 v[8:9], v[10:11], 1, s[18:19]
	v_add_nc_u64_e32 v[4:5], s[12:13], v[4:5]
	s_lshl_b64 s[4:5], s[26:27], 1
	s_lshl_b64 s[12:13], s[24:25], 4
	s_branch .LBB462_3
.LBB462_2:                              ;   in Loop: Header=BB462_3 Depth=1
	s_add_co_i32 s2, s2, 0x10000
	s_delay_alu instid0(SALU_CYCLE_1)
	s_cmp_lt_i32 s2, s31
	s_cbranch_scc0 .LBB462_10
.LBB462_3:                              ; =>This Loop Header: Depth=1
                                        ;     Child Loop BB462_5 Depth 2
	s_wait_xcnt 0x0
	v_dual_mov_b32 v13, 0 :: v_dual_mov_b32 v12, 0
	v_dual_mov_b32 v11, 0 :: v_dual_mov_b32 v10, 0
	s_and_b32 vcc_lo, exec_lo, s0
	s_cbranch_vccnz .LBB462_6
; %bb.4:                                ;   in Loop: Header=BB462_3 Depth=1
	v_mad_nc_u64_u32 v[14:15], s4, s2, v[8:9]
	v_mad_nc_u64_u32 v[16:17], s16, s2, v[4:5]
	v_mov_b32_e32 v10, 0
	s_mov_b64 s[18:19], 0
	s_delay_alu instid0(VALU_DEP_1)
	v_dual_mov_b32 v11, v10 :: v_dual_mov_b32 v12, v10
	v_mov_b32_e32 v13, v10
	v_mad_u32 v15, s5, s2, v15
	v_mad_u32 v17, s17, s2, v17
.LBB462_5:                              ;   Parent Loop BB462_3 Depth=1
                                        ; =>  This Inner Loop Header: Depth=2
	global_load_u16 v22, v[16:17], off
	global_load_u16 v23, v[14:15], off
	s_add_nc_u64 s[18:19], s[18:19], 8
	s_wait_xcnt 0x0
	v_add_nc_u64_e32 v[14:15], s[12:13], v[14:15]
	v_cmp_lt_i64_e64 s20, s[18:19], s[28:29]
	v_add_nc_u64_e32 v[16:17], 16, v[16:17]
	s_and_b32 vcc_lo, exec_lo, s20
	s_wait_loadcnt 0x0
	v_dual_lshlrev_b32 v22, 16, v22 :: v_dual_lshlrev_b32 v23, 16, v23
	ds_store_b32 v18, v22
	ds_store_b32 v19, v23
	s_wait_dscnt 0x0
	s_barrier_signal -1
	s_barrier_wait -1
	ds_load_2addr_b32 v[38:39], v20 offset1:16
	ds_load_2addr_b32 v[40:41], v20 offset0:32 offset1:48
	ds_load_b128 v[22:25], v21
	ds_load_2addr_b32 v[42:43], v20 offset0:64 offset1:80
	ds_load_b128 v[26:29], v21 offset:512
	ds_load_2addr_b32 v[44:45], v20 offset0:96 offset1:112
	ds_load_b128 v[30:33], v21 offset:16
	;; [unrolled: 2-line block ×3, first 2 shown]
	ds_load_2addr_b32 v[48:49], v20 offset0:160 offset1:176
	ds_load_2addr_b32 v[50:51], v20 offset0:192 offset1:208
	;; [unrolled: 1-line block ×3, first 2 shown]
	s_wait_dscnt 0x0
	s_barrier_signal -1
	s_barrier_wait -1
	v_dual_mov_b32 v54, v39 :: v_dual_mov_b32 v55, v38
	v_dual_mov_b32 v38, v41 :: v_dual_mov_b32 v39, v40
	;; [unrolled: 1-line block ×3, first 2 shown]
	s_delay_alu instid0(VALU_DEP_3) | instskip(SKIP_3) | instid1(VALU_DEP_4)
	v_pk_fma_f32 v[12:13], v[54:55], v[22:23], v[12:13] op_sel_hi:[1,0,1]
	v_pk_fma_f32 v[10:11], v[54:55], v[26:27], v[10:11] op_sel_hi:[1,0,1]
	v_dual_mov_b32 v42, v45 :: v_dual_mov_b32 v43, v44
	v_mov_b32_e32 v44, v25
	v_pk_fma_f32 v[12:13], v[38:39], v[22:23], v[12:13] op_sel:[0,1,0]
	s_delay_alu instid0(VALU_DEP_4) | instskip(SKIP_2) | instid1(VALU_DEP_4)
	v_pk_fma_f32 v[10:11], v[38:39], v[26:27], v[10:11] op_sel:[0,1,0]
	v_dual_mov_b32 v22, v29 :: v_dual_mov_b32 v26, v53
	v_mov_b32_e32 v27, v52
	v_pk_fma_f32 v[12:13], v[40:41], v[24:25], v[12:13] op_sel_hi:[1,0,1]
	s_delay_alu instid0(VALU_DEP_4) | instskip(SKIP_2) | instid1(VALU_DEP_4)
	v_pk_fma_f32 v[10:11], v[40:41], v[28:29], v[10:11] op_sel_hi:[1,0,1]
	v_dual_mov_b32 v24, v47 :: v_dual_mov_b32 v25, v46
	v_mov_b32_e32 v28, v37
	v_pk_fma_f32 v[12:13], v[42:43], v[44:45], v[12:13] op_sel_hi:[1,0,1]
	s_delay_alu instid0(VALU_DEP_4) | instskip(SKIP_1) | instid1(VALU_DEP_3)
	v_pk_fma_f32 v[10:11], v[42:43], v[22:23], v[10:11] op_sel_hi:[1,0,1]
	v_dual_mov_b32 v22, v49 :: v_dual_mov_b32 v23, v48
	v_pk_fma_f32 v[12:13], v[24:25], v[30:31], v[12:13] op_sel_hi:[1,0,1]
	s_delay_alu instid0(VALU_DEP_3) | instskip(SKIP_1) | instid1(VALU_DEP_3)
	v_pk_fma_f32 v[10:11], v[24:25], v[34:35], v[10:11] op_sel_hi:[1,0,1]
	v_dual_mov_b32 v24, v51 :: v_dual_mov_b32 v25, v50
	v_pk_fma_f32 v[12:13], v[22:23], v[30:31], v[12:13] op_sel:[0,1,0]
	s_delay_alu instid0(VALU_DEP_3) | instskip(SKIP_1) | instid1(VALU_DEP_3)
	v_pk_fma_f32 v[10:11], v[22:23], v[34:35], v[10:11] op_sel:[0,1,0]
	v_mov_b32_e32 v22, v33
	v_pk_fma_f32 v[12:13], v[24:25], v[32:33], v[12:13] op_sel_hi:[1,0,1]
	s_delay_alu instid0(VALU_DEP_3) | instskip(NEXT) | instid1(VALU_DEP_2)
	v_pk_fma_f32 v[10:11], v[24:25], v[36:37], v[10:11] op_sel_hi:[1,0,1]
	v_pk_fma_f32 v[12:13], v[26:27], v[22:23], v[12:13] op_sel_hi:[1,0,1]
	s_delay_alu instid0(VALU_DEP_2)
	v_pk_fma_f32 v[10:11], v[26:27], v[28:29], v[10:11] op_sel_hi:[1,0,1]
	s_cbranch_vccnz .LBB462_5
.LBB462_6:                              ;   in Loop: Header=BB462_3 Depth=1
	s_mul_u64 s[18:19], s[22:23], s[2:3]
	s_and_not1_b32 vcc_lo, exec_lo, s1
	s_lshl_b64 s[18:19], s[18:19], 2
	s_delay_alu instid0(SALU_CYCLE_1) | instskip(NEXT) | instid1(SALU_CYCLE_1)
	s_add_nc_u64 s[18:19], s[10:11], s[18:19]
	v_lshl_add_u64 v[14:15], v[0:1], 2, s[18:19]
	s_delay_alu instid0(VALU_DEP_1)
	v_add_nc_u64_e32 v[16:17], v[14:15], v[6:7]
	v_lshl_add_u64 v[14:15], s[14:15], 2, v[14:15]
	s_cbranch_vccnz .LBB462_8
; %bb.7:                                ;   in Loop: Header=BB462_3 Depth=1
	s_delay_alu instid0(VALU_DEP_1)
	v_add_nc_u64_e32 v[22:23], v[14:15], v[6:7]
	v_dual_mul_f32 v24, s30, v13 :: v_dual_mul_f32 v25, s30, v12
	v_dual_mul_f32 v26, s30, v11 :: v_dual_mul_f32 v27, s30, v10
	s_clause 0x3
	global_store_b32 v[16:17], v24, off
	global_store_b32 v[16:17], v25, off offset:64
	global_store_b32 v[22:23], v26, off
	global_store_b32 v[22:23], v27, off offset:64
	s_cbranch_execnz .LBB462_2
	s_branch .LBB462_9
.LBB462_8:                              ;   in Loop: Header=BB462_3 Depth=1
.LBB462_9:                              ;   in Loop: Header=BB462_3 Depth=1
	s_mul_u64 s[18:19], s[8:9], s[2:3]
	s_wait_xcnt 0x0
	v_lshl_add_u64 v[22:23], s[18:19], 2, v[2:3]
	s_delay_alu instid0(VALU_DEP_1) | instskip(SKIP_1) | instid1(VALU_DEP_1)
	v_add_nc_u64_e32 v[24:25], v[22:23], v[6:7]
	v_lshl_add_u64 v[22:23], s[6:7], 2, v[22:23]
	v_add_nc_u64_e32 v[22:23], v[22:23], v[6:7]
	global_load_b32 v26, v[24:25], off
	s_wait_loadcnt 0x0
	v_mul_f32_e32 v26, s33, v26
	s_delay_alu instid0(VALU_DEP_1) | instskip(SKIP_4) | instid1(VALU_DEP_1)
	v_fmac_f32_e32 v26, s30, v13
	global_store_b32 v[16:17], v26, off
	global_load_b32 v13, v[24:25], off offset:64
	s_wait_loadcnt 0x0
	v_mul_f32_e32 v13, s33, v13
	v_fmac_f32_e32 v13, s30, v12
	global_store_b32 v[16:17], v13, off offset:64
	global_load_b32 v12, v[22:23], off
	s_wait_loadcnt 0x0
	s_wait_xcnt 0x1
	v_mul_f32_e32 v16, s33, v12
	v_add_nc_u64_e32 v[12:13], v[14:15], v[6:7]
	s_delay_alu instid0(VALU_DEP_2) | instskip(SKIP_4) | instid1(VALU_DEP_1)
	v_fmac_f32_e32 v16, s30, v11
	global_store_b32 v[12:13], v16, off
	global_load_b32 v11, v[22:23], off offset:64
	s_wait_loadcnt 0x0
	v_mul_f32_e32 v11, s33, v11
	v_fmac_f32_e32 v11, s30, v10
	global_store_b32 v[12:13], v11, off offset:64
	s_branch .LBB462_2
.LBB462_10:
	s_endpgm
	.section	.rodata,"a",@progbits
	.p2align	6, 0x0
	.amdhsa_kernel _ZN12_GLOBAL__N_127rocblas_gemm_batched_kernelIfLi16ELi16ELi32ELi32ELi8ELi32ELi8ELi8ELi32ELc84ELc67EK16rocblas_bfloat16KffEEvlllT_PT11_llS6_llS4_PT12_llPT13_lli
		.amdhsa_group_segment_fixed_size 2048
		.amdhsa_private_segment_fixed_size 0
		.amdhsa_kernarg_size 140
		.amdhsa_user_sgpr_count 2
		.amdhsa_user_sgpr_dispatch_ptr 0
		.amdhsa_user_sgpr_queue_ptr 0
		.amdhsa_user_sgpr_kernarg_segment_ptr 1
		.amdhsa_user_sgpr_dispatch_id 0
		.amdhsa_user_sgpr_kernarg_preload_length 0
		.amdhsa_user_sgpr_kernarg_preload_offset 0
		.amdhsa_user_sgpr_private_segment_size 0
		.amdhsa_wavefront_size32 1
		.amdhsa_uses_dynamic_stack 0
		.amdhsa_enable_private_segment 0
		.amdhsa_system_sgpr_workgroup_id_x 1
		.amdhsa_system_sgpr_workgroup_id_y 1
		.amdhsa_system_sgpr_workgroup_id_z 1
		.amdhsa_system_sgpr_workgroup_info 0
		.amdhsa_system_vgpr_workitem_id 1
		.amdhsa_next_free_vgpr 56
		.amdhsa_next_free_sgpr 38
		.amdhsa_named_barrier_count 0
		.amdhsa_reserve_vcc 1
		.amdhsa_float_round_mode_32 0
		.amdhsa_float_round_mode_16_64 0
		.amdhsa_float_denorm_mode_32 3
		.amdhsa_float_denorm_mode_16_64 3
		.amdhsa_fp16_overflow 0
		.amdhsa_memory_ordered 1
		.amdhsa_forward_progress 1
		.amdhsa_inst_pref_size 11
		.amdhsa_round_robin_scheduling 0
		.amdhsa_exception_fp_ieee_invalid_op 0
		.amdhsa_exception_fp_denorm_src 0
		.amdhsa_exception_fp_ieee_div_zero 0
		.amdhsa_exception_fp_ieee_overflow 0
		.amdhsa_exception_fp_ieee_underflow 0
		.amdhsa_exception_fp_ieee_inexact 0
		.amdhsa_exception_int_div_zero 0
	.end_amdhsa_kernel
	.section	.text._ZN12_GLOBAL__N_127rocblas_gemm_batched_kernelIfLi16ELi16ELi32ELi32ELi8ELi32ELi8ELi8ELi32ELc84ELc67EK16rocblas_bfloat16KffEEvlllT_PT11_llS6_llS4_PT12_llPT13_lli,"axG",@progbits,_ZN12_GLOBAL__N_127rocblas_gemm_batched_kernelIfLi16ELi16ELi32ELi32ELi8ELi32ELi8ELi8ELi32ELc84ELc67EK16rocblas_bfloat16KffEEvlllT_PT11_llS6_llS4_PT12_llPT13_lli,comdat
.Lfunc_end462:
	.size	_ZN12_GLOBAL__N_127rocblas_gemm_batched_kernelIfLi16ELi16ELi32ELi32ELi8ELi32ELi8ELi8ELi32ELc84ELc67EK16rocblas_bfloat16KffEEvlllT_PT11_llS6_llS4_PT12_llPT13_lli, .Lfunc_end462-_ZN12_GLOBAL__N_127rocblas_gemm_batched_kernelIfLi16ELi16ELi32ELi32ELi8ELi32ELi8ELi8ELi32ELc84ELc67EK16rocblas_bfloat16KffEEvlllT_PT11_llS6_llS4_PT12_llPT13_lli
                                        ; -- End function
	.set _ZN12_GLOBAL__N_127rocblas_gemm_batched_kernelIfLi16ELi16ELi32ELi32ELi8ELi32ELi8ELi8ELi32ELc84ELc67EK16rocblas_bfloat16KffEEvlllT_PT11_llS6_llS4_PT12_llPT13_lli.num_vgpr, 56
	.set _ZN12_GLOBAL__N_127rocblas_gemm_batched_kernelIfLi16ELi16ELi32ELi32ELi8ELi32ELi8ELi8ELi32ELc84ELc67EK16rocblas_bfloat16KffEEvlllT_PT11_llS6_llS4_PT12_llPT13_lli.num_agpr, 0
	.set _ZN12_GLOBAL__N_127rocblas_gemm_batched_kernelIfLi16ELi16ELi32ELi32ELi8ELi32ELi8ELi8ELi32ELc84ELc67EK16rocblas_bfloat16KffEEvlllT_PT11_llS6_llS4_PT12_llPT13_lli.numbered_sgpr, 38
	.set _ZN12_GLOBAL__N_127rocblas_gemm_batched_kernelIfLi16ELi16ELi32ELi32ELi8ELi32ELi8ELi8ELi32ELc84ELc67EK16rocblas_bfloat16KffEEvlllT_PT11_llS6_llS4_PT12_llPT13_lli.num_named_barrier, 0
	.set _ZN12_GLOBAL__N_127rocblas_gemm_batched_kernelIfLi16ELi16ELi32ELi32ELi8ELi32ELi8ELi8ELi32ELc84ELc67EK16rocblas_bfloat16KffEEvlllT_PT11_llS6_llS4_PT12_llPT13_lli.private_seg_size, 0
	.set _ZN12_GLOBAL__N_127rocblas_gemm_batched_kernelIfLi16ELi16ELi32ELi32ELi8ELi32ELi8ELi8ELi32ELc84ELc67EK16rocblas_bfloat16KffEEvlllT_PT11_llS6_llS4_PT12_llPT13_lli.uses_vcc, 1
	.set _ZN12_GLOBAL__N_127rocblas_gemm_batched_kernelIfLi16ELi16ELi32ELi32ELi8ELi32ELi8ELi8ELi32ELc84ELc67EK16rocblas_bfloat16KffEEvlllT_PT11_llS6_llS4_PT12_llPT13_lli.uses_flat_scratch, 0
	.set _ZN12_GLOBAL__N_127rocblas_gemm_batched_kernelIfLi16ELi16ELi32ELi32ELi8ELi32ELi8ELi8ELi32ELc84ELc67EK16rocblas_bfloat16KffEEvlllT_PT11_llS6_llS4_PT12_llPT13_lli.has_dyn_sized_stack, 0
	.set _ZN12_GLOBAL__N_127rocblas_gemm_batched_kernelIfLi16ELi16ELi32ELi32ELi8ELi32ELi8ELi8ELi32ELc84ELc67EK16rocblas_bfloat16KffEEvlllT_PT11_llS6_llS4_PT12_llPT13_lli.has_recursion, 0
	.set _ZN12_GLOBAL__N_127rocblas_gemm_batched_kernelIfLi16ELi16ELi32ELi32ELi8ELi32ELi8ELi8ELi32ELc84ELc67EK16rocblas_bfloat16KffEEvlllT_PT11_llS6_llS4_PT12_llPT13_lli.has_indirect_call, 0
	.section	.AMDGPU.csdata,"",@progbits
; Kernel info:
; codeLenInByte = 1380
; TotalNumSgprs: 40
; NumVgprs: 56
; ScratchSize: 0
; MemoryBound: 0
; FloatMode: 240
; IeeeMode: 1
; LDSByteSize: 2048 bytes/workgroup (compile time only)
; SGPRBlocks: 0
; VGPRBlocks: 3
; NumSGPRsForWavesPerEU: 40
; NumVGPRsForWavesPerEU: 56
; NamedBarCnt: 0
; Occupancy: 16
; WaveLimiterHint : 0
; COMPUTE_PGM_RSRC2:SCRATCH_EN: 0
; COMPUTE_PGM_RSRC2:USER_SGPR: 2
; COMPUTE_PGM_RSRC2:TRAP_HANDLER: 0
; COMPUTE_PGM_RSRC2:TGID_X_EN: 1
; COMPUTE_PGM_RSRC2:TGID_Y_EN: 1
; COMPUTE_PGM_RSRC2:TGID_Z_EN: 1
; COMPUTE_PGM_RSRC2:TIDIG_COMP_CNT: 1
	.section	.text._ZN12_GLOBAL__N_135rocblas_gemm_batched_general_kernelIfLi16ELi16ELi32ELi32ELi8ELi32ELi8ELi8ELi32ELc78ELc78EK16rocblas_bfloat16KffEEvlllT_PT11_llS6_llS4_PT12_llPT13_lli,"axG",@progbits,_ZN12_GLOBAL__N_135rocblas_gemm_batched_general_kernelIfLi16ELi16ELi32ELi32ELi8ELi32ELi8ELi8ELi32ELc78ELc78EK16rocblas_bfloat16KffEEvlllT_PT11_llS6_llS4_PT12_llPT13_lli,comdat
	.globl	_ZN12_GLOBAL__N_135rocblas_gemm_batched_general_kernelIfLi16ELi16ELi32ELi32ELi8ELi32ELi8ELi8ELi32ELc78ELc78EK16rocblas_bfloat16KffEEvlllT_PT11_llS6_llS4_PT12_llPT13_lli ; -- Begin function _ZN12_GLOBAL__N_135rocblas_gemm_batched_general_kernelIfLi16ELi16ELi32ELi32ELi8ELi32ELi8ELi8ELi32ELc78ELc78EK16rocblas_bfloat16KffEEvlllT_PT11_llS6_llS4_PT12_llPT13_lli
	.p2align	8
	.type	_ZN12_GLOBAL__N_135rocblas_gemm_batched_general_kernelIfLi16ELi16ELi32ELi32ELi8ELi32ELi8ELi8ELi32ELc78ELc78EK16rocblas_bfloat16KffEEvlllT_PT11_llS6_llS4_PT12_llPT13_lli,@function
_ZN12_GLOBAL__N_135rocblas_gemm_batched_general_kernelIfLi16ELi16ELi32ELi32ELi8ELi32ELi8ELi8ELi32ELc78ELc78EK16rocblas_bfloat16KffEEvlllT_PT11_llS6_llS4_PT12_llPT13_lli: ; @_ZN12_GLOBAL__N_135rocblas_gemm_batched_general_kernelIfLi16ELi16ELi32ELi32ELi8ELi32ELi8ELi8ELi32ELc78ELc78EK16rocblas_bfloat16KffEEvlllT_PT11_llS6_llS4_PT12_llPT13_lli
; %bb.0:
	s_load_b32 s33, s[0:1], 0x88
	s_bfe_u32 s2, ttmp6, 0x40014
	s_lshr_b32 s3, ttmp7, 16
	s_add_co_i32 s2, s2, 1
	s_bfe_u32 s5, ttmp6, 0x40008
	s_mul_i32 s4, s3, s2
	s_getreg_b32 s2, hwreg(HW_REG_IB_STS2, 6, 4)
	s_add_co_i32 s5, s5, s4
	s_cmp_eq_u32 s2, 0
	s_mov_b32 s35, 0
	s_cselect_b32 s34, s3, s5
	s_wait_kmcnt 0x0
	s_cmp_ge_i32 s34, s33
	s_cbranch_scc1 .LBB463_34
; %bb.1:
	v_bfe_u32 v8, v0, 10, 10
	v_and_b32_e32 v10, 0x3ff, v0
	s_clause 0x1
	s_load_b256 s[16:23], s[0:1], 0x20
	s_load_b128 s[4:7], s[0:1], 0x40
	s_bfe_u32 s8, ttmp6, 0x4000c
	s_bfe_u32 s9, ttmp6, 0x40010
	s_add_co_i32 s8, s8, 1
	s_and_b32 s10, ttmp7, 0xffff
	s_add_co_i32 s9, s9, 1
	v_lshl_add_u32 v1, v8, 4, v10
	v_mov_b32_e32 v9, 0
	s_and_b32 s3, ttmp6, 15
	s_mul_i32 s8, ttmp9, s8
	s_mul_i32 s9, s10, s9
	s_bfe_u32 s11, ttmp6, 0x40004
	s_add_co_i32 s3, s3, s8
	s_add_co_i32 s11, s11, s9
	s_cmp_eq_u32 s2, 0
	v_dual_mov_b32 v5, v9 :: v_dual_lshrrev_b32 v4, 3, v1
	v_lshrrev_b32_e32 v2, 5, v1
	s_cselect_b32 s8, s10, s11
	s_cselect_b32 s2, ttmp9, s3
	s_lshl_b32 s36, s8, 5
	s_mov_b32 s37, s35
	s_load_b256 s[8:15], s[0:1], 0x58
	v_add_nc_u64_e32 v[12:13], s[36:37], v[4:5]
	v_dual_mov_b32 v3, v9 :: v_dual_bitop2_b32 v24, 31, v1 bitop3:0x40
	s_clause 0x2
	s_load_b128 s[28:31], s[0:1], 0x0
	s_load_b32 s41, s[0:1], 0x50
	s_load_b128 s[24:27], s[0:1], 0x78
	v_add_nc_u64_e32 v[18:19], s[36:37], v[8:9]
	s_ashr_i32 s3, s2, 31
	s_wait_kmcnt 0x0
	v_mul_u64_e32 v[16:17], s[18:19], v[2:3]
	v_mul_u64_e32 v[14:15], s[4:5], v[12:13]
	s_lshl_b64 s[4:5], s[2:3], 5
	s_delay_alu instid0(SALU_CYCLE_1) | instskip(SKIP_1) | instid1(VALU_DEP_2)
	v_dual_mov_b32 v7, s5 :: v_dual_bitop2_b32 v0, 7, v0 bitop3:0x40
	v_dual_lshlrev_b32 v5, 2, v24 :: v_dual_bitop2_b32 v6, s4, v24 bitop3:0x54
	v_dual_mov_b32 v11, v9 :: v_dual_lshlrev_b32 v22, 2, v0
	s_load_b96 s[36:38], s[0:1], 0x10
	v_mov_b32_e32 v1, v9
	s_delay_alu instid0(VALU_DEP_3)
	v_lshl_or_b32 v28, v2, 7, v5
	v_lshl_add_u32 v30, v8, 5, 0x400
	v_mul_u64_e32 v[20:21], s[10:11], v[18:19]
	v_lshl_or_b32 v22, v4, 5, v22
	s_wait_xcnt 0x0
	v_cmp_gt_i64_e64 s0, s[28:29], v[6:7]
	v_add_nc_u64_e32 v[6:7], s[4:5], v[10:11]
	v_mul_u64_e32 v[4:5], s[24:25], v[18:19]
	s_cmp_eq_f32 s41, 0
	v_lshlrev_b32_e32 v8, 1, v0
	v_cmp_gt_i64_e64 s1, s[30:31], v[12:13]
	v_add_nc_u32_e32 v29, 0x400, v22
	s_cselect_b32 s39, -1, 0
	v_add_nc_u64_e32 v[12:13], 16, v[6:7]
	s_lshl_b64 s[2:3], s[2:3], 6
	v_add_nc_u64_e32 v[22:23], 16, v[18:19]
	v_lshlrev_b32_e32 v31, 2, v10
	s_lshl_b64 s[24:25], s[24:25], 4
	s_lshl_b64 s[10:11], s[10:11], 4
	s_wait_kmcnt 0x0
	s_mov_b32 s40, s38
	v_cmp_gt_i64_e64 s4, s[28:29], v[12:13]
	s_lshl_b64 s[6:7], s[6:7], 1
	v_lshl_add_u64 v[16:17], v[16:17], 1, s[2:3]
	v_lshl_add_u64 v[14:15], v[14:15], 1, v[8:9]
	v_lshlrev_b32_e32 v8, 1, v24
	v_cmp_gt_i64_e64 s2, s[30:31], v[18:19]
	v_cmp_gt_i64_e64 s3, s[28:29], v[6:7]
	;; [unrolled: 1-line block ×3, first 2 shown]
	v_add_nc_u64_e32 v[10:11], s[22:23], v[14:15]
	v_add_nc_u64_e32 v[12:13], v[16:17], v[8:9]
	v_cmp_gt_i64_e64 s22, s[36:37], 0
	v_lshl_add_u64 v[8:9], v[20:21], 2, s[8:9]
	s_delay_alu instid0(VALU_DEP_3)
	v_add_nc_u64_e32 v[12:13], s[16:17], v[12:13]
	s_lshl_b64 s[8:9], s[20:21], 1
	s_lshl_b64 s[16:17], s[18:19], 4
	s_branch .LBB463_4
.LBB463_2:                              ;   in Loop: Header=BB463_4 Depth=1
	s_wait_xcnt 0x0
	s_or_b32 exec_lo, exec_lo, s20
.LBB463_3:                              ;   in Loop: Header=BB463_4 Depth=1
	s_add_co_i32 s34, s34, 0x10000
	s_delay_alu instid0(SALU_CYCLE_1)
	s_cmp_lt_i32 s34, s33
	s_cbranch_scc0 .LBB463_34
.LBB463_4:                              ; =>This Loop Header: Depth=1
                                        ;     Child Loop BB463_7 Depth 2
	v_dual_mov_b32 v17, 0 :: v_dual_mov_b32 v16, 0
	v_dual_mov_b32 v15, 0 :: v_dual_mov_b32 v14, 0
	s_and_not1_b32 vcc_lo, exec_lo, s22
	s_cbranch_vccnz .LBB463_11
; %bb.5:                                ;   in Loop: Header=BB463_4 Depth=1
	v_mad_nc_u64_u32 v[18:19], s6, s34, v[10:11]
	v_mad_nc_u64_u32 v[20:21], s8, s34, v[12:13]
	v_mov_b32_e32 v16, 0
	s_mov_b64 s[18:19], 0
	s_delay_alu instid0(VALU_DEP_1)
	v_dual_mov_b32 v17, v16 :: v_dual_mov_b32 v14, v16
	v_mov_b32_e32 v15, v16
	v_mad_u32 v19, s7, s34, v19
	v_mad_u32 v21, s9, s34, v21
	s_branch .LBB463_7
.LBB463_6:                              ;   in Loop: Header=BB463_7 Depth=2
	s_wait_xcnt 0x0
	s_or_b32 exec_lo, exec_lo, s20
	ds_store_b32 v29, v23
	s_wait_dscnt 0x0
	s_barrier_signal -1
	s_barrier_wait -1
	ds_load_b128 v[22:25], v30
	ds_load_2addr_b32 v[26:27], v31 offset1:16
	ds_load_b128 v[32:35], v30 offset:512
	ds_load_2addr_b32 v[44:45], v31 offset0:32 offset1:48
	ds_load_2addr_b32 v[46:47], v31 offset0:64 offset1:80
	;; [unrolled: 1-line block ×3, first 2 shown]
	ds_load_b128 v[36:39], v30 offset:16
	ds_load_2addr_b32 v[50:51], v31 offset0:128 offset1:144
	ds_load_b128 v[40:43], v30 offset:528
	s_add_nc_u64 s[18:19], s[18:19], 8
	v_add_nc_u64_e32 v[18:19], 16, v[18:19]
	v_cmp_lt_i64_e64 s20, s[18:19], s[36:37]
	v_add_nc_u64_e32 v[20:21], s[16:17], v[20:21]
	s_and_b32 vcc_lo, exec_lo, s20
	s_wait_dscnt 0x7
	v_pk_fma_f32 v[16:17], v[26:27], v[22:23], v[16:17] op_sel_hi:[1,0,1]
	s_wait_dscnt 0x6
	v_pk_fma_f32 v[14:15], v[26:27], v[32:33], v[14:15] op_sel_hi:[1,0,1]
	ds_load_2addr_b32 v[26:27], v31 offset0:160 offset1:176
	s_wait_dscnt 0x6
	v_pk_fma_f32 v[16:17], v[44:45], v[22:23], v[16:17] op_sel:[0,1,0]
	v_pk_fma_f32 v[14:15], v[44:45], v[32:33], v[14:15] op_sel:[0,1,0]
	ds_load_2addr_b32 v[22:23], v31 offset0:192 offset1:208
	v_dual_mov_b32 v32, v25 :: v_dual_mov_b32 v44, v35
	s_wait_dscnt 0x6
	v_pk_fma_f32 v[16:17], v[46:47], v[24:25], v[16:17] op_sel_hi:[1,0,1]
	v_pk_fma_f32 v[14:15], v[46:47], v[34:35], v[14:15] op_sel_hi:[1,0,1]
	ds_load_2addr_b32 v[24:25], v31 offset0:224 offset1:240
	s_wait_dscnt 0x0
	s_barrier_signal -1
	v_pk_fma_f32 v[16:17], v[48:49], v[32:33], v[16:17] op_sel_hi:[1,0,1]
	v_pk_fma_f32 v[14:15], v[48:49], v[44:45], v[14:15] op_sel_hi:[1,0,1]
	s_barrier_wait -1
	v_mov_b32_e32 v32, v43
	s_delay_alu instid0(VALU_DEP_3) | instskip(NEXT) | instid1(VALU_DEP_3)
	v_pk_fma_f32 v[16:17], v[50:51], v[36:37], v[16:17] op_sel_hi:[1,0,1]
	v_pk_fma_f32 v[14:15], v[50:51], v[40:41], v[14:15] op_sel_hi:[1,0,1]
	s_delay_alu instid0(VALU_DEP_2) | instskip(NEXT) | instid1(VALU_DEP_2)
	v_pk_fma_f32 v[16:17], v[26:27], v[36:37], v[16:17] op_sel:[0,1,0]
	v_pk_fma_f32 v[14:15], v[26:27], v[40:41], v[14:15] op_sel:[0,1,0]
	v_mov_b32_e32 v26, v39
	s_delay_alu instid0(VALU_DEP_3) | instskip(NEXT) | instid1(VALU_DEP_3)
	v_pk_fma_f32 v[16:17], v[22:23], v[38:39], v[16:17] op_sel_hi:[1,0,1]
	v_pk_fma_f32 v[14:15], v[22:23], v[42:43], v[14:15] op_sel_hi:[1,0,1]
	s_delay_alu instid0(VALU_DEP_2) | instskip(NEXT) | instid1(VALU_DEP_2)
	v_pk_fma_f32 v[16:17], v[24:25], v[26:27], v[16:17] op_sel_hi:[1,0,1]
	v_pk_fma_f32 v[14:15], v[24:25], v[32:33], v[14:15] op_sel_hi:[1,0,1]
	s_cbranch_vccz .LBB463_11
.LBB463_7:                              ;   Parent Loop BB463_4 Depth=1
                                        ; =>  This Inner Loop Header: Depth=2
	v_add_nc_u64_e32 v[22:23], s[18:19], v[2:3]
	s_delay_alu instid0(VALU_DEP_1) | instskip(SKIP_2) | instid1(SALU_CYCLE_1)
	v_cmp_gt_i64_e32 vcc_lo, s[36:37], v[22:23]
	v_mov_b32_e32 v22, 0
	s_and_b32 s21, s0, vcc_lo
	s_and_saveexec_b32 s20, s21
	s_cbranch_execz .LBB463_9
; %bb.8:                                ;   in Loop: Header=BB463_7 Depth=2
	global_load_u16 v22, v[20:21], off
	s_wait_loadcnt 0x0
	v_lshlrev_b32_e32 v22, 16, v22
.LBB463_9:                              ;   in Loop: Header=BB463_7 Depth=2
	s_wait_xcnt 0x0
	s_or_b32 exec_lo, exec_lo, s20
	v_add_nc_u64_e32 v[24:25], s[18:19], v[0:1]
	v_mov_b32_e32 v23, 0
	ds_store_b32 v28, v22
	v_cmp_gt_i64_e32 vcc_lo, s[36:37], v[24:25]
	s_and_b32 s21, vcc_lo, s1
	s_delay_alu instid0(SALU_CYCLE_1)
	s_and_saveexec_b32 s20, s21
	s_cbranch_execz .LBB463_6
; %bb.10:                               ;   in Loop: Header=BB463_7 Depth=2
	global_load_u16 v22, v[18:19], off
	s_wait_loadcnt 0x0
	v_lshlrev_b32_e32 v23, 16, v22
	s_branch .LBB463_6
.LBB463_11:                             ;   in Loop: Header=BB463_4 Depth=1
	s_mul_u64 s[18:19], s[26:27], s[34:35]
	s_and_not1_b32 vcc_lo, exec_lo, s39
	s_lshl_b64 s[18:19], s[18:19], 2
	s_delay_alu instid0(SALU_CYCLE_1)
	s_add_nc_u64 s[18:19], s[14:15], s[18:19]
	s_cbranch_vccnz .LBB463_16
; %bb.12:                               ;   in Loop: Header=BB463_4 Depth=1
	s_and_saveexec_b32 s20, s2
	s_cbranch_execz .LBB463_23
; %bb.13:                               ;   in Loop: Header=BB463_4 Depth=1
	v_lshl_add_u64 v[18:19], v[4:5], 2, s[18:19]
	s_delay_alu instid0(VALU_DEP_1)
	v_lshl_add_u64 v[20:21], v[6:7], 2, v[18:19]
	s_and_saveexec_b32 s21, s3
	s_cbranch_execnz .LBB463_17
; %bb.14:                               ;   in Loop: Header=BB463_4 Depth=1
	s_or_b32 exec_lo, exec_lo, s21
	s_and_saveexec_b32 s21, s4
	s_cbranch_execnz .LBB463_18
.LBB463_15:                             ;   in Loop: Header=BB463_4 Depth=1
	s_or_b32 exec_lo, exec_lo, s21
	s_delay_alu instid0(SALU_CYCLE_1)
	s_and_b32 exec_lo, exec_lo, s5
	s_cbranch_execnz .LBB463_19
	s_branch .LBB463_23
.LBB463_16:                             ;   in Loop: Header=BB463_4 Depth=1
	s_branch .LBB463_24
.LBB463_17:                             ;   in Loop: Header=BB463_4 Depth=1
	v_mul_f32_e32 v22, s38, v16
	global_store_b32 v[20:21], v22, off
	s_wait_xcnt 0x0
	s_or_b32 exec_lo, exec_lo, s21
	s_and_saveexec_b32 s21, s4
	s_cbranch_execz .LBB463_15
.LBB463_18:                             ;   in Loop: Header=BB463_4 Depth=1
	v_mul_f32_e32 v22, s38, v17
	global_store_b32 v[20:21], v22, off offset:64
	s_wait_xcnt 0x0
	s_or_b32 exec_lo, exec_lo, s21
	s_delay_alu instid0(SALU_CYCLE_1)
	s_and_b32 exec_lo, exec_lo, s5
	s_cbranch_execz .LBB463_23
.LBB463_19:                             ;   in Loop: Header=BB463_4 Depth=1
	v_lshl_add_u64 v[18:19], s[24:25], 2, v[18:19]
	s_delay_alu instid0(VALU_DEP_1)
	v_lshl_add_u64 v[18:19], v[6:7], 2, v[18:19]
	s_and_saveexec_b32 s21, s3
	s_cbranch_execz .LBB463_21
; %bb.20:                               ;   in Loop: Header=BB463_4 Depth=1
	v_mul_f32_e32 v20, s38, v14
	global_store_b32 v[18:19], v20, off
.LBB463_21:                             ;   in Loop: Header=BB463_4 Depth=1
	s_wait_xcnt 0x0
	s_or_b32 exec_lo, exec_lo, s21
	s_delay_alu instid0(SALU_CYCLE_1)
	s_and_b32 exec_lo, exec_lo, s4
	s_cbranch_execz .LBB463_23
; %bb.22:                               ;   in Loop: Header=BB463_4 Depth=1
	v_mul_f32_e32 v20, s38, v15
	global_store_b32 v[18:19], v20, off offset:64
.LBB463_23:                             ;   in Loop: Header=BB463_4 Depth=1
	s_wait_xcnt 0x0
	s_or_b32 exec_lo, exec_lo, s20
	s_cbranch_execnz .LBB463_3
.LBB463_24:                             ;   in Loop: Header=BB463_4 Depth=1
	s_and_saveexec_b32 s20, s2
	s_cbranch_execz .LBB463_2
; %bb.25:                               ;   in Loop: Header=BB463_4 Depth=1
	s_mul_u64 s[28:29], s[12:13], s[34:35]
	v_lshlrev_b64_e32 v[18:19], 2, v[6:7]
	v_lshl_add_u64 v[20:21], s[28:29], 2, v[8:9]
	v_lshl_add_u64 v[22:23], v[4:5], 2, s[18:19]
	s_delay_alu instid0(VALU_DEP_2) | instskip(NEXT) | instid1(VALU_DEP_2)
	v_add_nc_u64_e32 v[26:27], v[20:21], v[18:19]
	v_add_nc_u64_e32 v[24:25], v[22:23], v[18:19]
	s_and_saveexec_b32 s18, s3
	s_cbranch_execnz .LBB463_28
; %bb.26:                               ;   in Loop: Header=BB463_4 Depth=1
	s_or_b32 exec_lo, exec_lo, s18
	s_and_saveexec_b32 s18, s4
	s_cbranch_execnz .LBB463_29
.LBB463_27:                             ;   in Loop: Header=BB463_4 Depth=1
	s_or_b32 exec_lo, exec_lo, s18
	s_delay_alu instid0(SALU_CYCLE_1)
	s_and_b32 exec_lo, exec_lo, s5
	s_cbranch_execz .LBB463_2
	s_branch .LBB463_30
.LBB463_28:                             ;   in Loop: Header=BB463_4 Depth=1
	global_load_b32 v33, v[26:27], off
	v_mov_b64_e32 v[34:35], s[40:41]
	v_mov_b32_e32 v32, v16
	s_wait_loadcnt 0x0
	s_delay_alu instid0(VALU_DEP_1) | instskip(NEXT) | instid1(VALU_DEP_1)
	v_pk_mul_f32 v[32:33], v[34:35], v[32:33]
	v_add_f32_e32 v16, v32, v33
	global_store_b32 v[24:25], v16, off
	s_wait_xcnt 0x0
	s_or_b32 exec_lo, exec_lo, s18
	s_and_saveexec_b32 s18, s4
	s_cbranch_execz .LBB463_27
.LBB463_29:                             ;   in Loop: Header=BB463_4 Depth=1
	global_load_b32 v27, v[26:27], off offset:64
	s_wait_xcnt 0x0
	v_mov_b32_e32 v26, v17
	v_mov_b64_e32 v[16:17], s[40:41]
	s_wait_loadcnt 0x0
	s_delay_alu instid0(VALU_DEP_1) | instskip(NEXT) | instid1(VALU_DEP_1)
	v_pk_mul_f32 v[16:17], v[16:17], v[26:27]
	v_add_f32_e32 v16, v16, v17
	global_store_b32 v[24:25], v16, off offset:64
	s_wait_xcnt 0x0
	s_or_b32 exec_lo, exec_lo, s18
	s_delay_alu instid0(SALU_CYCLE_1)
	s_and_b32 exec_lo, exec_lo, s5
	s_cbranch_execz .LBB463_2
.LBB463_30:                             ;   in Loop: Header=BB463_4 Depth=1
	v_lshl_add_u64 v[16:17], s[10:11], 2, v[20:21]
	v_lshl_add_u64 v[22:23], s[24:25], 2, v[22:23]
	s_delay_alu instid0(VALU_DEP_2) | instskip(NEXT) | instid1(VALU_DEP_2)
	v_add_nc_u64_e32 v[20:21], v[16:17], v[18:19]
	v_add_nc_u64_e32 v[16:17], v[22:23], v[18:19]
	s_and_saveexec_b32 s18, s3
	s_cbranch_execz .LBB463_32
; %bb.31:                               ;   in Loop: Header=BB463_4 Depth=1
	global_load_b32 v19, v[20:21], off
	v_mov_b64_e32 v[22:23], s[40:41]
	v_mov_b32_e32 v18, v14
	s_wait_loadcnt 0x0
	s_delay_alu instid0(VALU_DEP_1) | instskip(NEXT) | instid1(VALU_DEP_1)
	v_pk_mul_f32 v[18:19], v[22:23], v[18:19]
	v_add_f32_e32 v14, v18, v19
	global_store_b32 v[16:17], v14, off
.LBB463_32:                             ;   in Loop: Header=BB463_4 Depth=1
	s_wait_xcnt 0x0
	s_or_b32 exec_lo, exec_lo, s18
	s_delay_alu instid0(SALU_CYCLE_1)
	s_and_b32 exec_lo, exec_lo, s4
	s_cbranch_execz .LBB463_2
; %bb.33:                               ;   in Loop: Header=BB463_4 Depth=1
	global_load_b32 v19, v[20:21], off offset:64
	v_mov_b32_e32 v18, v15
	v_mov_b64_e32 v[14:15], s[40:41]
	s_wait_loadcnt 0x0
	s_delay_alu instid0(VALU_DEP_1) | instskip(NEXT) | instid1(VALU_DEP_1)
	v_pk_mul_f32 v[14:15], v[14:15], v[18:19]
	v_add_f32_e32 v14, v14, v15
	global_store_b32 v[16:17], v14, off offset:64
	s_branch .LBB463_2
.LBB463_34:
	s_endpgm
	.section	.rodata,"a",@progbits
	.p2align	6, 0x0
	.amdhsa_kernel _ZN12_GLOBAL__N_135rocblas_gemm_batched_general_kernelIfLi16ELi16ELi32ELi32ELi8ELi32ELi8ELi8ELi32ELc78ELc78EK16rocblas_bfloat16KffEEvlllT_PT11_llS6_llS4_PT12_llPT13_lli
		.amdhsa_group_segment_fixed_size 2048
		.amdhsa_private_segment_fixed_size 0
		.amdhsa_kernarg_size 140
		.amdhsa_user_sgpr_count 2
		.amdhsa_user_sgpr_dispatch_ptr 0
		.amdhsa_user_sgpr_queue_ptr 0
		.amdhsa_user_sgpr_kernarg_segment_ptr 1
		.amdhsa_user_sgpr_dispatch_id 0
		.amdhsa_user_sgpr_kernarg_preload_length 0
		.amdhsa_user_sgpr_kernarg_preload_offset 0
		.amdhsa_user_sgpr_private_segment_size 0
		.amdhsa_wavefront_size32 1
		.amdhsa_uses_dynamic_stack 0
		.amdhsa_enable_private_segment 0
		.amdhsa_system_sgpr_workgroup_id_x 1
		.amdhsa_system_sgpr_workgroup_id_y 1
		.amdhsa_system_sgpr_workgroup_id_z 1
		.amdhsa_system_sgpr_workgroup_info 0
		.amdhsa_system_vgpr_workitem_id 1
		.amdhsa_next_free_vgpr 52
		.amdhsa_next_free_sgpr 42
		.amdhsa_named_barrier_count 0
		.amdhsa_reserve_vcc 1
		.amdhsa_float_round_mode_32 0
		.amdhsa_float_round_mode_16_64 0
		.amdhsa_float_denorm_mode_32 3
		.amdhsa_float_denorm_mode_16_64 3
		.amdhsa_fp16_overflow 0
		.amdhsa_memory_ordered 1
		.amdhsa_forward_progress 1
		.amdhsa_inst_pref_size 14
		.amdhsa_round_robin_scheduling 0
		.amdhsa_exception_fp_ieee_invalid_op 0
		.amdhsa_exception_fp_denorm_src 0
		.amdhsa_exception_fp_ieee_div_zero 0
		.amdhsa_exception_fp_ieee_overflow 0
		.amdhsa_exception_fp_ieee_underflow 0
		.amdhsa_exception_fp_ieee_inexact 0
		.amdhsa_exception_int_div_zero 0
	.end_amdhsa_kernel
	.section	.text._ZN12_GLOBAL__N_135rocblas_gemm_batched_general_kernelIfLi16ELi16ELi32ELi32ELi8ELi32ELi8ELi8ELi32ELc78ELc78EK16rocblas_bfloat16KffEEvlllT_PT11_llS6_llS4_PT12_llPT13_lli,"axG",@progbits,_ZN12_GLOBAL__N_135rocblas_gemm_batched_general_kernelIfLi16ELi16ELi32ELi32ELi8ELi32ELi8ELi8ELi32ELc78ELc78EK16rocblas_bfloat16KffEEvlllT_PT11_llS6_llS4_PT12_llPT13_lli,comdat
.Lfunc_end463:
	.size	_ZN12_GLOBAL__N_135rocblas_gemm_batched_general_kernelIfLi16ELi16ELi32ELi32ELi8ELi32ELi8ELi8ELi32ELc78ELc78EK16rocblas_bfloat16KffEEvlllT_PT11_llS6_llS4_PT12_llPT13_lli, .Lfunc_end463-_ZN12_GLOBAL__N_135rocblas_gemm_batched_general_kernelIfLi16ELi16ELi32ELi32ELi8ELi32ELi8ELi8ELi32ELc78ELc78EK16rocblas_bfloat16KffEEvlllT_PT11_llS6_llS4_PT12_llPT13_lli
                                        ; -- End function
	.set _ZN12_GLOBAL__N_135rocblas_gemm_batched_general_kernelIfLi16ELi16ELi32ELi32ELi8ELi32ELi8ELi8ELi32ELc78ELc78EK16rocblas_bfloat16KffEEvlllT_PT11_llS6_llS4_PT12_llPT13_lli.num_vgpr, 52
	.set _ZN12_GLOBAL__N_135rocblas_gemm_batched_general_kernelIfLi16ELi16ELi32ELi32ELi8ELi32ELi8ELi8ELi32ELc78ELc78EK16rocblas_bfloat16KffEEvlllT_PT11_llS6_llS4_PT12_llPT13_lli.num_agpr, 0
	.set _ZN12_GLOBAL__N_135rocblas_gemm_batched_general_kernelIfLi16ELi16ELi32ELi32ELi8ELi32ELi8ELi8ELi32ELc78ELc78EK16rocblas_bfloat16KffEEvlllT_PT11_llS6_llS4_PT12_llPT13_lli.numbered_sgpr, 42
	.set _ZN12_GLOBAL__N_135rocblas_gemm_batched_general_kernelIfLi16ELi16ELi32ELi32ELi8ELi32ELi8ELi8ELi32ELc78ELc78EK16rocblas_bfloat16KffEEvlllT_PT11_llS6_llS4_PT12_llPT13_lli.num_named_barrier, 0
	.set _ZN12_GLOBAL__N_135rocblas_gemm_batched_general_kernelIfLi16ELi16ELi32ELi32ELi8ELi32ELi8ELi8ELi32ELc78ELc78EK16rocblas_bfloat16KffEEvlllT_PT11_llS6_llS4_PT12_llPT13_lli.private_seg_size, 0
	.set _ZN12_GLOBAL__N_135rocblas_gemm_batched_general_kernelIfLi16ELi16ELi32ELi32ELi8ELi32ELi8ELi8ELi32ELc78ELc78EK16rocblas_bfloat16KffEEvlllT_PT11_llS6_llS4_PT12_llPT13_lli.uses_vcc, 1
	.set _ZN12_GLOBAL__N_135rocblas_gemm_batched_general_kernelIfLi16ELi16ELi32ELi32ELi8ELi32ELi8ELi8ELi32ELc78ELc78EK16rocblas_bfloat16KffEEvlllT_PT11_llS6_llS4_PT12_llPT13_lli.uses_flat_scratch, 0
	.set _ZN12_GLOBAL__N_135rocblas_gemm_batched_general_kernelIfLi16ELi16ELi32ELi32ELi8ELi32ELi8ELi8ELi32ELc78ELc78EK16rocblas_bfloat16KffEEvlllT_PT11_llS6_llS4_PT12_llPT13_lli.has_dyn_sized_stack, 0
	.set _ZN12_GLOBAL__N_135rocblas_gemm_batched_general_kernelIfLi16ELi16ELi32ELi32ELi8ELi32ELi8ELi8ELi32ELc78ELc78EK16rocblas_bfloat16KffEEvlllT_PT11_llS6_llS4_PT12_llPT13_lli.has_recursion, 0
	.set _ZN12_GLOBAL__N_135rocblas_gemm_batched_general_kernelIfLi16ELi16ELi32ELi32ELi8ELi32ELi8ELi8ELi32ELc78ELc78EK16rocblas_bfloat16KffEEvlllT_PT11_llS6_llS4_PT12_llPT13_lli.has_indirect_call, 0
	.section	.AMDGPU.csdata,"",@progbits
; Kernel info:
; codeLenInByte = 1772
; TotalNumSgprs: 44
; NumVgprs: 52
; ScratchSize: 0
; MemoryBound: 0
; FloatMode: 240
; IeeeMode: 1
; LDSByteSize: 2048 bytes/workgroup (compile time only)
; SGPRBlocks: 0
; VGPRBlocks: 3
; NumSGPRsForWavesPerEU: 44
; NumVGPRsForWavesPerEU: 52
; NamedBarCnt: 0
; Occupancy: 16
; WaveLimiterHint : 0
; COMPUTE_PGM_RSRC2:SCRATCH_EN: 0
; COMPUTE_PGM_RSRC2:USER_SGPR: 2
; COMPUTE_PGM_RSRC2:TRAP_HANDLER: 0
; COMPUTE_PGM_RSRC2:TGID_X_EN: 1
; COMPUTE_PGM_RSRC2:TGID_Y_EN: 1
; COMPUTE_PGM_RSRC2:TGID_Z_EN: 1
; COMPUTE_PGM_RSRC2:TIDIG_COMP_CNT: 1
	.section	.text._ZN12_GLOBAL__N_135rocblas_gemm_batched_general_kernelIfLi16ELi16ELi32ELi32ELi8ELi32ELi8ELi8ELi32ELc84ELc78EK16rocblas_bfloat16KffEEvlllT_PT11_llS6_llS4_PT12_llPT13_lli,"axG",@progbits,_ZN12_GLOBAL__N_135rocblas_gemm_batched_general_kernelIfLi16ELi16ELi32ELi32ELi8ELi32ELi8ELi8ELi32ELc84ELc78EK16rocblas_bfloat16KffEEvlllT_PT11_llS6_llS4_PT12_llPT13_lli,comdat
	.globl	_ZN12_GLOBAL__N_135rocblas_gemm_batched_general_kernelIfLi16ELi16ELi32ELi32ELi8ELi32ELi8ELi8ELi32ELc84ELc78EK16rocblas_bfloat16KffEEvlllT_PT11_llS6_llS4_PT12_llPT13_lli ; -- Begin function _ZN12_GLOBAL__N_135rocblas_gemm_batched_general_kernelIfLi16ELi16ELi32ELi32ELi8ELi32ELi8ELi8ELi32ELc84ELc78EK16rocblas_bfloat16KffEEvlllT_PT11_llS6_llS4_PT12_llPT13_lli
	.p2align	8
	.type	_ZN12_GLOBAL__N_135rocblas_gemm_batched_general_kernelIfLi16ELi16ELi32ELi32ELi8ELi32ELi8ELi8ELi32ELc84ELc78EK16rocblas_bfloat16KffEEvlllT_PT11_llS6_llS4_PT12_llPT13_lli,@function
_ZN12_GLOBAL__N_135rocblas_gemm_batched_general_kernelIfLi16ELi16ELi32ELi32ELi8ELi32ELi8ELi8ELi32ELc84ELc78EK16rocblas_bfloat16KffEEvlllT_PT11_llS6_llS4_PT12_llPT13_lli: ; @_ZN12_GLOBAL__N_135rocblas_gemm_batched_general_kernelIfLi16ELi16ELi32ELi32ELi8ELi32ELi8ELi8ELi32ELc84ELc78EK16rocblas_bfloat16KffEEvlllT_PT11_llS6_llS4_PT12_llPT13_lli
; %bb.0:
	s_load_b32 s33, s[0:1], 0x88
	s_bfe_u32 s2, ttmp6, 0x40014
	s_lshr_b32 s3, ttmp7, 16
	s_add_co_i32 s2, s2, 1
	s_bfe_u32 s5, ttmp6, 0x40008
	s_mul_i32 s4, s3, s2
	s_getreg_b32 s2, hwreg(HW_REG_IB_STS2, 6, 4)
	s_add_co_i32 s5, s5, s4
	s_cmp_eq_u32 s2, 0
	s_mov_b32 s35, 0
	s_cselect_b32 s34, s3, s5
	s_wait_kmcnt 0x0
	s_cmp_ge_i32 s34, s33
	s_cbranch_scc1 .LBB464_34
; %bb.1:
	v_bfe_u32 v8, v0, 10, 10
	v_and_b32_e32 v10, 0x3ff, v0
	s_bfe_u32 s3, ttmp6, 0x4000c
	s_bfe_u32 s25, ttmp6, 0x40010
	s_clause 0x2
	s_load_b256 s[16:23], s[0:1], 0x20
	s_load_b128 s[4:7], s[0:1], 0x40
	s_load_b256 s[8:15], s[0:1], 0x58
	s_add_co_i32 s3, s3, 1
	s_and_b32 s26, ttmp7, 0xffff
	s_add_co_i32 s25, s25, 1
	v_lshl_add_u32 v1, v8, 4, v10
	v_mov_b32_e32 v9, 0
	s_and_b32 s24, ttmp6, 15
	s_mul_i32 s3, ttmp9, s3
	s_mul_i32 s25, s26, s25
	s_bfe_u32 s27, ttmp6, 0x40004
	s_add_co_i32 s24, s24, s3
	s_add_co_i32 s27, s27, s25
	s_cmp_eq_u32 s2, 0
	v_dual_mov_b32 v7, v9 :: v_dual_lshrrev_b32 v6, 3, v1
	v_and_b32_e32 v4, 31, v1
	s_cselect_b32 s3, s26, s27
	s_cselect_b32 s2, ttmp9, s24
	s_lshl_b32 s36, s3, 5
	s_mov_b32 s37, s35
	s_ashr_i32 s3, s2, 31
	v_add_nc_u64_e32 v[12:13], s[36:37], v[6:7]
	s_clause 0x1
	s_load_b32 s41, s[0:1], 0x50
	s_load_b128 s[24:27], s[0:1], 0x78
	s_lshl_b64 s[2:3], s[2:3], 5
	v_add_nc_u64_e32 v[18:19], s[36:37], v[8:9]
	v_dual_mov_b32 v15, s3 :: v_dual_bitop2_b32 v14, s2, v4 bitop3:0x54
	s_wait_kmcnt 0x0
	v_mul_u64_e32 v[16:17], s[4:5], v[12:13]
	s_clause 0x1
	s_load_b128 s[28:31], s[0:1], 0x0
	s_load_b96 s[36:38], s[0:1], 0x10
	v_dual_mov_b32 v3, v9 :: v_dual_lshlrev_b32 v24, 2, v4
	v_mul_u64_e32 v[20:21], s[18:19], v[14:15]
	v_mul_u64_e32 v[22:23], s[10:11], v[18:19]
	v_dual_mov_b32 v11, v9 :: v_dual_bitop2_b32 v0, 7, v0 bitop3:0x40
	v_dual_mov_b32 v1, v9 :: v_dual_lshrrev_b32 v2, 5, v1
	v_lshl_add_u32 v30, v8, 5, 0x400
	s_delay_alu instid0(VALU_DEP_3) | instskip(SKIP_3) | instid1(VALU_DEP_3)
	v_dual_lshlrev_b32 v7, 2, v0 :: v_dual_lshlrev_b32 v8, 1, v0
	v_lshlrev_b32_e32 v31, 2, v10
	v_mul_u64_e32 v[4:5], s[24:25], v[18:19]
	s_cmp_eq_f32 s41, 0
	v_lshl_or_b32 v25, v6, 5, v7
	v_add_nc_u64_e32 v[6:7], s[2:3], v[10:11]
	v_lshl_or_b32 v28, v2, 7, v24
	s_cselect_b32 s39, -1, 0
	s_wait_kmcnt 0x0
	v_cmp_gt_i64_e64 s1, s[30:31], v[12:13]
	v_add_nc_u64_e32 v[12:13], 16, v[18:19]
	v_cmp_gt_i64_e64 s0, s[28:29], v[14:15]
	v_cmp_gt_i64_e64 s2, s[30:31], v[18:19]
	v_add_nc_u64_e32 v[10:11], 16, v[6:7]
	v_cmp_gt_i64_e64 s3, s[28:29], v[6:7]
	v_add_nc_u32_e32 v29, 0x400, v25
	s_lshl_b64 s[18:19], s[24:25], 4
	v_cmp_gt_i64_e64 s5, s[30:31], v[12:13]
	s_mov_b32 s40, s38
	s_lshl_b64 s[6:7], s[6:7], 1
	v_lshl_add_u64 v[14:15], v[16:17], 1, v[8:9]
	v_lshlrev_b32_e32 v8, 1, v2
	v_cmp_gt_i64_e64 s4, s[28:29], v[10:11]
	s_delay_alu instid0(VALU_DEP_3) | instskip(NEXT) | instid1(VALU_DEP_3)
	v_add_nc_u64_e32 v[10:11], s[22:23], v[14:15]
	v_lshl_add_u64 v[12:13], v[20:21], 1, v[8:9]
	v_cmp_gt_i64_e64 s22, s[36:37], 0
	v_lshl_add_u64 v[8:9], v[22:23], 2, s[8:9]
	s_lshl_b64 s[8:9], s[10:11], 4
	s_lshl_b64 s[10:11], s[20:21], 1
	v_add_nc_u64_e32 v[12:13], s[16:17], v[12:13]
	s_branch .LBB464_4
.LBB464_2:                              ;   in Loop: Header=BB464_4 Depth=1
	s_wait_xcnt 0x0
	s_or_b32 exec_lo, exec_lo, s20
.LBB464_3:                              ;   in Loop: Header=BB464_4 Depth=1
	s_add_co_i32 s34, s34, 0x10000
	s_delay_alu instid0(SALU_CYCLE_1)
	s_cmp_lt_i32 s34, s33
	s_cbranch_scc0 .LBB464_34
.LBB464_4:                              ; =>This Loop Header: Depth=1
                                        ;     Child Loop BB464_7 Depth 2
	v_dual_mov_b32 v17, 0 :: v_dual_mov_b32 v16, 0
	v_dual_mov_b32 v15, 0 :: v_dual_mov_b32 v14, 0
	s_and_not1_b32 vcc_lo, exec_lo, s22
	s_cbranch_vccnz .LBB464_11
; %bb.5:                                ;   in Loop: Header=BB464_4 Depth=1
	v_mad_nc_u64_u32 v[18:19], s6, s34, v[10:11]
	v_mad_nc_u64_u32 v[20:21], s10, s34, v[12:13]
	v_mov_b32_e32 v16, 0
	s_mov_b64 s[16:17], 0
	s_delay_alu instid0(VALU_DEP_1)
	v_dual_mov_b32 v17, v16 :: v_dual_mov_b32 v14, v16
	v_mov_b32_e32 v15, v16
	v_mad_u32 v19, s7, s34, v19
	v_mad_u32 v21, s11, s34, v21
	s_branch .LBB464_7
.LBB464_6:                              ;   in Loop: Header=BB464_7 Depth=2
	s_wait_xcnt 0x0
	s_or_b32 exec_lo, exec_lo, s20
	ds_store_b32 v29, v23
	s_wait_dscnt 0x0
	s_barrier_signal -1
	s_barrier_wait -1
	ds_load_b128 v[22:25], v30
	ds_load_2addr_b32 v[26:27], v31 offset1:16
	ds_load_b128 v[32:35], v30 offset:512
	ds_load_2addr_b32 v[44:45], v31 offset0:32 offset1:48
	ds_load_2addr_b32 v[46:47], v31 offset0:64 offset1:80
	ds_load_2addr_b32 v[48:49], v31 offset0:96 offset1:112
	ds_load_b128 v[36:39], v30 offset:16
	ds_load_2addr_b32 v[50:51], v31 offset0:128 offset1:144
	ds_load_b128 v[40:43], v30 offset:528
	s_add_nc_u64 s[16:17], s[16:17], 8
	v_add_nc_u64_e32 v[18:19], 16, v[18:19]
	v_cmp_lt_i64_e64 s20, s[16:17], s[36:37]
	v_add_nc_u64_e32 v[20:21], 16, v[20:21]
	s_and_b32 vcc_lo, exec_lo, s20
	s_wait_dscnt 0x7
	v_pk_fma_f32 v[16:17], v[26:27], v[22:23], v[16:17] op_sel_hi:[1,0,1]
	s_wait_dscnt 0x6
	v_pk_fma_f32 v[14:15], v[26:27], v[32:33], v[14:15] op_sel_hi:[1,0,1]
	ds_load_2addr_b32 v[26:27], v31 offset0:160 offset1:176
	s_wait_dscnt 0x6
	v_pk_fma_f32 v[16:17], v[44:45], v[22:23], v[16:17] op_sel:[0,1,0]
	v_pk_fma_f32 v[14:15], v[44:45], v[32:33], v[14:15] op_sel:[0,1,0]
	ds_load_2addr_b32 v[22:23], v31 offset0:192 offset1:208
	v_dual_mov_b32 v32, v25 :: v_dual_mov_b32 v44, v35
	s_wait_dscnt 0x6
	v_pk_fma_f32 v[16:17], v[46:47], v[24:25], v[16:17] op_sel_hi:[1,0,1]
	v_pk_fma_f32 v[14:15], v[46:47], v[34:35], v[14:15] op_sel_hi:[1,0,1]
	ds_load_2addr_b32 v[24:25], v31 offset0:224 offset1:240
	s_wait_dscnt 0x0
	s_barrier_signal -1
	v_pk_fma_f32 v[16:17], v[48:49], v[32:33], v[16:17] op_sel_hi:[1,0,1]
	v_pk_fma_f32 v[14:15], v[48:49], v[44:45], v[14:15] op_sel_hi:[1,0,1]
	s_barrier_wait -1
	v_mov_b32_e32 v32, v43
	s_delay_alu instid0(VALU_DEP_3) | instskip(NEXT) | instid1(VALU_DEP_3)
	v_pk_fma_f32 v[16:17], v[50:51], v[36:37], v[16:17] op_sel_hi:[1,0,1]
	v_pk_fma_f32 v[14:15], v[50:51], v[40:41], v[14:15] op_sel_hi:[1,0,1]
	s_delay_alu instid0(VALU_DEP_2) | instskip(NEXT) | instid1(VALU_DEP_2)
	v_pk_fma_f32 v[16:17], v[26:27], v[36:37], v[16:17] op_sel:[0,1,0]
	v_pk_fma_f32 v[14:15], v[26:27], v[40:41], v[14:15] op_sel:[0,1,0]
	v_mov_b32_e32 v26, v39
	s_delay_alu instid0(VALU_DEP_3) | instskip(NEXT) | instid1(VALU_DEP_3)
	v_pk_fma_f32 v[16:17], v[22:23], v[38:39], v[16:17] op_sel_hi:[1,0,1]
	v_pk_fma_f32 v[14:15], v[22:23], v[42:43], v[14:15] op_sel_hi:[1,0,1]
	s_delay_alu instid0(VALU_DEP_2) | instskip(NEXT) | instid1(VALU_DEP_2)
	v_pk_fma_f32 v[16:17], v[24:25], v[26:27], v[16:17] op_sel_hi:[1,0,1]
	v_pk_fma_f32 v[14:15], v[24:25], v[32:33], v[14:15] op_sel_hi:[1,0,1]
	s_cbranch_vccz .LBB464_11
.LBB464_7:                              ;   Parent Loop BB464_4 Depth=1
                                        ; =>  This Inner Loop Header: Depth=2
	v_add_nc_u64_e32 v[22:23], s[16:17], v[2:3]
	s_delay_alu instid0(VALU_DEP_1) | instskip(SKIP_2) | instid1(SALU_CYCLE_1)
	v_cmp_gt_i64_e32 vcc_lo, s[36:37], v[22:23]
	v_mov_b32_e32 v22, 0
	s_and_b32 s21, s0, vcc_lo
	s_and_saveexec_b32 s20, s21
	s_cbranch_execz .LBB464_9
; %bb.8:                                ;   in Loop: Header=BB464_7 Depth=2
	global_load_u16 v22, v[20:21], off
	s_wait_loadcnt 0x0
	v_lshlrev_b32_e32 v22, 16, v22
.LBB464_9:                              ;   in Loop: Header=BB464_7 Depth=2
	s_wait_xcnt 0x0
	s_or_b32 exec_lo, exec_lo, s20
	v_add_nc_u64_e32 v[24:25], s[16:17], v[0:1]
	v_mov_b32_e32 v23, 0
	ds_store_b32 v28, v22
	v_cmp_gt_i64_e32 vcc_lo, s[36:37], v[24:25]
	s_and_b32 s21, vcc_lo, s1
	s_delay_alu instid0(SALU_CYCLE_1)
	s_and_saveexec_b32 s20, s21
	s_cbranch_execz .LBB464_6
; %bb.10:                               ;   in Loop: Header=BB464_7 Depth=2
	global_load_u16 v22, v[18:19], off
	s_wait_loadcnt 0x0
	v_lshlrev_b32_e32 v23, 16, v22
	s_branch .LBB464_6
.LBB464_11:                             ;   in Loop: Header=BB464_4 Depth=1
	s_mul_u64 s[16:17], s[26:27], s[34:35]
	s_and_not1_b32 vcc_lo, exec_lo, s39
	s_lshl_b64 s[16:17], s[16:17], 2
	s_delay_alu instid0(SALU_CYCLE_1)
	s_add_nc_u64 s[16:17], s[14:15], s[16:17]
	s_cbranch_vccnz .LBB464_16
; %bb.12:                               ;   in Loop: Header=BB464_4 Depth=1
	s_and_saveexec_b32 s20, s2
	s_cbranch_execz .LBB464_23
; %bb.13:                               ;   in Loop: Header=BB464_4 Depth=1
	v_lshl_add_u64 v[18:19], v[4:5], 2, s[16:17]
	s_delay_alu instid0(VALU_DEP_1)
	v_lshl_add_u64 v[20:21], v[6:7], 2, v[18:19]
	s_and_saveexec_b32 s21, s3
	s_cbranch_execnz .LBB464_17
; %bb.14:                               ;   in Loop: Header=BB464_4 Depth=1
	s_or_b32 exec_lo, exec_lo, s21
	s_and_saveexec_b32 s21, s4
	s_cbranch_execnz .LBB464_18
.LBB464_15:                             ;   in Loop: Header=BB464_4 Depth=1
	s_or_b32 exec_lo, exec_lo, s21
	s_delay_alu instid0(SALU_CYCLE_1)
	s_and_b32 exec_lo, exec_lo, s5
	s_cbranch_execnz .LBB464_19
	s_branch .LBB464_23
.LBB464_16:                             ;   in Loop: Header=BB464_4 Depth=1
	s_branch .LBB464_24
.LBB464_17:                             ;   in Loop: Header=BB464_4 Depth=1
	v_mul_f32_e32 v22, s38, v16
	global_store_b32 v[20:21], v22, off
	s_wait_xcnt 0x0
	s_or_b32 exec_lo, exec_lo, s21
	s_and_saveexec_b32 s21, s4
	s_cbranch_execz .LBB464_15
.LBB464_18:                             ;   in Loop: Header=BB464_4 Depth=1
	v_mul_f32_e32 v22, s38, v17
	global_store_b32 v[20:21], v22, off offset:64
	s_wait_xcnt 0x0
	s_or_b32 exec_lo, exec_lo, s21
	s_delay_alu instid0(SALU_CYCLE_1)
	s_and_b32 exec_lo, exec_lo, s5
	s_cbranch_execz .LBB464_23
.LBB464_19:                             ;   in Loop: Header=BB464_4 Depth=1
	v_lshl_add_u64 v[18:19], s[18:19], 2, v[18:19]
	s_delay_alu instid0(VALU_DEP_1)
	v_lshl_add_u64 v[18:19], v[6:7], 2, v[18:19]
	s_and_saveexec_b32 s21, s3
	s_cbranch_execz .LBB464_21
; %bb.20:                               ;   in Loop: Header=BB464_4 Depth=1
	v_mul_f32_e32 v20, s38, v14
	global_store_b32 v[18:19], v20, off
.LBB464_21:                             ;   in Loop: Header=BB464_4 Depth=1
	s_wait_xcnt 0x0
	s_or_b32 exec_lo, exec_lo, s21
	s_delay_alu instid0(SALU_CYCLE_1)
	s_and_b32 exec_lo, exec_lo, s4
	s_cbranch_execz .LBB464_23
; %bb.22:                               ;   in Loop: Header=BB464_4 Depth=1
	v_mul_f32_e32 v20, s38, v15
	global_store_b32 v[18:19], v20, off offset:64
.LBB464_23:                             ;   in Loop: Header=BB464_4 Depth=1
	s_wait_xcnt 0x0
	s_or_b32 exec_lo, exec_lo, s20
	s_cbranch_execnz .LBB464_3
.LBB464_24:                             ;   in Loop: Header=BB464_4 Depth=1
	s_and_saveexec_b32 s20, s2
	s_cbranch_execz .LBB464_2
; %bb.25:                               ;   in Loop: Header=BB464_4 Depth=1
	s_mul_u64 s[24:25], s[12:13], s[34:35]
	v_lshlrev_b64_e32 v[18:19], 2, v[6:7]
	v_lshl_add_u64 v[20:21], s[24:25], 2, v[8:9]
	v_lshl_add_u64 v[22:23], v[4:5], 2, s[16:17]
	s_delay_alu instid0(VALU_DEP_2) | instskip(NEXT) | instid1(VALU_DEP_2)
	v_add_nc_u64_e32 v[26:27], v[20:21], v[18:19]
	v_add_nc_u64_e32 v[24:25], v[22:23], v[18:19]
	s_and_saveexec_b32 s16, s3
	s_cbranch_execnz .LBB464_28
; %bb.26:                               ;   in Loop: Header=BB464_4 Depth=1
	s_or_b32 exec_lo, exec_lo, s16
	s_and_saveexec_b32 s16, s4
	s_cbranch_execnz .LBB464_29
.LBB464_27:                             ;   in Loop: Header=BB464_4 Depth=1
	s_or_b32 exec_lo, exec_lo, s16
	s_delay_alu instid0(SALU_CYCLE_1)
	s_and_b32 exec_lo, exec_lo, s5
	s_cbranch_execz .LBB464_2
	s_branch .LBB464_30
.LBB464_28:                             ;   in Loop: Header=BB464_4 Depth=1
	global_load_b32 v33, v[26:27], off
	v_mov_b64_e32 v[34:35], s[40:41]
	v_mov_b32_e32 v32, v16
	s_wait_loadcnt 0x0
	s_delay_alu instid0(VALU_DEP_1) | instskip(NEXT) | instid1(VALU_DEP_1)
	v_pk_mul_f32 v[32:33], v[34:35], v[32:33]
	v_add_f32_e32 v16, v32, v33
	global_store_b32 v[24:25], v16, off
	s_wait_xcnt 0x0
	s_or_b32 exec_lo, exec_lo, s16
	s_and_saveexec_b32 s16, s4
	s_cbranch_execz .LBB464_27
.LBB464_29:                             ;   in Loop: Header=BB464_4 Depth=1
	global_load_b32 v27, v[26:27], off offset:64
	s_wait_xcnt 0x0
	v_mov_b32_e32 v26, v17
	v_mov_b64_e32 v[16:17], s[40:41]
	s_wait_loadcnt 0x0
	s_delay_alu instid0(VALU_DEP_1) | instskip(NEXT) | instid1(VALU_DEP_1)
	v_pk_mul_f32 v[16:17], v[16:17], v[26:27]
	v_add_f32_e32 v16, v16, v17
	global_store_b32 v[24:25], v16, off offset:64
	s_wait_xcnt 0x0
	s_or_b32 exec_lo, exec_lo, s16
	s_delay_alu instid0(SALU_CYCLE_1)
	s_and_b32 exec_lo, exec_lo, s5
	s_cbranch_execz .LBB464_2
.LBB464_30:                             ;   in Loop: Header=BB464_4 Depth=1
	v_lshl_add_u64 v[16:17], s[8:9], 2, v[20:21]
	v_lshl_add_u64 v[22:23], s[18:19], 2, v[22:23]
	s_delay_alu instid0(VALU_DEP_2) | instskip(NEXT) | instid1(VALU_DEP_2)
	v_add_nc_u64_e32 v[20:21], v[16:17], v[18:19]
	v_add_nc_u64_e32 v[16:17], v[22:23], v[18:19]
	s_and_saveexec_b32 s16, s3
	s_cbranch_execz .LBB464_32
; %bb.31:                               ;   in Loop: Header=BB464_4 Depth=1
	global_load_b32 v19, v[20:21], off
	v_mov_b64_e32 v[22:23], s[40:41]
	v_mov_b32_e32 v18, v14
	s_wait_loadcnt 0x0
	s_delay_alu instid0(VALU_DEP_1) | instskip(NEXT) | instid1(VALU_DEP_1)
	v_pk_mul_f32 v[18:19], v[22:23], v[18:19]
	v_add_f32_e32 v14, v18, v19
	global_store_b32 v[16:17], v14, off
.LBB464_32:                             ;   in Loop: Header=BB464_4 Depth=1
	s_wait_xcnt 0x0
	s_or_b32 exec_lo, exec_lo, s16
	s_delay_alu instid0(SALU_CYCLE_1)
	s_and_b32 exec_lo, exec_lo, s4
	s_cbranch_execz .LBB464_2
; %bb.33:                               ;   in Loop: Header=BB464_4 Depth=1
	global_load_b32 v19, v[20:21], off offset:64
	v_mov_b32_e32 v18, v15
	v_mov_b64_e32 v[14:15], s[40:41]
	s_wait_loadcnt 0x0
	s_delay_alu instid0(VALU_DEP_1) | instskip(NEXT) | instid1(VALU_DEP_1)
	v_pk_mul_f32 v[14:15], v[14:15], v[18:19]
	v_add_f32_e32 v14, v14, v15
	global_store_b32 v[16:17], v14, off offset:64
	s_branch .LBB464_2
.LBB464_34:
	s_endpgm
	.section	.rodata,"a",@progbits
	.p2align	6, 0x0
	.amdhsa_kernel _ZN12_GLOBAL__N_135rocblas_gemm_batched_general_kernelIfLi16ELi16ELi32ELi32ELi8ELi32ELi8ELi8ELi32ELc84ELc78EK16rocblas_bfloat16KffEEvlllT_PT11_llS6_llS4_PT12_llPT13_lli
		.amdhsa_group_segment_fixed_size 2048
		.amdhsa_private_segment_fixed_size 0
		.amdhsa_kernarg_size 140
		.amdhsa_user_sgpr_count 2
		.amdhsa_user_sgpr_dispatch_ptr 0
		.amdhsa_user_sgpr_queue_ptr 0
		.amdhsa_user_sgpr_kernarg_segment_ptr 1
		.amdhsa_user_sgpr_dispatch_id 0
		.amdhsa_user_sgpr_kernarg_preload_length 0
		.amdhsa_user_sgpr_kernarg_preload_offset 0
		.amdhsa_user_sgpr_private_segment_size 0
		.amdhsa_wavefront_size32 1
		.amdhsa_uses_dynamic_stack 0
		.amdhsa_enable_private_segment 0
		.amdhsa_system_sgpr_workgroup_id_x 1
		.amdhsa_system_sgpr_workgroup_id_y 1
		.amdhsa_system_sgpr_workgroup_id_z 1
		.amdhsa_system_sgpr_workgroup_info 0
		.amdhsa_system_vgpr_workitem_id 1
		.amdhsa_next_free_vgpr 52
		.amdhsa_next_free_sgpr 42
		.amdhsa_named_barrier_count 0
		.amdhsa_reserve_vcc 1
		.amdhsa_float_round_mode_32 0
		.amdhsa_float_round_mode_16_64 0
		.amdhsa_float_denorm_mode_32 3
		.amdhsa_float_denorm_mode_16_64 3
		.amdhsa_fp16_overflow 0
		.amdhsa_memory_ordered 1
		.amdhsa_forward_progress 1
		.amdhsa_inst_pref_size 14
		.amdhsa_round_robin_scheduling 0
		.amdhsa_exception_fp_ieee_invalid_op 0
		.amdhsa_exception_fp_denorm_src 0
		.amdhsa_exception_fp_ieee_div_zero 0
		.amdhsa_exception_fp_ieee_overflow 0
		.amdhsa_exception_fp_ieee_underflow 0
		.amdhsa_exception_fp_ieee_inexact 0
		.amdhsa_exception_int_div_zero 0
	.end_amdhsa_kernel
	.section	.text._ZN12_GLOBAL__N_135rocblas_gemm_batched_general_kernelIfLi16ELi16ELi32ELi32ELi8ELi32ELi8ELi8ELi32ELc84ELc78EK16rocblas_bfloat16KffEEvlllT_PT11_llS6_llS4_PT12_llPT13_lli,"axG",@progbits,_ZN12_GLOBAL__N_135rocblas_gemm_batched_general_kernelIfLi16ELi16ELi32ELi32ELi8ELi32ELi8ELi8ELi32ELc84ELc78EK16rocblas_bfloat16KffEEvlllT_PT11_llS6_llS4_PT12_llPT13_lli,comdat
.Lfunc_end464:
	.size	_ZN12_GLOBAL__N_135rocblas_gemm_batched_general_kernelIfLi16ELi16ELi32ELi32ELi8ELi32ELi8ELi8ELi32ELc84ELc78EK16rocblas_bfloat16KffEEvlllT_PT11_llS6_llS4_PT12_llPT13_lli, .Lfunc_end464-_ZN12_GLOBAL__N_135rocblas_gemm_batched_general_kernelIfLi16ELi16ELi32ELi32ELi8ELi32ELi8ELi8ELi32ELc84ELc78EK16rocblas_bfloat16KffEEvlllT_PT11_llS6_llS4_PT12_llPT13_lli
                                        ; -- End function
	.set _ZN12_GLOBAL__N_135rocblas_gemm_batched_general_kernelIfLi16ELi16ELi32ELi32ELi8ELi32ELi8ELi8ELi32ELc84ELc78EK16rocblas_bfloat16KffEEvlllT_PT11_llS6_llS4_PT12_llPT13_lli.num_vgpr, 52
	.set _ZN12_GLOBAL__N_135rocblas_gemm_batched_general_kernelIfLi16ELi16ELi32ELi32ELi8ELi32ELi8ELi8ELi32ELc84ELc78EK16rocblas_bfloat16KffEEvlllT_PT11_llS6_llS4_PT12_llPT13_lli.num_agpr, 0
	.set _ZN12_GLOBAL__N_135rocblas_gemm_batched_general_kernelIfLi16ELi16ELi32ELi32ELi8ELi32ELi8ELi8ELi32ELc84ELc78EK16rocblas_bfloat16KffEEvlllT_PT11_llS6_llS4_PT12_llPT13_lli.numbered_sgpr, 42
	.set _ZN12_GLOBAL__N_135rocblas_gemm_batched_general_kernelIfLi16ELi16ELi32ELi32ELi8ELi32ELi8ELi8ELi32ELc84ELc78EK16rocblas_bfloat16KffEEvlllT_PT11_llS6_llS4_PT12_llPT13_lli.num_named_barrier, 0
	.set _ZN12_GLOBAL__N_135rocblas_gemm_batched_general_kernelIfLi16ELi16ELi32ELi32ELi8ELi32ELi8ELi8ELi32ELc84ELc78EK16rocblas_bfloat16KffEEvlllT_PT11_llS6_llS4_PT12_llPT13_lli.private_seg_size, 0
	.set _ZN12_GLOBAL__N_135rocblas_gemm_batched_general_kernelIfLi16ELi16ELi32ELi32ELi8ELi32ELi8ELi8ELi32ELc84ELc78EK16rocblas_bfloat16KffEEvlllT_PT11_llS6_llS4_PT12_llPT13_lli.uses_vcc, 1
	.set _ZN12_GLOBAL__N_135rocblas_gemm_batched_general_kernelIfLi16ELi16ELi32ELi32ELi8ELi32ELi8ELi8ELi32ELc84ELc78EK16rocblas_bfloat16KffEEvlllT_PT11_llS6_llS4_PT12_llPT13_lli.uses_flat_scratch, 0
	.set _ZN12_GLOBAL__N_135rocblas_gemm_batched_general_kernelIfLi16ELi16ELi32ELi32ELi8ELi32ELi8ELi8ELi32ELc84ELc78EK16rocblas_bfloat16KffEEvlllT_PT11_llS6_llS4_PT12_llPT13_lli.has_dyn_sized_stack, 0
	.set _ZN12_GLOBAL__N_135rocblas_gemm_batched_general_kernelIfLi16ELi16ELi32ELi32ELi8ELi32ELi8ELi8ELi32ELc84ELc78EK16rocblas_bfloat16KffEEvlllT_PT11_llS6_llS4_PT12_llPT13_lli.has_recursion, 0
	.set _ZN12_GLOBAL__N_135rocblas_gemm_batched_general_kernelIfLi16ELi16ELi32ELi32ELi8ELi32ELi8ELi8ELi32ELc84ELc78EK16rocblas_bfloat16KffEEvlllT_PT11_llS6_llS4_PT12_llPT13_lli.has_indirect_call, 0
	.section	.AMDGPU.csdata,"",@progbits
; Kernel info:
; codeLenInByte = 1756
; TotalNumSgprs: 44
; NumVgprs: 52
; ScratchSize: 0
; MemoryBound: 0
; FloatMode: 240
; IeeeMode: 1
; LDSByteSize: 2048 bytes/workgroup (compile time only)
; SGPRBlocks: 0
; VGPRBlocks: 3
; NumSGPRsForWavesPerEU: 44
; NumVGPRsForWavesPerEU: 52
; NamedBarCnt: 0
; Occupancy: 16
; WaveLimiterHint : 0
; COMPUTE_PGM_RSRC2:SCRATCH_EN: 0
; COMPUTE_PGM_RSRC2:USER_SGPR: 2
; COMPUTE_PGM_RSRC2:TRAP_HANDLER: 0
; COMPUTE_PGM_RSRC2:TGID_X_EN: 1
; COMPUTE_PGM_RSRC2:TGID_Y_EN: 1
; COMPUTE_PGM_RSRC2:TGID_Z_EN: 1
; COMPUTE_PGM_RSRC2:TIDIG_COMP_CNT: 1
	.section	.text._ZN12_GLOBAL__N_135rocblas_gemm_batched_general_kernelIfLi16ELi16ELi32ELi32ELi8ELi32ELi8ELi8ELi32ELc78ELc84EK16rocblas_bfloat16KffEEvlllT_PT11_llS6_llS4_PT12_llPT13_lli,"axG",@progbits,_ZN12_GLOBAL__N_135rocblas_gemm_batched_general_kernelIfLi16ELi16ELi32ELi32ELi8ELi32ELi8ELi8ELi32ELc78ELc84EK16rocblas_bfloat16KffEEvlllT_PT11_llS6_llS4_PT12_llPT13_lli,comdat
	.globl	_ZN12_GLOBAL__N_135rocblas_gemm_batched_general_kernelIfLi16ELi16ELi32ELi32ELi8ELi32ELi8ELi8ELi32ELc78ELc84EK16rocblas_bfloat16KffEEvlllT_PT11_llS6_llS4_PT12_llPT13_lli ; -- Begin function _ZN12_GLOBAL__N_135rocblas_gemm_batched_general_kernelIfLi16ELi16ELi32ELi32ELi8ELi32ELi8ELi8ELi32ELc78ELc84EK16rocblas_bfloat16KffEEvlllT_PT11_llS6_llS4_PT12_llPT13_lli
	.p2align	8
	.type	_ZN12_GLOBAL__N_135rocblas_gemm_batched_general_kernelIfLi16ELi16ELi32ELi32ELi8ELi32ELi8ELi8ELi32ELc78ELc84EK16rocblas_bfloat16KffEEvlllT_PT11_llS6_llS4_PT12_llPT13_lli,@function
_ZN12_GLOBAL__N_135rocblas_gemm_batched_general_kernelIfLi16ELi16ELi32ELi32ELi8ELi32ELi8ELi8ELi32ELc78ELc84EK16rocblas_bfloat16KffEEvlllT_PT11_llS6_llS4_PT12_llPT13_lli: ; @_ZN12_GLOBAL__N_135rocblas_gemm_batched_general_kernelIfLi16ELi16ELi32ELi32ELi8ELi32ELi8ELi8ELi32ELc78ELc84EK16rocblas_bfloat16KffEEvlllT_PT11_llS6_llS4_PT12_llPT13_lli
; %bb.0:
	s_load_b32 s33, s[0:1], 0x88
	s_bfe_u32 s2, ttmp6, 0x40014
	s_lshr_b32 s3, ttmp7, 16
	s_add_co_i32 s2, s2, 1
	s_bfe_u32 s5, ttmp6, 0x40008
	s_mul_i32 s4, s3, s2
	s_getreg_b32 s2, hwreg(HW_REG_IB_STS2, 6, 4)
	s_add_co_i32 s5, s5, s4
	s_cmp_eq_u32 s2, 0
	s_mov_b32 s35, 0
	s_cselect_b32 s34, s3, s5
	s_wait_kmcnt 0x0
	s_cmp_ge_i32 s34, s33
	s_cbranch_scc1 .LBB465_34
; %bb.1:
	s_clause 0x3
	s_load_b128 s[4:7], s[0:1], 0x0
	s_load_b256 s[16:23], s[0:1], 0x20
	s_load_b128 s[28:31], s[0:1], 0x40
	s_load_b32 s41, s[0:1], 0x50
	v_bfe_u32 v8, v0, 10, 10
	v_and_b32_e32 v10, 0x3ff, v0
	s_bfe_u32 s3, ttmp6, 0x4000c
	s_clause 0x1
	s_load_b128 s[24:27], s[0:1], 0x78
	s_load_b256 s[8:15], s[0:1], 0x58
	s_add_co_i32 s3, s3, 1
	s_bfe_u32 s38, ttmp6, 0x40010
	v_lshl_add_u32 v1, v8, 4, v10
	v_dual_mov_b32 v9, 0 :: v_dual_bitop2_b32 v0, 7, v0 bitop3:0x40
	s_and_b32 s36, ttmp6, 15
	s_mul_i32 s3, ttmp9, s3
	s_delay_alu instid0(VALU_DEP_2) | instskip(NEXT) | instid1(VALU_DEP_2)
	v_dual_lshrrev_b32 v2, 5, v1 :: v_dual_bitop2_b32 v22, 31, v1 bitop3:0x40
	v_dual_mov_b32 v3, v9 :: v_dual_lshrrev_b32 v12, 3, v1
	v_dual_mov_b32 v1, v9 :: v_dual_mov_b32 v13, v9
	s_and_b32 s37, ttmp7, 0xffff
	s_add_co_i32 s38, s38, 1
	s_add_co_i32 s36, s36, s3
	s_wait_kmcnt 0x0
	v_mul_u64_e32 v[14:15], s[28:29], v[0:1]
	s_mul_i32 s3, s37, s38
	s_bfe_u32 s38, ttmp6, 0x40004
	v_mul_u64_e32 v[16:17], s[18:19], v[2:3]
	s_add_co_i32 s38, s38, s3
	s_cmp_eq_u32 s2, 0
	s_mov_b32 s43, s35
	s_cselect_b32 s40, s37, s38
	s_cselect_b32 s2, ttmp9, s36
	s_lshl_b32 s42, s40, 5
	s_ashr_i32 s3, s2, 31
	v_add_nc_u64_e32 v[18:19], s[42:43], v[8:9]
	s_lshl_b64 s[44:45], s[2:3], 5
	v_add_nc_u64_e32 v[6:7], s[42:43], v[12:13]
	v_dual_mov_b32 v5, s45 :: v_dual_bitop2_b32 v4, s44, v22 bitop3:0x54
	v_mov_b32_e32 v11, v9
	s_load_b96 s[36:38], s[0:1], 0x10
	s_delay_alu instid0(VALU_DEP_4)
	v_mul_u64_e32 v[20:21], s[10:11], v[18:19]
	s_cmp_eq_f32 s41, 0
	s_wait_xcnt 0x0
	v_cmp_gt_i64_e64 s0, s[4:5], v[4:5]
	v_mul_u64_e32 v[4:5], s[24:25], v[18:19]
	v_cmp_gt_i64_e64 s1, s[6:7], v[6:7]
	v_lshl_add_u32 v30, v8, 5, 0x400
	v_lshlrev_b32_e32 v8, 1, v12
	v_add_nc_u64_e32 v[6:7], s[44:45], v[10:11]
	v_dual_lshlrev_b32 v23, 2, v0 :: v_dual_lshlrev_b32 v13, 2, v22
	s_cselect_b32 s39, -1, 0
	s_lshl_b32 s42, s40, 6
	v_lshlrev_b32_e32 v31, 2, v10
	s_delay_alu instid0(VALU_DEP_2)
	v_lshl_or_b32 v23, v12, 5, v23
	v_lshl_add_u64 v[14:15], v[14:15], 1, s[42:43]
	v_lshl_or_b32 v28, v2, 7, v13
	v_add_nc_u64_e32 v[10:11], 16, v[6:7]
	v_add_nc_u64_e32 v[12:13], 16, v[18:19]
	s_lshl_b64 s[2:3], s[2:3], 6
	v_add_nc_u64_e32 v[14:15], v[14:15], v[8:9]
	v_lshl_add_u64 v[16:17], v[16:17], 1, s[2:3]
	v_lshlrev_b32_e32 v8, 1, v22
	v_cmp_gt_i64_e64 s3, s[4:5], v[6:7]
	v_cmp_gt_i64_e64 s4, s[4:5], v[10:11]
	;; [unrolled: 1-line block ×4, first 2 shown]
	v_add_nc_u64_e32 v[12:13], v[16:17], v[8:9]
	s_lshl_b64 s[6:7], s[24:25], 4
	v_add_nc_u64_e32 v[10:11], s[22:23], v[14:15]
	s_wait_kmcnt 0x0
	v_cmp_gt_i64_e64 s24, s[36:37], 0
	v_add_nc_u32_e32 v29, 0x400, v23
	s_mov_b32 s40, s38
	v_lshl_add_u64 v[8:9], v[20:21], 2, s[8:9]
	v_add_nc_u64_e32 v[12:13], s[16:17], v[12:13]
	s_lshl_b64 s[10:11], s[10:11], 4
	s_lshl_b64 s[8:9], s[30:31], 1
	;; [unrolled: 1-line block ×5, first 2 shown]
	s_branch .LBB465_4
.LBB465_2:                              ;   in Loop: Header=BB465_4 Depth=1
	s_wait_xcnt 0x0
	s_or_b32 exec_lo, exec_lo, s25
.LBB465_3:                              ;   in Loop: Header=BB465_4 Depth=1
	s_add_co_i32 s34, s34, 0x10000
	s_delay_alu instid0(SALU_CYCLE_1)
	s_cmp_lt_i32 s34, s33
	s_cbranch_scc0 .LBB465_34
.LBB465_4:                              ; =>This Loop Header: Depth=1
                                        ;     Child Loop BB465_7 Depth 2
	v_dual_mov_b32 v17, 0 :: v_dual_mov_b32 v16, 0
	v_dual_mov_b32 v15, 0 :: v_dual_mov_b32 v14, 0
	s_and_not1_b32 vcc_lo, exec_lo, s24
	s_cbranch_vccnz .LBB465_11
; %bb.5:                                ;   in Loop: Header=BB465_4 Depth=1
	v_mad_nc_u64_u32 v[18:19], s8, s34, v[10:11]
	v_mad_nc_u64_u32 v[20:21], s20, s34, v[12:13]
	v_mov_b32_e32 v16, 0
	s_mov_b64 s[22:23], 0
	s_delay_alu instid0(VALU_DEP_1)
	v_dual_mov_b32 v17, v16 :: v_dual_mov_b32 v14, v16
	v_mov_b32_e32 v15, v16
	v_mad_u32 v19, s9, s34, v19
	v_mad_u32 v21, s21, s34, v21
	s_branch .LBB465_7
.LBB465_6:                              ;   in Loop: Header=BB465_7 Depth=2
	s_wait_xcnt 0x0
	s_or_b32 exec_lo, exec_lo, s25
	ds_store_b32 v29, v23
	s_wait_dscnt 0x0
	s_barrier_signal -1
	s_barrier_wait -1
	ds_load_b128 v[22:25], v30
	ds_load_2addr_b32 v[26:27], v31 offset1:16
	ds_load_b128 v[32:35], v30 offset:512
	ds_load_2addr_b32 v[44:45], v31 offset0:32 offset1:48
	ds_load_2addr_b32 v[46:47], v31 offset0:64 offset1:80
	;; [unrolled: 1-line block ×3, first 2 shown]
	ds_load_b128 v[36:39], v30 offset:16
	ds_load_2addr_b32 v[50:51], v31 offset0:128 offset1:144
	ds_load_b128 v[40:43], v30 offset:528
	s_add_nc_u64 s[22:23], s[22:23], 8
	v_add_nc_u64_e32 v[18:19], s[16:17], v[18:19]
	v_cmp_lt_i64_e64 s25, s[22:23], s[36:37]
	v_add_nc_u64_e32 v[20:21], s[18:19], v[20:21]
	s_and_b32 vcc_lo, exec_lo, s25
	s_wait_dscnt 0x7
	v_pk_fma_f32 v[16:17], v[26:27], v[22:23], v[16:17] op_sel_hi:[1,0,1]
	s_wait_dscnt 0x6
	v_pk_fma_f32 v[14:15], v[26:27], v[32:33], v[14:15] op_sel_hi:[1,0,1]
	ds_load_2addr_b32 v[26:27], v31 offset0:160 offset1:176
	s_wait_dscnt 0x6
	v_pk_fma_f32 v[16:17], v[44:45], v[22:23], v[16:17] op_sel:[0,1,0]
	v_pk_fma_f32 v[14:15], v[44:45], v[32:33], v[14:15] op_sel:[0,1,0]
	ds_load_2addr_b32 v[22:23], v31 offset0:192 offset1:208
	v_dual_mov_b32 v32, v25 :: v_dual_mov_b32 v44, v35
	s_wait_dscnt 0x6
	v_pk_fma_f32 v[16:17], v[46:47], v[24:25], v[16:17] op_sel_hi:[1,0,1]
	v_pk_fma_f32 v[14:15], v[46:47], v[34:35], v[14:15] op_sel_hi:[1,0,1]
	ds_load_2addr_b32 v[24:25], v31 offset0:224 offset1:240
	s_wait_dscnt 0x0
	s_barrier_signal -1
	v_pk_fma_f32 v[16:17], v[48:49], v[32:33], v[16:17] op_sel_hi:[1,0,1]
	v_pk_fma_f32 v[14:15], v[48:49], v[44:45], v[14:15] op_sel_hi:[1,0,1]
	s_barrier_wait -1
	v_mov_b32_e32 v32, v43
	s_delay_alu instid0(VALU_DEP_3) | instskip(NEXT) | instid1(VALU_DEP_3)
	v_pk_fma_f32 v[16:17], v[50:51], v[36:37], v[16:17] op_sel_hi:[1,0,1]
	v_pk_fma_f32 v[14:15], v[50:51], v[40:41], v[14:15] op_sel_hi:[1,0,1]
	s_delay_alu instid0(VALU_DEP_2) | instskip(NEXT) | instid1(VALU_DEP_2)
	v_pk_fma_f32 v[16:17], v[26:27], v[36:37], v[16:17] op_sel:[0,1,0]
	v_pk_fma_f32 v[14:15], v[26:27], v[40:41], v[14:15] op_sel:[0,1,0]
	v_mov_b32_e32 v26, v39
	s_delay_alu instid0(VALU_DEP_3) | instskip(NEXT) | instid1(VALU_DEP_3)
	v_pk_fma_f32 v[16:17], v[22:23], v[38:39], v[16:17] op_sel_hi:[1,0,1]
	v_pk_fma_f32 v[14:15], v[22:23], v[42:43], v[14:15] op_sel_hi:[1,0,1]
	s_delay_alu instid0(VALU_DEP_2) | instskip(NEXT) | instid1(VALU_DEP_2)
	v_pk_fma_f32 v[16:17], v[24:25], v[26:27], v[16:17] op_sel_hi:[1,0,1]
	v_pk_fma_f32 v[14:15], v[24:25], v[32:33], v[14:15] op_sel_hi:[1,0,1]
	s_cbranch_vccz .LBB465_11
.LBB465_7:                              ;   Parent Loop BB465_4 Depth=1
                                        ; =>  This Inner Loop Header: Depth=2
	v_add_nc_u64_e32 v[22:23], s[22:23], v[2:3]
	s_delay_alu instid0(VALU_DEP_1) | instskip(SKIP_2) | instid1(SALU_CYCLE_1)
	v_cmp_gt_i64_e32 vcc_lo, s[36:37], v[22:23]
	v_mov_b32_e32 v22, 0
	s_and_b32 s28, s0, vcc_lo
	s_and_saveexec_b32 s25, s28
	s_cbranch_execz .LBB465_9
; %bb.8:                                ;   in Loop: Header=BB465_7 Depth=2
	global_load_u16 v22, v[20:21], off
	s_wait_loadcnt 0x0
	v_lshlrev_b32_e32 v22, 16, v22
.LBB465_9:                              ;   in Loop: Header=BB465_7 Depth=2
	s_wait_xcnt 0x0
	s_or_b32 exec_lo, exec_lo, s25
	v_add_nc_u64_e32 v[24:25], s[22:23], v[0:1]
	v_mov_b32_e32 v23, 0
	ds_store_b32 v28, v22
	v_cmp_gt_i64_e32 vcc_lo, s[36:37], v[24:25]
	s_and_b32 s28, vcc_lo, s1
	s_delay_alu instid0(SALU_CYCLE_1)
	s_and_saveexec_b32 s25, s28
	s_cbranch_execz .LBB465_6
; %bb.10:                               ;   in Loop: Header=BB465_7 Depth=2
	global_load_u16 v22, v[18:19], off
	s_wait_loadcnt 0x0
	v_lshlrev_b32_e32 v23, 16, v22
	s_branch .LBB465_6
.LBB465_11:                             ;   in Loop: Header=BB465_4 Depth=1
	s_mul_u64 s[22:23], s[26:27], s[34:35]
	s_and_not1_b32 vcc_lo, exec_lo, s39
	s_lshl_b64 s[22:23], s[22:23], 2
	s_delay_alu instid0(SALU_CYCLE_1)
	s_add_nc_u64 s[22:23], s[14:15], s[22:23]
	s_cbranch_vccnz .LBB465_16
; %bb.12:                               ;   in Loop: Header=BB465_4 Depth=1
	s_and_saveexec_b32 s25, s2
	s_cbranch_execz .LBB465_23
; %bb.13:                               ;   in Loop: Header=BB465_4 Depth=1
	v_lshl_add_u64 v[18:19], v[4:5], 2, s[22:23]
	s_delay_alu instid0(VALU_DEP_1)
	v_lshl_add_u64 v[20:21], v[6:7], 2, v[18:19]
	s_and_saveexec_b32 s28, s3
	s_cbranch_execnz .LBB465_17
; %bb.14:                               ;   in Loop: Header=BB465_4 Depth=1
	s_or_b32 exec_lo, exec_lo, s28
	s_and_saveexec_b32 s28, s4
	s_cbranch_execnz .LBB465_18
.LBB465_15:                             ;   in Loop: Header=BB465_4 Depth=1
	s_or_b32 exec_lo, exec_lo, s28
	s_delay_alu instid0(SALU_CYCLE_1)
	s_and_b32 exec_lo, exec_lo, s5
	s_cbranch_execnz .LBB465_19
	s_branch .LBB465_23
.LBB465_16:                             ;   in Loop: Header=BB465_4 Depth=1
	s_branch .LBB465_24
.LBB465_17:                             ;   in Loop: Header=BB465_4 Depth=1
	v_mul_f32_e32 v22, s38, v16
	global_store_b32 v[20:21], v22, off
	s_wait_xcnt 0x0
	s_or_b32 exec_lo, exec_lo, s28
	s_and_saveexec_b32 s28, s4
	s_cbranch_execz .LBB465_15
.LBB465_18:                             ;   in Loop: Header=BB465_4 Depth=1
	v_mul_f32_e32 v22, s38, v17
	global_store_b32 v[20:21], v22, off offset:64
	s_wait_xcnt 0x0
	s_or_b32 exec_lo, exec_lo, s28
	s_delay_alu instid0(SALU_CYCLE_1)
	s_and_b32 exec_lo, exec_lo, s5
	s_cbranch_execz .LBB465_23
.LBB465_19:                             ;   in Loop: Header=BB465_4 Depth=1
	v_lshl_add_u64 v[18:19], s[6:7], 2, v[18:19]
	s_delay_alu instid0(VALU_DEP_1)
	v_lshl_add_u64 v[18:19], v[6:7], 2, v[18:19]
	s_and_saveexec_b32 s28, s3
	s_cbranch_execz .LBB465_21
; %bb.20:                               ;   in Loop: Header=BB465_4 Depth=1
	v_mul_f32_e32 v20, s38, v14
	global_store_b32 v[18:19], v20, off
.LBB465_21:                             ;   in Loop: Header=BB465_4 Depth=1
	s_wait_xcnt 0x0
	s_or_b32 exec_lo, exec_lo, s28
	s_delay_alu instid0(SALU_CYCLE_1)
	s_and_b32 exec_lo, exec_lo, s4
	s_cbranch_execz .LBB465_23
; %bb.22:                               ;   in Loop: Header=BB465_4 Depth=1
	v_mul_f32_e32 v20, s38, v15
	global_store_b32 v[18:19], v20, off offset:64
.LBB465_23:                             ;   in Loop: Header=BB465_4 Depth=1
	s_wait_xcnt 0x0
	s_or_b32 exec_lo, exec_lo, s25
	s_cbranch_execnz .LBB465_3
.LBB465_24:                             ;   in Loop: Header=BB465_4 Depth=1
	s_and_saveexec_b32 s25, s2
	s_cbranch_execz .LBB465_2
; %bb.25:                               ;   in Loop: Header=BB465_4 Depth=1
	s_mul_u64 s[28:29], s[12:13], s[34:35]
	v_lshlrev_b64_e32 v[18:19], 2, v[6:7]
	v_lshl_add_u64 v[20:21], s[28:29], 2, v[8:9]
	v_lshl_add_u64 v[22:23], v[4:5], 2, s[22:23]
	s_delay_alu instid0(VALU_DEP_2) | instskip(NEXT) | instid1(VALU_DEP_2)
	v_add_nc_u64_e32 v[26:27], v[20:21], v[18:19]
	v_add_nc_u64_e32 v[24:25], v[22:23], v[18:19]
	s_and_saveexec_b32 s22, s3
	s_cbranch_execnz .LBB465_28
; %bb.26:                               ;   in Loop: Header=BB465_4 Depth=1
	s_or_b32 exec_lo, exec_lo, s22
	s_and_saveexec_b32 s22, s4
	s_cbranch_execnz .LBB465_29
.LBB465_27:                             ;   in Loop: Header=BB465_4 Depth=1
	s_or_b32 exec_lo, exec_lo, s22
	s_delay_alu instid0(SALU_CYCLE_1)
	s_and_b32 exec_lo, exec_lo, s5
	s_cbranch_execz .LBB465_2
	s_branch .LBB465_30
.LBB465_28:                             ;   in Loop: Header=BB465_4 Depth=1
	global_load_b32 v33, v[26:27], off
	v_mov_b64_e32 v[34:35], s[40:41]
	v_mov_b32_e32 v32, v16
	s_wait_loadcnt 0x0
	s_delay_alu instid0(VALU_DEP_1) | instskip(NEXT) | instid1(VALU_DEP_1)
	v_pk_mul_f32 v[32:33], v[34:35], v[32:33]
	v_add_f32_e32 v16, v32, v33
	global_store_b32 v[24:25], v16, off
	s_wait_xcnt 0x0
	s_or_b32 exec_lo, exec_lo, s22
	s_and_saveexec_b32 s22, s4
	s_cbranch_execz .LBB465_27
.LBB465_29:                             ;   in Loop: Header=BB465_4 Depth=1
	global_load_b32 v27, v[26:27], off offset:64
	s_wait_xcnt 0x0
	v_mov_b32_e32 v26, v17
	v_mov_b64_e32 v[16:17], s[40:41]
	s_wait_loadcnt 0x0
	s_delay_alu instid0(VALU_DEP_1) | instskip(NEXT) | instid1(VALU_DEP_1)
	v_pk_mul_f32 v[16:17], v[16:17], v[26:27]
	v_add_f32_e32 v16, v16, v17
	global_store_b32 v[24:25], v16, off offset:64
	s_wait_xcnt 0x0
	s_or_b32 exec_lo, exec_lo, s22
	s_delay_alu instid0(SALU_CYCLE_1)
	s_and_b32 exec_lo, exec_lo, s5
	s_cbranch_execz .LBB465_2
.LBB465_30:                             ;   in Loop: Header=BB465_4 Depth=1
	v_lshl_add_u64 v[16:17], s[10:11], 2, v[20:21]
	v_lshl_add_u64 v[22:23], s[6:7], 2, v[22:23]
	s_delay_alu instid0(VALU_DEP_2) | instskip(NEXT) | instid1(VALU_DEP_2)
	v_add_nc_u64_e32 v[20:21], v[16:17], v[18:19]
	v_add_nc_u64_e32 v[16:17], v[22:23], v[18:19]
	s_and_saveexec_b32 s22, s3
	s_cbranch_execz .LBB465_32
; %bb.31:                               ;   in Loop: Header=BB465_4 Depth=1
	global_load_b32 v19, v[20:21], off
	v_mov_b64_e32 v[22:23], s[40:41]
	v_mov_b32_e32 v18, v14
	s_wait_loadcnt 0x0
	s_delay_alu instid0(VALU_DEP_1) | instskip(NEXT) | instid1(VALU_DEP_1)
	v_pk_mul_f32 v[18:19], v[22:23], v[18:19]
	v_add_f32_e32 v14, v18, v19
	global_store_b32 v[16:17], v14, off
.LBB465_32:                             ;   in Loop: Header=BB465_4 Depth=1
	s_wait_xcnt 0x0
	s_or_b32 exec_lo, exec_lo, s22
	s_delay_alu instid0(SALU_CYCLE_1)
	s_and_b32 exec_lo, exec_lo, s4
	s_cbranch_execz .LBB465_2
; %bb.33:                               ;   in Loop: Header=BB465_4 Depth=1
	global_load_b32 v19, v[20:21], off offset:64
	v_mov_b32_e32 v18, v15
	v_mov_b64_e32 v[14:15], s[40:41]
	s_wait_loadcnt 0x0
	s_delay_alu instid0(VALU_DEP_1) | instskip(NEXT) | instid1(VALU_DEP_1)
	v_pk_mul_f32 v[14:15], v[14:15], v[18:19]
	v_add_f32_e32 v14, v14, v15
	global_store_b32 v[16:17], v14, off offset:64
	s_branch .LBB465_2
.LBB465_34:
	s_endpgm
	.section	.rodata,"a",@progbits
	.p2align	6, 0x0
	.amdhsa_kernel _ZN12_GLOBAL__N_135rocblas_gemm_batched_general_kernelIfLi16ELi16ELi32ELi32ELi8ELi32ELi8ELi8ELi32ELc78ELc84EK16rocblas_bfloat16KffEEvlllT_PT11_llS6_llS4_PT12_llPT13_lli
		.amdhsa_group_segment_fixed_size 2048
		.amdhsa_private_segment_fixed_size 0
		.amdhsa_kernarg_size 140
		.amdhsa_user_sgpr_count 2
		.amdhsa_user_sgpr_dispatch_ptr 0
		.amdhsa_user_sgpr_queue_ptr 0
		.amdhsa_user_sgpr_kernarg_segment_ptr 1
		.amdhsa_user_sgpr_dispatch_id 0
		.amdhsa_user_sgpr_kernarg_preload_length 0
		.amdhsa_user_sgpr_kernarg_preload_offset 0
		.amdhsa_user_sgpr_private_segment_size 0
		.amdhsa_wavefront_size32 1
		.amdhsa_uses_dynamic_stack 0
		.amdhsa_enable_private_segment 0
		.amdhsa_system_sgpr_workgroup_id_x 1
		.amdhsa_system_sgpr_workgroup_id_y 1
		.amdhsa_system_sgpr_workgroup_id_z 1
		.amdhsa_system_sgpr_workgroup_info 0
		.amdhsa_system_vgpr_workitem_id 1
		.amdhsa_next_free_vgpr 52
		.amdhsa_next_free_sgpr 46
		.amdhsa_named_barrier_count 0
		.amdhsa_reserve_vcc 1
		.amdhsa_float_round_mode_32 0
		.amdhsa_float_round_mode_16_64 0
		.amdhsa_float_denorm_mode_32 3
		.amdhsa_float_denorm_mode_16_64 3
		.amdhsa_fp16_overflow 0
		.amdhsa_memory_ordered 1
		.amdhsa_forward_progress 1
		.amdhsa_inst_pref_size 14
		.amdhsa_round_robin_scheduling 0
		.amdhsa_exception_fp_ieee_invalid_op 0
		.amdhsa_exception_fp_denorm_src 0
		.amdhsa_exception_fp_ieee_div_zero 0
		.amdhsa_exception_fp_ieee_overflow 0
		.amdhsa_exception_fp_ieee_underflow 0
		.amdhsa_exception_fp_ieee_inexact 0
		.amdhsa_exception_int_div_zero 0
	.end_amdhsa_kernel
	.section	.text._ZN12_GLOBAL__N_135rocblas_gemm_batched_general_kernelIfLi16ELi16ELi32ELi32ELi8ELi32ELi8ELi8ELi32ELc78ELc84EK16rocblas_bfloat16KffEEvlllT_PT11_llS6_llS4_PT12_llPT13_lli,"axG",@progbits,_ZN12_GLOBAL__N_135rocblas_gemm_batched_general_kernelIfLi16ELi16ELi32ELi32ELi8ELi32ELi8ELi8ELi32ELc78ELc84EK16rocblas_bfloat16KffEEvlllT_PT11_llS6_llS4_PT12_llPT13_lli,comdat
.Lfunc_end465:
	.size	_ZN12_GLOBAL__N_135rocblas_gemm_batched_general_kernelIfLi16ELi16ELi32ELi32ELi8ELi32ELi8ELi8ELi32ELc78ELc84EK16rocblas_bfloat16KffEEvlllT_PT11_llS6_llS4_PT12_llPT13_lli, .Lfunc_end465-_ZN12_GLOBAL__N_135rocblas_gemm_batched_general_kernelIfLi16ELi16ELi32ELi32ELi8ELi32ELi8ELi8ELi32ELc78ELc84EK16rocblas_bfloat16KffEEvlllT_PT11_llS6_llS4_PT12_llPT13_lli
                                        ; -- End function
	.set _ZN12_GLOBAL__N_135rocblas_gemm_batched_general_kernelIfLi16ELi16ELi32ELi32ELi8ELi32ELi8ELi8ELi32ELc78ELc84EK16rocblas_bfloat16KffEEvlllT_PT11_llS6_llS4_PT12_llPT13_lli.num_vgpr, 52
	.set _ZN12_GLOBAL__N_135rocblas_gemm_batched_general_kernelIfLi16ELi16ELi32ELi32ELi8ELi32ELi8ELi8ELi32ELc78ELc84EK16rocblas_bfloat16KffEEvlllT_PT11_llS6_llS4_PT12_llPT13_lli.num_agpr, 0
	.set _ZN12_GLOBAL__N_135rocblas_gemm_batched_general_kernelIfLi16ELi16ELi32ELi32ELi8ELi32ELi8ELi8ELi32ELc78ELc84EK16rocblas_bfloat16KffEEvlllT_PT11_llS6_llS4_PT12_llPT13_lli.numbered_sgpr, 46
	.set _ZN12_GLOBAL__N_135rocblas_gemm_batched_general_kernelIfLi16ELi16ELi32ELi32ELi8ELi32ELi8ELi8ELi32ELc78ELc84EK16rocblas_bfloat16KffEEvlllT_PT11_llS6_llS4_PT12_llPT13_lli.num_named_barrier, 0
	.set _ZN12_GLOBAL__N_135rocblas_gemm_batched_general_kernelIfLi16ELi16ELi32ELi32ELi8ELi32ELi8ELi8ELi32ELc78ELc84EK16rocblas_bfloat16KffEEvlllT_PT11_llS6_llS4_PT12_llPT13_lli.private_seg_size, 0
	.set _ZN12_GLOBAL__N_135rocblas_gemm_batched_general_kernelIfLi16ELi16ELi32ELi32ELi8ELi32ELi8ELi8ELi32ELc78ELc84EK16rocblas_bfloat16KffEEvlllT_PT11_llS6_llS4_PT12_llPT13_lli.uses_vcc, 1
	.set _ZN12_GLOBAL__N_135rocblas_gemm_batched_general_kernelIfLi16ELi16ELi32ELi32ELi8ELi32ELi8ELi8ELi32ELc78ELc84EK16rocblas_bfloat16KffEEvlllT_PT11_llS6_llS4_PT12_llPT13_lli.uses_flat_scratch, 0
	.set _ZN12_GLOBAL__N_135rocblas_gemm_batched_general_kernelIfLi16ELi16ELi32ELi32ELi8ELi32ELi8ELi8ELi32ELc78ELc84EK16rocblas_bfloat16KffEEvlllT_PT11_llS6_llS4_PT12_llPT13_lli.has_dyn_sized_stack, 0
	.set _ZN12_GLOBAL__N_135rocblas_gemm_batched_general_kernelIfLi16ELi16ELi32ELi32ELi8ELi32ELi8ELi8ELi32ELc78ELc84EK16rocblas_bfloat16KffEEvlllT_PT11_llS6_llS4_PT12_llPT13_lli.has_recursion, 0
	.set _ZN12_GLOBAL__N_135rocblas_gemm_batched_general_kernelIfLi16ELi16ELi32ELi32ELi8ELi32ELi8ELi8ELi32ELc78ELc84EK16rocblas_bfloat16KffEEvlllT_PT11_llS6_llS4_PT12_llPT13_lli.has_indirect_call, 0
	.section	.AMDGPU.csdata,"",@progbits
; Kernel info:
; codeLenInByte = 1792
; TotalNumSgprs: 48
; NumVgprs: 52
; ScratchSize: 0
; MemoryBound: 0
; FloatMode: 240
; IeeeMode: 1
; LDSByteSize: 2048 bytes/workgroup (compile time only)
; SGPRBlocks: 0
; VGPRBlocks: 3
; NumSGPRsForWavesPerEU: 48
; NumVGPRsForWavesPerEU: 52
; NamedBarCnt: 0
; Occupancy: 16
; WaveLimiterHint : 0
; COMPUTE_PGM_RSRC2:SCRATCH_EN: 0
; COMPUTE_PGM_RSRC2:USER_SGPR: 2
; COMPUTE_PGM_RSRC2:TRAP_HANDLER: 0
; COMPUTE_PGM_RSRC2:TGID_X_EN: 1
; COMPUTE_PGM_RSRC2:TGID_Y_EN: 1
; COMPUTE_PGM_RSRC2:TGID_Z_EN: 1
; COMPUTE_PGM_RSRC2:TIDIG_COMP_CNT: 1
	.section	.text._ZN12_GLOBAL__N_135rocblas_gemm_batched_general_kernelIfLi16ELi16ELi32ELi32ELi8ELi32ELi8ELi8ELi32ELc84ELc84EK16rocblas_bfloat16KffEEvlllT_PT11_llS6_llS4_PT12_llPT13_lli,"axG",@progbits,_ZN12_GLOBAL__N_135rocblas_gemm_batched_general_kernelIfLi16ELi16ELi32ELi32ELi8ELi32ELi8ELi8ELi32ELc84ELc84EK16rocblas_bfloat16KffEEvlllT_PT11_llS6_llS4_PT12_llPT13_lli,comdat
	.globl	_ZN12_GLOBAL__N_135rocblas_gemm_batched_general_kernelIfLi16ELi16ELi32ELi32ELi8ELi32ELi8ELi8ELi32ELc84ELc84EK16rocblas_bfloat16KffEEvlllT_PT11_llS6_llS4_PT12_llPT13_lli ; -- Begin function _ZN12_GLOBAL__N_135rocblas_gemm_batched_general_kernelIfLi16ELi16ELi32ELi32ELi8ELi32ELi8ELi8ELi32ELc84ELc84EK16rocblas_bfloat16KffEEvlllT_PT11_llS6_llS4_PT12_llPT13_lli
	.p2align	8
	.type	_ZN12_GLOBAL__N_135rocblas_gemm_batched_general_kernelIfLi16ELi16ELi32ELi32ELi8ELi32ELi8ELi8ELi32ELc84ELc84EK16rocblas_bfloat16KffEEvlllT_PT11_llS6_llS4_PT12_llPT13_lli,@function
_ZN12_GLOBAL__N_135rocblas_gemm_batched_general_kernelIfLi16ELi16ELi32ELi32ELi8ELi32ELi8ELi8ELi32ELc84ELc84EK16rocblas_bfloat16KffEEvlllT_PT11_llS6_llS4_PT12_llPT13_lli: ; @_ZN12_GLOBAL__N_135rocblas_gemm_batched_general_kernelIfLi16ELi16ELi32ELi32ELi8ELi32ELi8ELi8ELi32ELc84ELc84EK16rocblas_bfloat16KffEEvlllT_PT11_llS6_llS4_PT12_llPT13_lli
; %bb.0:
	s_load_b32 s33, s[0:1], 0x88
	s_bfe_u32 s2, ttmp6, 0x40014
	s_lshr_b32 s3, ttmp7, 16
	s_add_co_i32 s2, s2, 1
	s_bfe_u32 s5, ttmp6, 0x40008
	s_mul_i32 s4, s3, s2
	s_getreg_b32 s2, hwreg(HW_REG_IB_STS2, 6, 4)
	s_add_co_i32 s5, s5, s4
	s_cmp_eq_u32 s2, 0
	s_mov_b32 s35, 0
	s_cselect_b32 s34, s3, s5
	s_wait_kmcnt 0x0
	s_cmp_ge_i32 s34, s33
	s_cbranch_scc1 .LBB466_34
; %bb.1:
	s_clause 0x4
	s_load_b128 s[4:7], s[0:1], 0x0
	s_load_b256 s[16:23], s[0:1], 0x20
	s_load_b128 s[28:31], s[0:1], 0x40
	s_load_b32 s41, s[0:1], 0x50
	s_load_b256 s[8:15], s[0:1], 0x58
	v_bfe_u32 v8, v0, 10, 10
	v_and_b32_e32 v10, 0x3ff, v0
	v_dual_mov_b32 v9, 0 :: v_dual_bitop2_b32 v0, 7, v0 bitop3:0x40
	s_bfe_u32 s3, ttmp6, 0x4000c
	s_bfe_u32 s25, ttmp6, 0x40010
	s_add_co_i32 s3, s3, 1
	s_and_b32 s26, ttmp7, 0xffff
	s_add_co_i32 s25, s25, 1
	s_and_b32 s24, ttmp6, 15
	s_mul_i32 s3, ttmp9, s3
	s_mul_i32 s25, s26, s25
	s_bfe_u32 s27, ttmp6, 0x40004
	v_lshl_add_u32 v2, v8, 4, v10
	v_mov_b32_e32 v1, v9
	s_add_co_i32 s24, s24, s3
	s_add_co_i32 s27, s27, s25
	s_cmp_eq_u32 s2, 0
	v_and_b32_e32 v3, 31, v2
	s_cselect_b32 s2, ttmp9, s24
	s_wait_kmcnt 0x0
	v_mul_u64_e32 v[12:13], s[28:29], v[0:1]
	s_cselect_b32 s40, s26, s27
	s_ashr_i32 s3, s2, 31
	s_clause 0x1
	s_load_b128 s[24:27], s[0:1], 0x78
	s_load_b96 s[36:38], s[0:1], 0x10
	s_lshl_b64 s[2:3], s[2:3], 5
	s_lshl_b32 s42, s40, 5
	v_dual_mov_b32 v5, s3 :: v_dual_bitop2_b32 v4, s2, v3 bitop3:0x54
	s_mov_b32 s43, s35
	v_dual_mov_b32 v11, v9 :: v_dual_lshrrev_b32 v16, 3, v2
	v_add_nc_u64_e32 v[14:15], s[42:43], v[8:9]
	s_delay_alu instid0(VALU_DEP_3)
	v_mul_u64_e32 v[18:19], s[18:19], v[4:5]
	v_dual_mov_b32 v17, v9 :: v_dual_lshrrev_b32 v2, 5, v2
	s_wait_xcnt 0x0
	v_cmp_gt_i64_e64 s0, s[4:5], v[4:5]
	s_cmp_eq_f32 s41, 0
	v_dual_lshlrev_b32 v22, 2, v0 :: v_dual_lshlrev_b32 v23, 2, v3
	v_mul_u64_e32 v[20:21], s[10:11], v[14:15]
	v_add_nc_u64_e32 v[6:7], s[42:43], v[16:17]
	s_cselect_b32 s39, -1, 0
	s_wait_kmcnt 0x0
	v_mul_u64_e32 v[4:5], s[24:25], v[14:15]
	v_mov_b32_e32 v3, v9
	v_lshl_add_u32 v30, v8, 5, 0x400
	v_lshlrev_b32_e32 v8, 1, v16
	v_lshl_or_b32 v17, v16, 5, v22
	v_cmp_gt_i64_e64 s1, s[6:7], v[6:7]
	v_add_nc_u64_e32 v[6:7], s[2:3], v[10:11]
	s_lshl_b32 s2, s40, 6
	s_mov_b32 s3, s35
	v_lshlrev_b32_e32 v31, 2, v10
	v_lshl_add_u64 v[12:13], v[12:13], 1, s[2:3]
	v_lshl_or_b32 v28, v2, 7, v23
	v_add_nc_u32_e32 v29, 0x400, v17
	v_add_nc_u64_e32 v[16:17], 16, v[6:7]
	v_add_nc_u64_e32 v[22:23], 16, v[14:15]
	;; [unrolled: 1-line block ×3, first 2 shown]
	v_lshlrev_b32_e32 v8, 1, v2
	v_cmp_gt_i64_e64 s2, s[6:7], v[14:15]
	v_cmp_gt_i64_e64 s3, s[4:5], v[6:7]
	s_mov_b32 s40, s38
	v_cmp_gt_i64_e64 s4, s[4:5], v[16:17]
	v_cmp_gt_i64_e64 s5, s[6:7], v[22:23]
	v_lshl_add_u64 v[12:13], v[18:19], 1, v[8:9]
	v_add_nc_u64_e32 v[10:11], s[22:23], v[10:11]
	v_cmp_gt_i64_e64 s22, s[36:37], 0
	s_lshl_b64 s[6:7], s[24:25], 4
	s_lshl_b64 s[10:11], s[10:11], 4
	v_add_nc_u64_e32 v[12:13], s[16:17], v[12:13]
	s_lshl_b64 s[16:17], s[28:29], 4
	v_lshl_add_u64 v[8:9], v[20:21], 2, s[8:9]
	s_lshl_b64 s[8:9], s[30:31], 1
	s_lshl_b64 s[18:19], s[20:21], 1
	s_branch .LBB466_4
.LBB466_2:                              ;   in Loop: Header=BB466_4 Depth=1
	s_wait_xcnt 0x0
	s_or_b32 exec_lo, exec_lo, s23
.LBB466_3:                              ;   in Loop: Header=BB466_4 Depth=1
	s_add_co_i32 s34, s34, 0x10000
	s_delay_alu instid0(SALU_CYCLE_1)
	s_cmp_lt_i32 s34, s33
	s_cbranch_scc0 .LBB466_34
.LBB466_4:                              ; =>This Loop Header: Depth=1
                                        ;     Child Loop BB466_7 Depth 2
	v_dual_mov_b32 v17, 0 :: v_dual_mov_b32 v16, 0
	v_dual_mov_b32 v15, 0 :: v_dual_mov_b32 v14, 0
	s_and_not1_b32 vcc_lo, exec_lo, s22
	s_cbranch_vccnz .LBB466_11
; %bb.5:                                ;   in Loop: Header=BB466_4 Depth=1
	v_mad_nc_u64_u32 v[18:19], s8, s34, v[10:11]
	v_mad_nc_u64_u32 v[20:21], s18, s34, v[12:13]
	v_mov_b32_e32 v16, 0
	s_mov_b64 s[20:21], 0
	s_delay_alu instid0(VALU_DEP_1)
	v_dual_mov_b32 v17, v16 :: v_dual_mov_b32 v14, v16
	v_mov_b32_e32 v15, v16
	v_mad_u32 v19, s9, s34, v19
	v_mad_u32 v21, s19, s34, v21
	s_branch .LBB466_7
.LBB466_6:                              ;   in Loop: Header=BB466_7 Depth=2
	s_wait_xcnt 0x0
	s_or_b32 exec_lo, exec_lo, s23
	ds_store_b32 v29, v23
	s_wait_dscnt 0x0
	s_barrier_signal -1
	s_barrier_wait -1
	ds_load_b128 v[22:25], v30
	ds_load_2addr_b32 v[26:27], v31 offset1:16
	ds_load_b128 v[32:35], v30 offset:512
	ds_load_2addr_b32 v[44:45], v31 offset0:32 offset1:48
	ds_load_2addr_b32 v[46:47], v31 offset0:64 offset1:80
	ds_load_2addr_b32 v[48:49], v31 offset0:96 offset1:112
	ds_load_b128 v[36:39], v30 offset:16
	ds_load_2addr_b32 v[50:51], v31 offset0:128 offset1:144
	ds_load_b128 v[40:43], v30 offset:528
	s_add_nc_u64 s[20:21], s[20:21], 8
	v_add_nc_u64_e32 v[18:19], s[16:17], v[18:19]
	v_cmp_lt_i64_e64 s23, s[20:21], s[36:37]
	v_add_nc_u64_e32 v[20:21], 16, v[20:21]
	s_and_b32 vcc_lo, exec_lo, s23
	s_wait_dscnt 0x7
	v_pk_fma_f32 v[16:17], v[26:27], v[22:23], v[16:17] op_sel_hi:[1,0,1]
	s_wait_dscnt 0x6
	v_pk_fma_f32 v[14:15], v[26:27], v[32:33], v[14:15] op_sel_hi:[1,0,1]
	ds_load_2addr_b32 v[26:27], v31 offset0:160 offset1:176
	s_wait_dscnt 0x6
	v_pk_fma_f32 v[16:17], v[44:45], v[22:23], v[16:17] op_sel:[0,1,0]
	v_pk_fma_f32 v[14:15], v[44:45], v[32:33], v[14:15] op_sel:[0,1,0]
	ds_load_2addr_b32 v[22:23], v31 offset0:192 offset1:208
	v_dual_mov_b32 v32, v25 :: v_dual_mov_b32 v44, v35
	s_wait_dscnt 0x6
	v_pk_fma_f32 v[16:17], v[46:47], v[24:25], v[16:17] op_sel_hi:[1,0,1]
	v_pk_fma_f32 v[14:15], v[46:47], v[34:35], v[14:15] op_sel_hi:[1,0,1]
	ds_load_2addr_b32 v[24:25], v31 offset0:224 offset1:240
	s_wait_dscnt 0x0
	s_barrier_signal -1
	v_pk_fma_f32 v[16:17], v[48:49], v[32:33], v[16:17] op_sel_hi:[1,0,1]
	v_pk_fma_f32 v[14:15], v[48:49], v[44:45], v[14:15] op_sel_hi:[1,0,1]
	s_barrier_wait -1
	v_mov_b32_e32 v32, v43
	s_delay_alu instid0(VALU_DEP_3) | instskip(NEXT) | instid1(VALU_DEP_3)
	v_pk_fma_f32 v[16:17], v[50:51], v[36:37], v[16:17] op_sel_hi:[1,0,1]
	v_pk_fma_f32 v[14:15], v[50:51], v[40:41], v[14:15] op_sel_hi:[1,0,1]
	s_delay_alu instid0(VALU_DEP_2) | instskip(NEXT) | instid1(VALU_DEP_2)
	v_pk_fma_f32 v[16:17], v[26:27], v[36:37], v[16:17] op_sel:[0,1,0]
	v_pk_fma_f32 v[14:15], v[26:27], v[40:41], v[14:15] op_sel:[0,1,0]
	v_mov_b32_e32 v26, v39
	s_delay_alu instid0(VALU_DEP_3) | instskip(NEXT) | instid1(VALU_DEP_3)
	v_pk_fma_f32 v[16:17], v[22:23], v[38:39], v[16:17] op_sel_hi:[1,0,1]
	v_pk_fma_f32 v[14:15], v[22:23], v[42:43], v[14:15] op_sel_hi:[1,0,1]
	s_delay_alu instid0(VALU_DEP_2) | instskip(NEXT) | instid1(VALU_DEP_2)
	v_pk_fma_f32 v[16:17], v[24:25], v[26:27], v[16:17] op_sel_hi:[1,0,1]
	v_pk_fma_f32 v[14:15], v[24:25], v[32:33], v[14:15] op_sel_hi:[1,0,1]
	s_cbranch_vccz .LBB466_11
.LBB466_7:                              ;   Parent Loop BB466_4 Depth=1
                                        ; =>  This Inner Loop Header: Depth=2
	v_add_nc_u64_e32 v[22:23], s[20:21], v[2:3]
	s_delay_alu instid0(VALU_DEP_1) | instskip(SKIP_2) | instid1(SALU_CYCLE_1)
	v_cmp_gt_i64_e32 vcc_lo, s[36:37], v[22:23]
	v_mov_b32_e32 v22, 0
	s_and_b32 s24, s0, vcc_lo
	s_and_saveexec_b32 s23, s24
	s_cbranch_execz .LBB466_9
; %bb.8:                                ;   in Loop: Header=BB466_7 Depth=2
	global_load_u16 v22, v[20:21], off
	s_wait_loadcnt 0x0
	v_lshlrev_b32_e32 v22, 16, v22
.LBB466_9:                              ;   in Loop: Header=BB466_7 Depth=2
	s_wait_xcnt 0x0
	s_or_b32 exec_lo, exec_lo, s23
	v_add_nc_u64_e32 v[24:25], s[20:21], v[0:1]
	v_mov_b32_e32 v23, 0
	ds_store_b32 v28, v22
	v_cmp_gt_i64_e32 vcc_lo, s[36:37], v[24:25]
	s_and_b32 s24, vcc_lo, s1
	s_delay_alu instid0(SALU_CYCLE_1)
	s_and_saveexec_b32 s23, s24
	s_cbranch_execz .LBB466_6
; %bb.10:                               ;   in Loop: Header=BB466_7 Depth=2
	global_load_u16 v22, v[18:19], off
	s_wait_loadcnt 0x0
	v_lshlrev_b32_e32 v23, 16, v22
	s_branch .LBB466_6
.LBB466_11:                             ;   in Loop: Header=BB466_4 Depth=1
	s_mul_u64 s[20:21], s[26:27], s[34:35]
	s_and_not1_b32 vcc_lo, exec_lo, s39
	s_lshl_b64 s[20:21], s[20:21], 2
	s_delay_alu instid0(SALU_CYCLE_1)
	s_add_nc_u64 s[20:21], s[14:15], s[20:21]
	s_cbranch_vccnz .LBB466_16
; %bb.12:                               ;   in Loop: Header=BB466_4 Depth=1
	s_and_saveexec_b32 s23, s2
	s_cbranch_execz .LBB466_23
; %bb.13:                               ;   in Loop: Header=BB466_4 Depth=1
	v_lshl_add_u64 v[18:19], v[4:5], 2, s[20:21]
	s_delay_alu instid0(VALU_DEP_1)
	v_lshl_add_u64 v[20:21], v[6:7], 2, v[18:19]
	s_and_saveexec_b32 s24, s3
	s_cbranch_execnz .LBB466_17
; %bb.14:                               ;   in Loop: Header=BB466_4 Depth=1
	s_or_b32 exec_lo, exec_lo, s24
	s_and_saveexec_b32 s24, s4
	s_cbranch_execnz .LBB466_18
.LBB466_15:                             ;   in Loop: Header=BB466_4 Depth=1
	s_or_b32 exec_lo, exec_lo, s24
	s_delay_alu instid0(SALU_CYCLE_1)
	s_and_b32 exec_lo, exec_lo, s5
	s_cbranch_execnz .LBB466_19
	s_branch .LBB466_23
.LBB466_16:                             ;   in Loop: Header=BB466_4 Depth=1
	s_branch .LBB466_24
.LBB466_17:                             ;   in Loop: Header=BB466_4 Depth=1
	v_mul_f32_e32 v22, s38, v16
	global_store_b32 v[20:21], v22, off
	s_wait_xcnt 0x0
	s_or_b32 exec_lo, exec_lo, s24
	s_and_saveexec_b32 s24, s4
	s_cbranch_execz .LBB466_15
.LBB466_18:                             ;   in Loop: Header=BB466_4 Depth=1
	v_mul_f32_e32 v22, s38, v17
	global_store_b32 v[20:21], v22, off offset:64
	s_wait_xcnt 0x0
	s_or_b32 exec_lo, exec_lo, s24
	s_delay_alu instid0(SALU_CYCLE_1)
	s_and_b32 exec_lo, exec_lo, s5
	s_cbranch_execz .LBB466_23
.LBB466_19:                             ;   in Loop: Header=BB466_4 Depth=1
	v_lshl_add_u64 v[18:19], s[6:7], 2, v[18:19]
	s_delay_alu instid0(VALU_DEP_1)
	v_lshl_add_u64 v[18:19], v[6:7], 2, v[18:19]
	s_and_saveexec_b32 s24, s3
	s_cbranch_execz .LBB466_21
; %bb.20:                               ;   in Loop: Header=BB466_4 Depth=1
	v_mul_f32_e32 v20, s38, v14
	global_store_b32 v[18:19], v20, off
.LBB466_21:                             ;   in Loop: Header=BB466_4 Depth=1
	s_wait_xcnt 0x0
	s_or_b32 exec_lo, exec_lo, s24
	s_delay_alu instid0(SALU_CYCLE_1)
	s_and_b32 exec_lo, exec_lo, s4
	s_cbranch_execz .LBB466_23
; %bb.22:                               ;   in Loop: Header=BB466_4 Depth=1
	v_mul_f32_e32 v20, s38, v15
	global_store_b32 v[18:19], v20, off offset:64
.LBB466_23:                             ;   in Loop: Header=BB466_4 Depth=1
	s_wait_xcnt 0x0
	s_or_b32 exec_lo, exec_lo, s23
	s_cbranch_execnz .LBB466_3
.LBB466_24:                             ;   in Loop: Header=BB466_4 Depth=1
	s_and_saveexec_b32 s23, s2
	s_cbranch_execz .LBB466_2
; %bb.25:                               ;   in Loop: Header=BB466_4 Depth=1
	s_mul_u64 s[24:25], s[12:13], s[34:35]
	v_lshlrev_b64_e32 v[18:19], 2, v[6:7]
	v_lshl_add_u64 v[20:21], s[24:25], 2, v[8:9]
	v_lshl_add_u64 v[22:23], v[4:5], 2, s[20:21]
	s_delay_alu instid0(VALU_DEP_2) | instskip(NEXT) | instid1(VALU_DEP_2)
	v_add_nc_u64_e32 v[26:27], v[20:21], v[18:19]
	v_add_nc_u64_e32 v[24:25], v[22:23], v[18:19]
	s_and_saveexec_b32 s20, s3
	s_cbranch_execnz .LBB466_28
; %bb.26:                               ;   in Loop: Header=BB466_4 Depth=1
	s_or_b32 exec_lo, exec_lo, s20
	s_and_saveexec_b32 s20, s4
	s_cbranch_execnz .LBB466_29
.LBB466_27:                             ;   in Loop: Header=BB466_4 Depth=1
	s_or_b32 exec_lo, exec_lo, s20
	s_delay_alu instid0(SALU_CYCLE_1)
	s_and_b32 exec_lo, exec_lo, s5
	s_cbranch_execz .LBB466_2
	s_branch .LBB466_30
.LBB466_28:                             ;   in Loop: Header=BB466_4 Depth=1
	global_load_b32 v33, v[26:27], off
	v_mov_b64_e32 v[34:35], s[40:41]
	v_mov_b32_e32 v32, v16
	s_wait_loadcnt 0x0
	s_delay_alu instid0(VALU_DEP_1) | instskip(NEXT) | instid1(VALU_DEP_1)
	v_pk_mul_f32 v[32:33], v[34:35], v[32:33]
	v_add_f32_e32 v16, v32, v33
	global_store_b32 v[24:25], v16, off
	s_wait_xcnt 0x0
	s_or_b32 exec_lo, exec_lo, s20
	s_and_saveexec_b32 s20, s4
	s_cbranch_execz .LBB466_27
.LBB466_29:                             ;   in Loop: Header=BB466_4 Depth=1
	global_load_b32 v27, v[26:27], off offset:64
	s_wait_xcnt 0x0
	v_mov_b32_e32 v26, v17
	v_mov_b64_e32 v[16:17], s[40:41]
	s_wait_loadcnt 0x0
	s_delay_alu instid0(VALU_DEP_1) | instskip(NEXT) | instid1(VALU_DEP_1)
	v_pk_mul_f32 v[16:17], v[16:17], v[26:27]
	v_add_f32_e32 v16, v16, v17
	global_store_b32 v[24:25], v16, off offset:64
	s_wait_xcnt 0x0
	s_or_b32 exec_lo, exec_lo, s20
	s_delay_alu instid0(SALU_CYCLE_1)
	s_and_b32 exec_lo, exec_lo, s5
	s_cbranch_execz .LBB466_2
.LBB466_30:                             ;   in Loop: Header=BB466_4 Depth=1
	v_lshl_add_u64 v[16:17], s[10:11], 2, v[20:21]
	v_lshl_add_u64 v[22:23], s[6:7], 2, v[22:23]
	s_delay_alu instid0(VALU_DEP_2) | instskip(NEXT) | instid1(VALU_DEP_2)
	v_add_nc_u64_e32 v[20:21], v[16:17], v[18:19]
	v_add_nc_u64_e32 v[16:17], v[22:23], v[18:19]
	s_and_saveexec_b32 s20, s3
	s_cbranch_execz .LBB466_32
; %bb.31:                               ;   in Loop: Header=BB466_4 Depth=1
	global_load_b32 v19, v[20:21], off
	v_mov_b64_e32 v[22:23], s[40:41]
	v_mov_b32_e32 v18, v14
	s_wait_loadcnt 0x0
	s_delay_alu instid0(VALU_DEP_1) | instskip(NEXT) | instid1(VALU_DEP_1)
	v_pk_mul_f32 v[18:19], v[22:23], v[18:19]
	v_add_f32_e32 v14, v18, v19
	global_store_b32 v[16:17], v14, off
.LBB466_32:                             ;   in Loop: Header=BB466_4 Depth=1
	s_wait_xcnt 0x0
	s_or_b32 exec_lo, exec_lo, s20
	s_delay_alu instid0(SALU_CYCLE_1)
	s_and_b32 exec_lo, exec_lo, s4
	s_cbranch_execz .LBB466_2
; %bb.33:                               ;   in Loop: Header=BB466_4 Depth=1
	global_load_b32 v19, v[20:21], off offset:64
	v_mov_b32_e32 v18, v15
	v_mov_b64_e32 v[14:15], s[40:41]
	s_wait_loadcnt 0x0
	s_delay_alu instid0(VALU_DEP_1) | instskip(NEXT) | instid1(VALU_DEP_1)
	v_pk_mul_f32 v[14:15], v[14:15], v[18:19]
	v_add_f32_e32 v14, v14, v15
	global_store_b32 v[16:17], v14, off offset:64
	s_branch .LBB466_2
.LBB466_34:
	s_endpgm
	.section	.rodata,"a",@progbits
	.p2align	6, 0x0
	.amdhsa_kernel _ZN12_GLOBAL__N_135rocblas_gemm_batched_general_kernelIfLi16ELi16ELi32ELi32ELi8ELi32ELi8ELi8ELi32ELc84ELc84EK16rocblas_bfloat16KffEEvlllT_PT11_llS6_llS4_PT12_llPT13_lli
		.amdhsa_group_segment_fixed_size 2048
		.amdhsa_private_segment_fixed_size 0
		.amdhsa_kernarg_size 140
		.amdhsa_user_sgpr_count 2
		.amdhsa_user_sgpr_dispatch_ptr 0
		.amdhsa_user_sgpr_queue_ptr 0
		.amdhsa_user_sgpr_kernarg_segment_ptr 1
		.amdhsa_user_sgpr_dispatch_id 0
		.amdhsa_user_sgpr_kernarg_preload_length 0
		.amdhsa_user_sgpr_kernarg_preload_offset 0
		.amdhsa_user_sgpr_private_segment_size 0
		.amdhsa_wavefront_size32 1
		.amdhsa_uses_dynamic_stack 0
		.amdhsa_enable_private_segment 0
		.amdhsa_system_sgpr_workgroup_id_x 1
		.amdhsa_system_sgpr_workgroup_id_y 1
		.amdhsa_system_sgpr_workgroup_id_z 1
		.amdhsa_system_sgpr_workgroup_info 0
		.amdhsa_system_vgpr_workitem_id 1
		.amdhsa_next_free_vgpr 52
		.amdhsa_next_free_sgpr 44
		.amdhsa_named_barrier_count 0
		.amdhsa_reserve_vcc 1
		.amdhsa_float_round_mode_32 0
		.amdhsa_float_round_mode_16_64 0
		.amdhsa_float_denorm_mode_32 3
		.amdhsa_float_denorm_mode_16_64 3
		.amdhsa_fp16_overflow 0
		.amdhsa_memory_ordered 1
		.amdhsa_forward_progress 1
		.amdhsa_inst_pref_size 14
		.amdhsa_round_robin_scheduling 0
		.amdhsa_exception_fp_ieee_invalid_op 0
		.amdhsa_exception_fp_denorm_src 0
		.amdhsa_exception_fp_ieee_div_zero 0
		.amdhsa_exception_fp_ieee_overflow 0
		.amdhsa_exception_fp_ieee_underflow 0
		.amdhsa_exception_fp_ieee_inexact 0
		.amdhsa_exception_int_div_zero 0
	.end_amdhsa_kernel
	.section	.text._ZN12_GLOBAL__N_135rocblas_gemm_batched_general_kernelIfLi16ELi16ELi32ELi32ELi8ELi32ELi8ELi8ELi32ELc84ELc84EK16rocblas_bfloat16KffEEvlllT_PT11_llS6_llS4_PT12_llPT13_lli,"axG",@progbits,_ZN12_GLOBAL__N_135rocblas_gemm_batched_general_kernelIfLi16ELi16ELi32ELi32ELi8ELi32ELi8ELi8ELi32ELc84ELc84EK16rocblas_bfloat16KffEEvlllT_PT11_llS6_llS4_PT12_llPT13_lli,comdat
.Lfunc_end466:
	.size	_ZN12_GLOBAL__N_135rocblas_gemm_batched_general_kernelIfLi16ELi16ELi32ELi32ELi8ELi32ELi8ELi8ELi32ELc84ELc84EK16rocblas_bfloat16KffEEvlllT_PT11_llS6_llS4_PT12_llPT13_lli, .Lfunc_end466-_ZN12_GLOBAL__N_135rocblas_gemm_batched_general_kernelIfLi16ELi16ELi32ELi32ELi8ELi32ELi8ELi8ELi32ELc84ELc84EK16rocblas_bfloat16KffEEvlllT_PT11_llS6_llS4_PT12_llPT13_lli
                                        ; -- End function
	.set _ZN12_GLOBAL__N_135rocblas_gemm_batched_general_kernelIfLi16ELi16ELi32ELi32ELi8ELi32ELi8ELi8ELi32ELc84ELc84EK16rocblas_bfloat16KffEEvlllT_PT11_llS6_llS4_PT12_llPT13_lli.num_vgpr, 52
	.set _ZN12_GLOBAL__N_135rocblas_gemm_batched_general_kernelIfLi16ELi16ELi32ELi32ELi8ELi32ELi8ELi8ELi32ELc84ELc84EK16rocblas_bfloat16KffEEvlllT_PT11_llS6_llS4_PT12_llPT13_lli.num_agpr, 0
	.set _ZN12_GLOBAL__N_135rocblas_gemm_batched_general_kernelIfLi16ELi16ELi32ELi32ELi8ELi32ELi8ELi8ELi32ELc84ELc84EK16rocblas_bfloat16KffEEvlllT_PT11_llS6_llS4_PT12_llPT13_lli.numbered_sgpr, 44
	.set _ZN12_GLOBAL__N_135rocblas_gemm_batched_general_kernelIfLi16ELi16ELi32ELi32ELi8ELi32ELi8ELi8ELi32ELc84ELc84EK16rocblas_bfloat16KffEEvlllT_PT11_llS6_llS4_PT12_llPT13_lli.num_named_barrier, 0
	.set _ZN12_GLOBAL__N_135rocblas_gemm_batched_general_kernelIfLi16ELi16ELi32ELi32ELi8ELi32ELi8ELi8ELi32ELc84ELc84EK16rocblas_bfloat16KffEEvlllT_PT11_llS6_llS4_PT12_llPT13_lli.private_seg_size, 0
	.set _ZN12_GLOBAL__N_135rocblas_gemm_batched_general_kernelIfLi16ELi16ELi32ELi32ELi8ELi32ELi8ELi8ELi32ELc84ELc84EK16rocblas_bfloat16KffEEvlllT_PT11_llS6_llS4_PT12_llPT13_lli.uses_vcc, 1
	.set _ZN12_GLOBAL__N_135rocblas_gemm_batched_general_kernelIfLi16ELi16ELi32ELi32ELi8ELi32ELi8ELi8ELi32ELc84ELc84EK16rocblas_bfloat16KffEEvlllT_PT11_llS6_llS4_PT12_llPT13_lli.uses_flat_scratch, 0
	.set _ZN12_GLOBAL__N_135rocblas_gemm_batched_general_kernelIfLi16ELi16ELi32ELi32ELi8ELi32ELi8ELi8ELi32ELc84ELc84EK16rocblas_bfloat16KffEEvlllT_PT11_llS6_llS4_PT12_llPT13_lli.has_dyn_sized_stack, 0
	.set _ZN12_GLOBAL__N_135rocblas_gemm_batched_general_kernelIfLi16ELi16ELi32ELi32ELi8ELi32ELi8ELi8ELi32ELc84ELc84EK16rocblas_bfloat16KffEEvlllT_PT11_llS6_llS4_PT12_llPT13_lli.has_recursion, 0
	.set _ZN12_GLOBAL__N_135rocblas_gemm_batched_general_kernelIfLi16ELi16ELi32ELi32ELi8ELi32ELi8ELi8ELi32ELc84ELc84EK16rocblas_bfloat16KffEEvlllT_PT11_llS6_llS4_PT12_llPT13_lli.has_indirect_call, 0
	.section	.AMDGPU.csdata,"",@progbits
; Kernel info:
; codeLenInByte = 1768
; TotalNumSgprs: 46
; NumVgprs: 52
; ScratchSize: 0
; MemoryBound: 0
; FloatMode: 240
; IeeeMode: 1
; LDSByteSize: 2048 bytes/workgroup (compile time only)
; SGPRBlocks: 0
; VGPRBlocks: 3
; NumSGPRsForWavesPerEU: 46
; NumVGPRsForWavesPerEU: 52
; NamedBarCnt: 0
; Occupancy: 16
; WaveLimiterHint : 0
; COMPUTE_PGM_RSRC2:SCRATCH_EN: 0
; COMPUTE_PGM_RSRC2:USER_SGPR: 2
; COMPUTE_PGM_RSRC2:TRAP_HANDLER: 0
; COMPUTE_PGM_RSRC2:TGID_X_EN: 1
; COMPUTE_PGM_RSRC2:TGID_Y_EN: 1
; COMPUTE_PGM_RSRC2:TGID_Z_EN: 1
; COMPUTE_PGM_RSRC2:TIDIG_COMP_CNT: 1
	.section	.text._ZN12_GLOBAL__N_135rocblas_gemm_batched_general_kernelIfLi16ELi16ELi32ELi32ELi8ELi32ELi8ELi8ELi32ELc67ELc67EK16rocblas_bfloat16KffEEvlllT_PT11_llS6_llS4_PT12_llPT13_lli,"axG",@progbits,_ZN12_GLOBAL__N_135rocblas_gemm_batched_general_kernelIfLi16ELi16ELi32ELi32ELi8ELi32ELi8ELi8ELi32ELc67ELc67EK16rocblas_bfloat16KffEEvlllT_PT11_llS6_llS4_PT12_llPT13_lli,comdat
	.globl	_ZN12_GLOBAL__N_135rocblas_gemm_batched_general_kernelIfLi16ELi16ELi32ELi32ELi8ELi32ELi8ELi8ELi32ELc67ELc67EK16rocblas_bfloat16KffEEvlllT_PT11_llS6_llS4_PT12_llPT13_lli ; -- Begin function _ZN12_GLOBAL__N_135rocblas_gemm_batched_general_kernelIfLi16ELi16ELi32ELi32ELi8ELi32ELi8ELi8ELi32ELc67ELc67EK16rocblas_bfloat16KffEEvlllT_PT11_llS6_llS4_PT12_llPT13_lli
	.p2align	8
	.type	_ZN12_GLOBAL__N_135rocblas_gemm_batched_general_kernelIfLi16ELi16ELi32ELi32ELi8ELi32ELi8ELi8ELi32ELc67ELc67EK16rocblas_bfloat16KffEEvlllT_PT11_llS6_llS4_PT12_llPT13_lli,@function
_ZN12_GLOBAL__N_135rocblas_gemm_batched_general_kernelIfLi16ELi16ELi32ELi32ELi8ELi32ELi8ELi8ELi32ELc67ELc67EK16rocblas_bfloat16KffEEvlllT_PT11_llS6_llS4_PT12_llPT13_lli: ; @_ZN12_GLOBAL__N_135rocblas_gemm_batched_general_kernelIfLi16ELi16ELi32ELi32ELi8ELi32ELi8ELi8ELi32ELc67ELc67EK16rocblas_bfloat16KffEEvlllT_PT11_llS6_llS4_PT12_llPT13_lli
; %bb.0:
	s_load_b32 s33, s[0:1], 0x88
	s_bfe_u32 s2, ttmp6, 0x40014
	s_lshr_b32 s3, ttmp7, 16
	s_add_co_i32 s2, s2, 1
	s_bfe_u32 s5, ttmp6, 0x40008
	s_mul_i32 s4, s3, s2
	s_getreg_b32 s2, hwreg(HW_REG_IB_STS2, 6, 4)
	s_add_co_i32 s5, s5, s4
	s_cmp_eq_u32 s2, 0
	s_mov_b32 s35, 0
	s_cselect_b32 s34, s3, s5
	s_wait_kmcnt 0x0
	s_cmp_ge_i32 s34, s33
	s_cbranch_scc1 .LBB467_34
; %bb.1:
	s_clause 0x4
	s_load_b128 s[4:7], s[0:1], 0x0
	s_load_b256 s[16:23], s[0:1], 0x20
	s_load_b128 s[28:31], s[0:1], 0x40
	s_load_b32 s41, s[0:1], 0x50
	s_load_b256 s[8:15], s[0:1], 0x58
	v_bfe_u32 v8, v0, 10, 10
	v_and_b32_e32 v10, 0x3ff, v0
	v_dual_mov_b32 v9, 0 :: v_dual_bitop2_b32 v0, 7, v0 bitop3:0x40
	s_bfe_u32 s3, ttmp6, 0x4000c
	s_bfe_u32 s25, ttmp6, 0x40010
	s_add_co_i32 s3, s3, 1
	s_and_b32 s26, ttmp7, 0xffff
	s_add_co_i32 s25, s25, 1
	s_and_b32 s24, ttmp6, 15
	s_mul_i32 s3, ttmp9, s3
	s_mul_i32 s25, s26, s25
	s_bfe_u32 s27, ttmp6, 0x40004
	v_lshl_add_u32 v2, v8, 4, v10
	v_mov_b32_e32 v1, v9
	s_add_co_i32 s24, s24, s3
	s_add_co_i32 s27, s27, s25
	s_cmp_eq_u32 s2, 0
	v_and_b32_e32 v3, 31, v2
	s_cselect_b32 s2, ttmp9, s24
	s_wait_kmcnt 0x0
	v_mul_u64_e32 v[12:13], s[28:29], v[0:1]
	s_cselect_b32 s40, s26, s27
	s_ashr_i32 s3, s2, 31
	s_clause 0x1
	s_load_b128 s[24:27], s[0:1], 0x78
	s_load_b96 s[36:38], s[0:1], 0x10
	s_lshl_b64 s[2:3], s[2:3], 5
	s_lshl_b32 s42, s40, 5
	v_dual_mov_b32 v5, s3 :: v_dual_bitop2_b32 v4, s2, v3 bitop3:0x54
	s_mov_b32 s43, s35
	v_dual_mov_b32 v11, v9 :: v_dual_lshrrev_b32 v16, 3, v2
	v_add_nc_u64_e32 v[14:15], s[42:43], v[8:9]
	s_delay_alu instid0(VALU_DEP_3)
	v_mul_u64_e32 v[18:19], s[18:19], v[4:5]
	v_dual_mov_b32 v17, v9 :: v_dual_lshrrev_b32 v2, 5, v2
	s_wait_xcnt 0x0
	v_cmp_gt_i64_e64 s0, s[4:5], v[4:5]
	s_cmp_eq_f32 s41, 0
	v_dual_lshlrev_b32 v22, 2, v0 :: v_dual_lshlrev_b32 v23, 2, v3
	v_mul_u64_e32 v[20:21], s[10:11], v[14:15]
	v_add_nc_u64_e32 v[6:7], s[42:43], v[16:17]
	s_cselect_b32 s39, -1, 0
	s_wait_kmcnt 0x0
	v_mul_u64_e32 v[4:5], s[24:25], v[14:15]
	v_mov_b32_e32 v3, v9
	v_lshl_add_u32 v30, v8, 5, 0x400
	v_lshlrev_b32_e32 v8, 1, v16
	v_lshl_or_b32 v17, v16, 5, v22
	v_cmp_gt_i64_e64 s1, s[6:7], v[6:7]
	v_add_nc_u64_e32 v[6:7], s[2:3], v[10:11]
	s_lshl_b32 s2, s40, 6
	s_mov_b32 s3, s35
	v_lshlrev_b32_e32 v31, 2, v10
	v_lshl_add_u64 v[12:13], v[12:13], 1, s[2:3]
	v_lshl_or_b32 v28, v2, 7, v23
	v_add_nc_u32_e32 v29, 0x400, v17
	v_add_nc_u64_e32 v[16:17], 16, v[6:7]
	v_add_nc_u64_e32 v[22:23], 16, v[14:15]
	;; [unrolled: 1-line block ×3, first 2 shown]
	v_lshlrev_b32_e32 v8, 1, v2
	v_cmp_gt_i64_e64 s2, s[6:7], v[14:15]
	v_cmp_gt_i64_e64 s3, s[4:5], v[6:7]
	s_mov_b32 s40, s38
	v_cmp_gt_i64_e64 s4, s[4:5], v[16:17]
	v_cmp_gt_i64_e64 s5, s[6:7], v[22:23]
	v_lshl_add_u64 v[12:13], v[18:19], 1, v[8:9]
	v_add_nc_u64_e32 v[10:11], s[22:23], v[10:11]
	v_cmp_gt_i64_e64 s22, s[36:37], 0
	s_lshl_b64 s[6:7], s[24:25], 4
	s_lshl_b64 s[10:11], s[10:11], 4
	v_add_nc_u64_e32 v[12:13], s[16:17], v[12:13]
	s_lshl_b64 s[16:17], s[28:29], 4
	v_lshl_add_u64 v[8:9], v[20:21], 2, s[8:9]
	s_lshl_b64 s[8:9], s[30:31], 1
	s_lshl_b64 s[18:19], s[20:21], 1
	s_branch .LBB467_4
.LBB467_2:                              ;   in Loop: Header=BB467_4 Depth=1
	s_wait_xcnt 0x0
	s_or_b32 exec_lo, exec_lo, s23
.LBB467_3:                              ;   in Loop: Header=BB467_4 Depth=1
	s_add_co_i32 s34, s34, 0x10000
	s_delay_alu instid0(SALU_CYCLE_1)
	s_cmp_lt_i32 s34, s33
	s_cbranch_scc0 .LBB467_34
.LBB467_4:                              ; =>This Loop Header: Depth=1
                                        ;     Child Loop BB467_7 Depth 2
	v_dual_mov_b32 v17, 0 :: v_dual_mov_b32 v16, 0
	v_dual_mov_b32 v15, 0 :: v_dual_mov_b32 v14, 0
	s_and_not1_b32 vcc_lo, exec_lo, s22
	s_cbranch_vccnz .LBB467_11
; %bb.5:                                ;   in Loop: Header=BB467_4 Depth=1
	v_mad_nc_u64_u32 v[18:19], s8, s34, v[10:11]
	v_mad_nc_u64_u32 v[20:21], s18, s34, v[12:13]
	v_mov_b32_e32 v16, 0
	s_mov_b64 s[20:21], 0
	s_delay_alu instid0(VALU_DEP_1)
	v_dual_mov_b32 v17, v16 :: v_dual_mov_b32 v14, v16
	v_mov_b32_e32 v15, v16
	v_mad_u32 v19, s9, s34, v19
	v_mad_u32 v21, s19, s34, v21
	s_branch .LBB467_7
.LBB467_6:                              ;   in Loop: Header=BB467_7 Depth=2
	s_wait_xcnt 0x0
	s_or_b32 exec_lo, exec_lo, s23
	ds_store_b32 v29, v23
	s_wait_dscnt 0x0
	s_barrier_signal -1
	s_barrier_wait -1
	ds_load_b128 v[22:25], v30
	ds_load_2addr_b32 v[26:27], v31 offset1:16
	ds_load_b128 v[32:35], v30 offset:512
	ds_load_2addr_b32 v[44:45], v31 offset0:32 offset1:48
	ds_load_2addr_b32 v[46:47], v31 offset0:64 offset1:80
	;; [unrolled: 1-line block ×3, first 2 shown]
	ds_load_b128 v[36:39], v30 offset:16
	ds_load_2addr_b32 v[50:51], v31 offset0:128 offset1:144
	ds_load_b128 v[40:43], v30 offset:528
	s_add_nc_u64 s[20:21], s[20:21], 8
	v_add_nc_u64_e32 v[18:19], s[16:17], v[18:19]
	v_cmp_lt_i64_e64 s23, s[20:21], s[36:37]
	v_add_nc_u64_e32 v[20:21], 16, v[20:21]
	s_and_b32 vcc_lo, exec_lo, s23
	s_wait_dscnt 0x7
	v_pk_fma_f32 v[16:17], v[26:27], v[22:23], v[16:17] op_sel_hi:[1,0,1]
	s_wait_dscnt 0x6
	v_pk_fma_f32 v[14:15], v[26:27], v[32:33], v[14:15] op_sel_hi:[1,0,1]
	ds_load_2addr_b32 v[26:27], v31 offset0:160 offset1:176
	s_wait_dscnt 0x6
	v_pk_fma_f32 v[16:17], v[44:45], v[22:23], v[16:17] op_sel:[0,1,0]
	v_pk_fma_f32 v[14:15], v[44:45], v[32:33], v[14:15] op_sel:[0,1,0]
	ds_load_2addr_b32 v[22:23], v31 offset0:192 offset1:208
	v_dual_mov_b32 v32, v25 :: v_dual_mov_b32 v44, v35
	s_wait_dscnt 0x6
	v_pk_fma_f32 v[16:17], v[46:47], v[24:25], v[16:17] op_sel_hi:[1,0,1]
	v_pk_fma_f32 v[14:15], v[46:47], v[34:35], v[14:15] op_sel_hi:[1,0,1]
	ds_load_2addr_b32 v[24:25], v31 offset0:224 offset1:240
	s_wait_dscnt 0x0
	s_barrier_signal -1
	v_pk_fma_f32 v[16:17], v[48:49], v[32:33], v[16:17] op_sel_hi:[1,0,1]
	v_pk_fma_f32 v[14:15], v[48:49], v[44:45], v[14:15] op_sel_hi:[1,0,1]
	s_barrier_wait -1
	v_mov_b32_e32 v32, v43
	s_delay_alu instid0(VALU_DEP_3) | instskip(NEXT) | instid1(VALU_DEP_3)
	v_pk_fma_f32 v[16:17], v[50:51], v[36:37], v[16:17] op_sel_hi:[1,0,1]
	v_pk_fma_f32 v[14:15], v[50:51], v[40:41], v[14:15] op_sel_hi:[1,0,1]
	s_delay_alu instid0(VALU_DEP_2) | instskip(NEXT) | instid1(VALU_DEP_2)
	v_pk_fma_f32 v[16:17], v[26:27], v[36:37], v[16:17] op_sel:[0,1,0]
	v_pk_fma_f32 v[14:15], v[26:27], v[40:41], v[14:15] op_sel:[0,1,0]
	v_mov_b32_e32 v26, v39
	s_delay_alu instid0(VALU_DEP_3) | instskip(NEXT) | instid1(VALU_DEP_3)
	v_pk_fma_f32 v[16:17], v[22:23], v[38:39], v[16:17] op_sel_hi:[1,0,1]
	v_pk_fma_f32 v[14:15], v[22:23], v[42:43], v[14:15] op_sel_hi:[1,0,1]
	s_delay_alu instid0(VALU_DEP_2) | instskip(NEXT) | instid1(VALU_DEP_2)
	v_pk_fma_f32 v[16:17], v[24:25], v[26:27], v[16:17] op_sel_hi:[1,0,1]
	v_pk_fma_f32 v[14:15], v[24:25], v[32:33], v[14:15] op_sel_hi:[1,0,1]
	s_cbranch_vccz .LBB467_11
.LBB467_7:                              ;   Parent Loop BB467_4 Depth=1
                                        ; =>  This Inner Loop Header: Depth=2
	v_add_nc_u64_e32 v[22:23], s[20:21], v[2:3]
	s_delay_alu instid0(VALU_DEP_1) | instskip(SKIP_2) | instid1(SALU_CYCLE_1)
	v_cmp_gt_i64_e32 vcc_lo, s[36:37], v[22:23]
	v_mov_b32_e32 v22, 0
	s_and_b32 s24, s0, vcc_lo
	s_and_saveexec_b32 s23, s24
	s_cbranch_execz .LBB467_9
; %bb.8:                                ;   in Loop: Header=BB467_7 Depth=2
	global_load_u16 v22, v[20:21], off
	s_wait_loadcnt 0x0
	v_lshlrev_b32_e32 v22, 16, v22
.LBB467_9:                              ;   in Loop: Header=BB467_7 Depth=2
	s_wait_xcnt 0x0
	s_or_b32 exec_lo, exec_lo, s23
	v_add_nc_u64_e32 v[24:25], s[20:21], v[0:1]
	v_mov_b32_e32 v23, 0
	ds_store_b32 v28, v22
	v_cmp_gt_i64_e32 vcc_lo, s[36:37], v[24:25]
	s_and_b32 s24, vcc_lo, s1
	s_delay_alu instid0(SALU_CYCLE_1)
	s_and_saveexec_b32 s23, s24
	s_cbranch_execz .LBB467_6
; %bb.10:                               ;   in Loop: Header=BB467_7 Depth=2
	global_load_u16 v22, v[18:19], off
	s_wait_loadcnt 0x0
	v_lshlrev_b32_e32 v23, 16, v22
	s_branch .LBB467_6
.LBB467_11:                             ;   in Loop: Header=BB467_4 Depth=1
	s_mul_u64 s[20:21], s[26:27], s[34:35]
	s_and_not1_b32 vcc_lo, exec_lo, s39
	s_lshl_b64 s[20:21], s[20:21], 2
	s_delay_alu instid0(SALU_CYCLE_1)
	s_add_nc_u64 s[20:21], s[14:15], s[20:21]
	s_cbranch_vccnz .LBB467_16
; %bb.12:                               ;   in Loop: Header=BB467_4 Depth=1
	s_and_saveexec_b32 s23, s2
	s_cbranch_execz .LBB467_23
; %bb.13:                               ;   in Loop: Header=BB467_4 Depth=1
	v_lshl_add_u64 v[18:19], v[4:5], 2, s[20:21]
	s_delay_alu instid0(VALU_DEP_1)
	v_lshl_add_u64 v[20:21], v[6:7], 2, v[18:19]
	s_and_saveexec_b32 s24, s3
	s_cbranch_execnz .LBB467_17
; %bb.14:                               ;   in Loop: Header=BB467_4 Depth=1
	s_or_b32 exec_lo, exec_lo, s24
	s_and_saveexec_b32 s24, s4
	s_cbranch_execnz .LBB467_18
.LBB467_15:                             ;   in Loop: Header=BB467_4 Depth=1
	s_or_b32 exec_lo, exec_lo, s24
	s_delay_alu instid0(SALU_CYCLE_1)
	s_and_b32 exec_lo, exec_lo, s5
	s_cbranch_execnz .LBB467_19
	s_branch .LBB467_23
.LBB467_16:                             ;   in Loop: Header=BB467_4 Depth=1
	s_branch .LBB467_24
.LBB467_17:                             ;   in Loop: Header=BB467_4 Depth=1
	v_mul_f32_e32 v22, s38, v16
	global_store_b32 v[20:21], v22, off
	s_wait_xcnt 0x0
	s_or_b32 exec_lo, exec_lo, s24
	s_and_saveexec_b32 s24, s4
	s_cbranch_execz .LBB467_15
.LBB467_18:                             ;   in Loop: Header=BB467_4 Depth=1
	v_mul_f32_e32 v22, s38, v17
	global_store_b32 v[20:21], v22, off offset:64
	s_wait_xcnt 0x0
	s_or_b32 exec_lo, exec_lo, s24
	s_delay_alu instid0(SALU_CYCLE_1)
	s_and_b32 exec_lo, exec_lo, s5
	s_cbranch_execz .LBB467_23
.LBB467_19:                             ;   in Loop: Header=BB467_4 Depth=1
	v_lshl_add_u64 v[18:19], s[6:7], 2, v[18:19]
	s_delay_alu instid0(VALU_DEP_1)
	v_lshl_add_u64 v[18:19], v[6:7], 2, v[18:19]
	s_and_saveexec_b32 s24, s3
	s_cbranch_execz .LBB467_21
; %bb.20:                               ;   in Loop: Header=BB467_4 Depth=1
	v_mul_f32_e32 v20, s38, v14
	global_store_b32 v[18:19], v20, off
.LBB467_21:                             ;   in Loop: Header=BB467_4 Depth=1
	s_wait_xcnt 0x0
	s_or_b32 exec_lo, exec_lo, s24
	s_delay_alu instid0(SALU_CYCLE_1)
	s_and_b32 exec_lo, exec_lo, s4
	s_cbranch_execz .LBB467_23
; %bb.22:                               ;   in Loop: Header=BB467_4 Depth=1
	v_mul_f32_e32 v20, s38, v15
	global_store_b32 v[18:19], v20, off offset:64
.LBB467_23:                             ;   in Loop: Header=BB467_4 Depth=1
	s_wait_xcnt 0x0
	s_or_b32 exec_lo, exec_lo, s23
	s_cbranch_execnz .LBB467_3
.LBB467_24:                             ;   in Loop: Header=BB467_4 Depth=1
	s_and_saveexec_b32 s23, s2
	s_cbranch_execz .LBB467_2
; %bb.25:                               ;   in Loop: Header=BB467_4 Depth=1
	s_mul_u64 s[24:25], s[12:13], s[34:35]
	v_lshlrev_b64_e32 v[18:19], 2, v[6:7]
	v_lshl_add_u64 v[20:21], s[24:25], 2, v[8:9]
	v_lshl_add_u64 v[22:23], v[4:5], 2, s[20:21]
	s_delay_alu instid0(VALU_DEP_2) | instskip(NEXT) | instid1(VALU_DEP_2)
	v_add_nc_u64_e32 v[26:27], v[20:21], v[18:19]
	v_add_nc_u64_e32 v[24:25], v[22:23], v[18:19]
	s_and_saveexec_b32 s20, s3
	s_cbranch_execnz .LBB467_28
; %bb.26:                               ;   in Loop: Header=BB467_4 Depth=1
	s_or_b32 exec_lo, exec_lo, s20
	s_and_saveexec_b32 s20, s4
	s_cbranch_execnz .LBB467_29
.LBB467_27:                             ;   in Loop: Header=BB467_4 Depth=1
	s_or_b32 exec_lo, exec_lo, s20
	s_delay_alu instid0(SALU_CYCLE_1)
	s_and_b32 exec_lo, exec_lo, s5
	s_cbranch_execz .LBB467_2
	s_branch .LBB467_30
.LBB467_28:                             ;   in Loop: Header=BB467_4 Depth=1
	global_load_b32 v33, v[26:27], off
	v_mov_b64_e32 v[34:35], s[40:41]
	v_mov_b32_e32 v32, v16
	s_wait_loadcnt 0x0
	s_delay_alu instid0(VALU_DEP_1) | instskip(NEXT) | instid1(VALU_DEP_1)
	v_pk_mul_f32 v[32:33], v[34:35], v[32:33]
	v_add_f32_e32 v16, v32, v33
	global_store_b32 v[24:25], v16, off
	s_wait_xcnt 0x0
	s_or_b32 exec_lo, exec_lo, s20
	s_and_saveexec_b32 s20, s4
	s_cbranch_execz .LBB467_27
.LBB467_29:                             ;   in Loop: Header=BB467_4 Depth=1
	global_load_b32 v27, v[26:27], off offset:64
	s_wait_xcnt 0x0
	v_mov_b32_e32 v26, v17
	v_mov_b64_e32 v[16:17], s[40:41]
	s_wait_loadcnt 0x0
	s_delay_alu instid0(VALU_DEP_1) | instskip(NEXT) | instid1(VALU_DEP_1)
	v_pk_mul_f32 v[16:17], v[16:17], v[26:27]
	v_add_f32_e32 v16, v16, v17
	global_store_b32 v[24:25], v16, off offset:64
	s_wait_xcnt 0x0
	s_or_b32 exec_lo, exec_lo, s20
	s_delay_alu instid0(SALU_CYCLE_1)
	s_and_b32 exec_lo, exec_lo, s5
	s_cbranch_execz .LBB467_2
.LBB467_30:                             ;   in Loop: Header=BB467_4 Depth=1
	v_lshl_add_u64 v[16:17], s[10:11], 2, v[20:21]
	v_lshl_add_u64 v[22:23], s[6:7], 2, v[22:23]
	s_delay_alu instid0(VALU_DEP_2) | instskip(NEXT) | instid1(VALU_DEP_2)
	v_add_nc_u64_e32 v[20:21], v[16:17], v[18:19]
	v_add_nc_u64_e32 v[16:17], v[22:23], v[18:19]
	s_and_saveexec_b32 s20, s3
	s_cbranch_execz .LBB467_32
; %bb.31:                               ;   in Loop: Header=BB467_4 Depth=1
	global_load_b32 v19, v[20:21], off
	v_mov_b64_e32 v[22:23], s[40:41]
	v_mov_b32_e32 v18, v14
	s_wait_loadcnt 0x0
	s_delay_alu instid0(VALU_DEP_1) | instskip(NEXT) | instid1(VALU_DEP_1)
	v_pk_mul_f32 v[18:19], v[22:23], v[18:19]
	v_add_f32_e32 v14, v18, v19
	global_store_b32 v[16:17], v14, off
.LBB467_32:                             ;   in Loop: Header=BB467_4 Depth=1
	s_wait_xcnt 0x0
	s_or_b32 exec_lo, exec_lo, s20
	s_delay_alu instid0(SALU_CYCLE_1)
	s_and_b32 exec_lo, exec_lo, s4
	s_cbranch_execz .LBB467_2
; %bb.33:                               ;   in Loop: Header=BB467_4 Depth=1
	global_load_b32 v19, v[20:21], off offset:64
	v_mov_b32_e32 v18, v15
	v_mov_b64_e32 v[14:15], s[40:41]
	s_wait_loadcnt 0x0
	s_delay_alu instid0(VALU_DEP_1) | instskip(NEXT) | instid1(VALU_DEP_1)
	v_pk_mul_f32 v[14:15], v[14:15], v[18:19]
	v_add_f32_e32 v14, v14, v15
	global_store_b32 v[16:17], v14, off offset:64
	s_branch .LBB467_2
.LBB467_34:
	s_endpgm
	.section	.rodata,"a",@progbits
	.p2align	6, 0x0
	.amdhsa_kernel _ZN12_GLOBAL__N_135rocblas_gemm_batched_general_kernelIfLi16ELi16ELi32ELi32ELi8ELi32ELi8ELi8ELi32ELc67ELc67EK16rocblas_bfloat16KffEEvlllT_PT11_llS6_llS4_PT12_llPT13_lli
		.amdhsa_group_segment_fixed_size 2048
		.amdhsa_private_segment_fixed_size 0
		.amdhsa_kernarg_size 140
		.amdhsa_user_sgpr_count 2
		.amdhsa_user_sgpr_dispatch_ptr 0
		.amdhsa_user_sgpr_queue_ptr 0
		.amdhsa_user_sgpr_kernarg_segment_ptr 1
		.amdhsa_user_sgpr_dispatch_id 0
		.amdhsa_user_sgpr_kernarg_preload_length 0
		.amdhsa_user_sgpr_kernarg_preload_offset 0
		.amdhsa_user_sgpr_private_segment_size 0
		.amdhsa_wavefront_size32 1
		.amdhsa_uses_dynamic_stack 0
		.amdhsa_enable_private_segment 0
		.amdhsa_system_sgpr_workgroup_id_x 1
		.amdhsa_system_sgpr_workgroup_id_y 1
		.amdhsa_system_sgpr_workgroup_id_z 1
		.amdhsa_system_sgpr_workgroup_info 0
		.amdhsa_system_vgpr_workitem_id 1
		.amdhsa_next_free_vgpr 52
		.amdhsa_next_free_sgpr 44
		.amdhsa_named_barrier_count 0
		.amdhsa_reserve_vcc 1
		.amdhsa_float_round_mode_32 0
		.amdhsa_float_round_mode_16_64 0
		.amdhsa_float_denorm_mode_32 3
		.amdhsa_float_denorm_mode_16_64 3
		.amdhsa_fp16_overflow 0
		.amdhsa_memory_ordered 1
		.amdhsa_forward_progress 1
		.amdhsa_inst_pref_size 14
		.amdhsa_round_robin_scheduling 0
		.amdhsa_exception_fp_ieee_invalid_op 0
		.amdhsa_exception_fp_denorm_src 0
		.amdhsa_exception_fp_ieee_div_zero 0
		.amdhsa_exception_fp_ieee_overflow 0
		.amdhsa_exception_fp_ieee_underflow 0
		.amdhsa_exception_fp_ieee_inexact 0
		.amdhsa_exception_int_div_zero 0
	.end_amdhsa_kernel
	.section	.text._ZN12_GLOBAL__N_135rocblas_gemm_batched_general_kernelIfLi16ELi16ELi32ELi32ELi8ELi32ELi8ELi8ELi32ELc67ELc67EK16rocblas_bfloat16KffEEvlllT_PT11_llS6_llS4_PT12_llPT13_lli,"axG",@progbits,_ZN12_GLOBAL__N_135rocblas_gemm_batched_general_kernelIfLi16ELi16ELi32ELi32ELi8ELi32ELi8ELi8ELi32ELc67ELc67EK16rocblas_bfloat16KffEEvlllT_PT11_llS6_llS4_PT12_llPT13_lli,comdat
.Lfunc_end467:
	.size	_ZN12_GLOBAL__N_135rocblas_gemm_batched_general_kernelIfLi16ELi16ELi32ELi32ELi8ELi32ELi8ELi8ELi32ELc67ELc67EK16rocblas_bfloat16KffEEvlllT_PT11_llS6_llS4_PT12_llPT13_lli, .Lfunc_end467-_ZN12_GLOBAL__N_135rocblas_gemm_batched_general_kernelIfLi16ELi16ELi32ELi32ELi8ELi32ELi8ELi8ELi32ELc67ELc67EK16rocblas_bfloat16KffEEvlllT_PT11_llS6_llS4_PT12_llPT13_lli
                                        ; -- End function
	.set _ZN12_GLOBAL__N_135rocblas_gemm_batched_general_kernelIfLi16ELi16ELi32ELi32ELi8ELi32ELi8ELi8ELi32ELc67ELc67EK16rocblas_bfloat16KffEEvlllT_PT11_llS6_llS4_PT12_llPT13_lli.num_vgpr, 52
	.set _ZN12_GLOBAL__N_135rocblas_gemm_batched_general_kernelIfLi16ELi16ELi32ELi32ELi8ELi32ELi8ELi8ELi32ELc67ELc67EK16rocblas_bfloat16KffEEvlllT_PT11_llS6_llS4_PT12_llPT13_lli.num_agpr, 0
	.set _ZN12_GLOBAL__N_135rocblas_gemm_batched_general_kernelIfLi16ELi16ELi32ELi32ELi8ELi32ELi8ELi8ELi32ELc67ELc67EK16rocblas_bfloat16KffEEvlllT_PT11_llS6_llS4_PT12_llPT13_lli.numbered_sgpr, 44
	.set _ZN12_GLOBAL__N_135rocblas_gemm_batched_general_kernelIfLi16ELi16ELi32ELi32ELi8ELi32ELi8ELi8ELi32ELc67ELc67EK16rocblas_bfloat16KffEEvlllT_PT11_llS6_llS4_PT12_llPT13_lli.num_named_barrier, 0
	.set _ZN12_GLOBAL__N_135rocblas_gemm_batched_general_kernelIfLi16ELi16ELi32ELi32ELi8ELi32ELi8ELi8ELi32ELc67ELc67EK16rocblas_bfloat16KffEEvlllT_PT11_llS6_llS4_PT12_llPT13_lli.private_seg_size, 0
	.set _ZN12_GLOBAL__N_135rocblas_gemm_batched_general_kernelIfLi16ELi16ELi32ELi32ELi8ELi32ELi8ELi8ELi32ELc67ELc67EK16rocblas_bfloat16KffEEvlllT_PT11_llS6_llS4_PT12_llPT13_lli.uses_vcc, 1
	.set _ZN12_GLOBAL__N_135rocblas_gemm_batched_general_kernelIfLi16ELi16ELi32ELi32ELi8ELi32ELi8ELi8ELi32ELc67ELc67EK16rocblas_bfloat16KffEEvlllT_PT11_llS6_llS4_PT12_llPT13_lli.uses_flat_scratch, 0
	.set _ZN12_GLOBAL__N_135rocblas_gemm_batched_general_kernelIfLi16ELi16ELi32ELi32ELi8ELi32ELi8ELi8ELi32ELc67ELc67EK16rocblas_bfloat16KffEEvlllT_PT11_llS6_llS4_PT12_llPT13_lli.has_dyn_sized_stack, 0
	.set _ZN12_GLOBAL__N_135rocblas_gemm_batched_general_kernelIfLi16ELi16ELi32ELi32ELi8ELi32ELi8ELi8ELi32ELc67ELc67EK16rocblas_bfloat16KffEEvlllT_PT11_llS6_llS4_PT12_llPT13_lli.has_recursion, 0
	.set _ZN12_GLOBAL__N_135rocblas_gemm_batched_general_kernelIfLi16ELi16ELi32ELi32ELi8ELi32ELi8ELi8ELi32ELc67ELc67EK16rocblas_bfloat16KffEEvlllT_PT11_llS6_llS4_PT12_llPT13_lli.has_indirect_call, 0
	.section	.AMDGPU.csdata,"",@progbits
; Kernel info:
; codeLenInByte = 1768
; TotalNumSgprs: 46
; NumVgprs: 52
; ScratchSize: 0
; MemoryBound: 0
; FloatMode: 240
; IeeeMode: 1
; LDSByteSize: 2048 bytes/workgroup (compile time only)
; SGPRBlocks: 0
; VGPRBlocks: 3
; NumSGPRsForWavesPerEU: 46
; NumVGPRsForWavesPerEU: 52
; NamedBarCnt: 0
; Occupancy: 16
; WaveLimiterHint : 0
; COMPUTE_PGM_RSRC2:SCRATCH_EN: 0
; COMPUTE_PGM_RSRC2:USER_SGPR: 2
; COMPUTE_PGM_RSRC2:TRAP_HANDLER: 0
; COMPUTE_PGM_RSRC2:TGID_X_EN: 1
; COMPUTE_PGM_RSRC2:TGID_Y_EN: 1
; COMPUTE_PGM_RSRC2:TGID_Z_EN: 1
; COMPUTE_PGM_RSRC2:TIDIG_COMP_CNT: 1
	.section	.text._ZN12_GLOBAL__N_135rocblas_gemm_batched_general_kernelIfLi16ELi16ELi32ELi32ELi8ELi32ELi8ELi8ELi32ELc67ELc78EK16rocblas_bfloat16KffEEvlllT_PT11_llS6_llS4_PT12_llPT13_lli,"axG",@progbits,_ZN12_GLOBAL__N_135rocblas_gemm_batched_general_kernelIfLi16ELi16ELi32ELi32ELi8ELi32ELi8ELi8ELi32ELc67ELc78EK16rocblas_bfloat16KffEEvlllT_PT11_llS6_llS4_PT12_llPT13_lli,comdat
	.globl	_ZN12_GLOBAL__N_135rocblas_gemm_batched_general_kernelIfLi16ELi16ELi32ELi32ELi8ELi32ELi8ELi8ELi32ELc67ELc78EK16rocblas_bfloat16KffEEvlllT_PT11_llS6_llS4_PT12_llPT13_lli ; -- Begin function _ZN12_GLOBAL__N_135rocblas_gemm_batched_general_kernelIfLi16ELi16ELi32ELi32ELi8ELi32ELi8ELi8ELi32ELc67ELc78EK16rocblas_bfloat16KffEEvlllT_PT11_llS6_llS4_PT12_llPT13_lli
	.p2align	8
	.type	_ZN12_GLOBAL__N_135rocblas_gemm_batched_general_kernelIfLi16ELi16ELi32ELi32ELi8ELi32ELi8ELi8ELi32ELc67ELc78EK16rocblas_bfloat16KffEEvlllT_PT11_llS6_llS4_PT12_llPT13_lli,@function
_ZN12_GLOBAL__N_135rocblas_gemm_batched_general_kernelIfLi16ELi16ELi32ELi32ELi8ELi32ELi8ELi8ELi32ELc67ELc78EK16rocblas_bfloat16KffEEvlllT_PT11_llS6_llS4_PT12_llPT13_lli: ; @_ZN12_GLOBAL__N_135rocblas_gemm_batched_general_kernelIfLi16ELi16ELi32ELi32ELi8ELi32ELi8ELi8ELi32ELc67ELc78EK16rocblas_bfloat16KffEEvlllT_PT11_llS6_llS4_PT12_llPT13_lli
; %bb.0:
	s_load_b32 s33, s[0:1], 0x88
	s_bfe_u32 s2, ttmp6, 0x40014
	s_lshr_b32 s3, ttmp7, 16
	s_add_co_i32 s2, s2, 1
	s_bfe_u32 s5, ttmp6, 0x40008
	s_mul_i32 s4, s3, s2
	s_getreg_b32 s2, hwreg(HW_REG_IB_STS2, 6, 4)
	s_add_co_i32 s5, s5, s4
	s_cmp_eq_u32 s2, 0
	s_mov_b32 s35, 0
	s_cselect_b32 s34, s3, s5
	s_wait_kmcnt 0x0
	s_cmp_ge_i32 s34, s33
	s_cbranch_scc1 .LBB468_34
; %bb.1:
	v_bfe_u32 v8, v0, 10, 10
	v_and_b32_e32 v10, 0x3ff, v0
	s_bfe_u32 s3, ttmp6, 0x4000c
	s_bfe_u32 s25, ttmp6, 0x40010
	s_clause 0x2
	s_load_b256 s[16:23], s[0:1], 0x20
	s_load_b128 s[4:7], s[0:1], 0x40
	s_load_b256 s[8:15], s[0:1], 0x58
	s_add_co_i32 s3, s3, 1
	s_and_b32 s26, ttmp7, 0xffff
	s_add_co_i32 s25, s25, 1
	v_lshl_add_u32 v1, v8, 4, v10
	v_mov_b32_e32 v9, 0
	s_and_b32 s24, ttmp6, 15
	s_mul_i32 s3, ttmp9, s3
	s_mul_i32 s25, s26, s25
	s_bfe_u32 s27, ttmp6, 0x40004
	s_add_co_i32 s24, s24, s3
	s_add_co_i32 s27, s27, s25
	s_cmp_eq_u32 s2, 0
	v_dual_mov_b32 v7, v9 :: v_dual_lshrrev_b32 v6, 3, v1
	v_and_b32_e32 v4, 31, v1
	s_cselect_b32 s3, s26, s27
	s_cselect_b32 s2, ttmp9, s24
	s_lshl_b32 s36, s3, 5
	s_mov_b32 s37, s35
	s_ashr_i32 s3, s2, 31
	v_add_nc_u64_e32 v[12:13], s[36:37], v[6:7]
	s_clause 0x1
	s_load_b32 s41, s[0:1], 0x50
	s_load_b128 s[24:27], s[0:1], 0x78
	s_lshl_b64 s[2:3], s[2:3], 5
	v_add_nc_u64_e32 v[18:19], s[36:37], v[8:9]
	v_dual_mov_b32 v15, s3 :: v_dual_bitop2_b32 v14, s2, v4 bitop3:0x54
	s_wait_kmcnt 0x0
	v_mul_u64_e32 v[16:17], s[4:5], v[12:13]
	s_clause 0x1
	s_load_b128 s[28:31], s[0:1], 0x0
	s_load_b96 s[36:38], s[0:1], 0x10
	v_dual_mov_b32 v3, v9 :: v_dual_lshlrev_b32 v24, 2, v4
	v_mul_u64_e32 v[20:21], s[18:19], v[14:15]
	v_mul_u64_e32 v[22:23], s[10:11], v[18:19]
	v_dual_mov_b32 v11, v9 :: v_dual_bitop2_b32 v0, 7, v0 bitop3:0x40
	v_dual_mov_b32 v1, v9 :: v_dual_lshrrev_b32 v2, 5, v1
	v_lshl_add_u32 v30, v8, 5, 0x400
	s_delay_alu instid0(VALU_DEP_3) | instskip(SKIP_3) | instid1(VALU_DEP_3)
	v_dual_lshlrev_b32 v7, 2, v0 :: v_dual_lshlrev_b32 v8, 1, v0
	v_lshlrev_b32_e32 v31, 2, v10
	v_mul_u64_e32 v[4:5], s[24:25], v[18:19]
	s_cmp_eq_f32 s41, 0
	v_lshl_or_b32 v25, v6, 5, v7
	v_add_nc_u64_e32 v[6:7], s[2:3], v[10:11]
	v_lshl_or_b32 v28, v2, 7, v24
	s_cselect_b32 s39, -1, 0
	s_wait_kmcnt 0x0
	v_cmp_gt_i64_e64 s1, s[30:31], v[12:13]
	v_add_nc_u64_e32 v[12:13], 16, v[18:19]
	v_cmp_gt_i64_e64 s0, s[28:29], v[14:15]
	v_cmp_gt_i64_e64 s2, s[30:31], v[18:19]
	v_add_nc_u64_e32 v[10:11], 16, v[6:7]
	v_cmp_gt_i64_e64 s3, s[28:29], v[6:7]
	v_add_nc_u32_e32 v29, 0x400, v25
	s_lshl_b64 s[18:19], s[24:25], 4
	v_cmp_gt_i64_e64 s5, s[30:31], v[12:13]
	s_mov_b32 s40, s38
	s_lshl_b64 s[6:7], s[6:7], 1
	v_lshl_add_u64 v[14:15], v[16:17], 1, v[8:9]
	v_lshlrev_b32_e32 v8, 1, v2
	v_cmp_gt_i64_e64 s4, s[28:29], v[10:11]
	s_delay_alu instid0(VALU_DEP_3) | instskip(NEXT) | instid1(VALU_DEP_3)
	v_add_nc_u64_e32 v[10:11], s[22:23], v[14:15]
	v_lshl_add_u64 v[12:13], v[20:21], 1, v[8:9]
	v_cmp_gt_i64_e64 s22, s[36:37], 0
	v_lshl_add_u64 v[8:9], v[22:23], 2, s[8:9]
	s_lshl_b64 s[8:9], s[10:11], 4
	s_lshl_b64 s[10:11], s[20:21], 1
	v_add_nc_u64_e32 v[12:13], s[16:17], v[12:13]
	s_branch .LBB468_4
.LBB468_2:                              ;   in Loop: Header=BB468_4 Depth=1
	s_wait_xcnt 0x0
	s_or_b32 exec_lo, exec_lo, s20
.LBB468_3:                              ;   in Loop: Header=BB468_4 Depth=1
	s_add_co_i32 s34, s34, 0x10000
	s_delay_alu instid0(SALU_CYCLE_1)
	s_cmp_lt_i32 s34, s33
	s_cbranch_scc0 .LBB468_34
.LBB468_4:                              ; =>This Loop Header: Depth=1
                                        ;     Child Loop BB468_7 Depth 2
	v_dual_mov_b32 v17, 0 :: v_dual_mov_b32 v16, 0
	v_dual_mov_b32 v15, 0 :: v_dual_mov_b32 v14, 0
	s_and_not1_b32 vcc_lo, exec_lo, s22
	s_cbranch_vccnz .LBB468_11
; %bb.5:                                ;   in Loop: Header=BB468_4 Depth=1
	v_mad_nc_u64_u32 v[18:19], s6, s34, v[10:11]
	v_mad_nc_u64_u32 v[20:21], s10, s34, v[12:13]
	v_mov_b32_e32 v16, 0
	s_mov_b64 s[16:17], 0
	s_delay_alu instid0(VALU_DEP_1)
	v_dual_mov_b32 v17, v16 :: v_dual_mov_b32 v14, v16
	v_mov_b32_e32 v15, v16
	v_mad_u32 v19, s7, s34, v19
	v_mad_u32 v21, s11, s34, v21
	s_branch .LBB468_7
.LBB468_6:                              ;   in Loop: Header=BB468_7 Depth=2
	s_wait_xcnt 0x0
	s_or_b32 exec_lo, exec_lo, s20
	ds_store_b32 v29, v23
	s_wait_dscnt 0x0
	s_barrier_signal -1
	s_barrier_wait -1
	ds_load_b128 v[22:25], v30
	ds_load_2addr_b32 v[26:27], v31 offset1:16
	ds_load_b128 v[32:35], v30 offset:512
	ds_load_2addr_b32 v[44:45], v31 offset0:32 offset1:48
	ds_load_2addr_b32 v[46:47], v31 offset0:64 offset1:80
	;; [unrolled: 1-line block ×3, first 2 shown]
	ds_load_b128 v[36:39], v30 offset:16
	ds_load_2addr_b32 v[50:51], v31 offset0:128 offset1:144
	ds_load_b128 v[40:43], v30 offset:528
	s_add_nc_u64 s[16:17], s[16:17], 8
	v_add_nc_u64_e32 v[18:19], 16, v[18:19]
	v_cmp_lt_i64_e64 s20, s[16:17], s[36:37]
	v_add_nc_u64_e32 v[20:21], 16, v[20:21]
	s_and_b32 vcc_lo, exec_lo, s20
	s_wait_dscnt 0x7
	v_pk_fma_f32 v[16:17], v[26:27], v[22:23], v[16:17] op_sel_hi:[1,0,1]
	s_wait_dscnt 0x6
	v_pk_fma_f32 v[14:15], v[26:27], v[32:33], v[14:15] op_sel_hi:[1,0,1]
	ds_load_2addr_b32 v[26:27], v31 offset0:160 offset1:176
	s_wait_dscnt 0x6
	v_pk_fma_f32 v[16:17], v[44:45], v[22:23], v[16:17] op_sel:[0,1,0]
	v_pk_fma_f32 v[14:15], v[44:45], v[32:33], v[14:15] op_sel:[0,1,0]
	ds_load_2addr_b32 v[22:23], v31 offset0:192 offset1:208
	v_dual_mov_b32 v32, v25 :: v_dual_mov_b32 v44, v35
	s_wait_dscnt 0x6
	v_pk_fma_f32 v[16:17], v[46:47], v[24:25], v[16:17] op_sel_hi:[1,0,1]
	v_pk_fma_f32 v[14:15], v[46:47], v[34:35], v[14:15] op_sel_hi:[1,0,1]
	ds_load_2addr_b32 v[24:25], v31 offset0:224 offset1:240
	s_wait_dscnt 0x0
	s_barrier_signal -1
	v_pk_fma_f32 v[16:17], v[48:49], v[32:33], v[16:17] op_sel_hi:[1,0,1]
	v_pk_fma_f32 v[14:15], v[48:49], v[44:45], v[14:15] op_sel_hi:[1,0,1]
	s_barrier_wait -1
	v_mov_b32_e32 v32, v43
	s_delay_alu instid0(VALU_DEP_3) | instskip(NEXT) | instid1(VALU_DEP_3)
	v_pk_fma_f32 v[16:17], v[50:51], v[36:37], v[16:17] op_sel_hi:[1,0,1]
	v_pk_fma_f32 v[14:15], v[50:51], v[40:41], v[14:15] op_sel_hi:[1,0,1]
	s_delay_alu instid0(VALU_DEP_2) | instskip(NEXT) | instid1(VALU_DEP_2)
	v_pk_fma_f32 v[16:17], v[26:27], v[36:37], v[16:17] op_sel:[0,1,0]
	v_pk_fma_f32 v[14:15], v[26:27], v[40:41], v[14:15] op_sel:[0,1,0]
	v_mov_b32_e32 v26, v39
	s_delay_alu instid0(VALU_DEP_3) | instskip(NEXT) | instid1(VALU_DEP_3)
	v_pk_fma_f32 v[16:17], v[22:23], v[38:39], v[16:17] op_sel_hi:[1,0,1]
	v_pk_fma_f32 v[14:15], v[22:23], v[42:43], v[14:15] op_sel_hi:[1,0,1]
	s_delay_alu instid0(VALU_DEP_2) | instskip(NEXT) | instid1(VALU_DEP_2)
	v_pk_fma_f32 v[16:17], v[24:25], v[26:27], v[16:17] op_sel_hi:[1,0,1]
	v_pk_fma_f32 v[14:15], v[24:25], v[32:33], v[14:15] op_sel_hi:[1,0,1]
	s_cbranch_vccz .LBB468_11
.LBB468_7:                              ;   Parent Loop BB468_4 Depth=1
                                        ; =>  This Inner Loop Header: Depth=2
	v_add_nc_u64_e32 v[22:23], s[16:17], v[2:3]
	s_delay_alu instid0(VALU_DEP_1) | instskip(SKIP_2) | instid1(SALU_CYCLE_1)
	v_cmp_gt_i64_e32 vcc_lo, s[36:37], v[22:23]
	v_mov_b32_e32 v22, 0
	s_and_b32 s21, s0, vcc_lo
	s_and_saveexec_b32 s20, s21
	s_cbranch_execz .LBB468_9
; %bb.8:                                ;   in Loop: Header=BB468_7 Depth=2
	global_load_u16 v22, v[20:21], off
	s_wait_loadcnt 0x0
	v_lshlrev_b32_e32 v22, 16, v22
.LBB468_9:                              ;   in Loop: Header=BB468_7 Depth=2
	s_wait_xcnt 0x0
	s_or_b32 exec_lo, exec_lo, s20
	v_add_nc_u64_e32 v[24:25], s[16:17], v[0:1]
	v_mov_b32_e32 v23, 0
	ds_store_b32 v28, v22
	v_cmp_gt_i64_e32 vcc_lo, s[36:37], v[24:25]
	s_and_b32 s21, vcc_lo, s1
	s_delay_alu instid0(SALU_CYCLE_1)
	s_and_saveexec_b32 s20, s21
	s_cbranch_execz .LBB468_6
; %bb.10:                               ;   in Loop: Header=BB468_7 Depth=2
	global_load_u16 v22, v[18:19], off
	s_wait_loadcnt 0x0
	v_lshlrev_b32_e32 v23, 16, v22
	s_branch .LBB468_6
.LBB468_11:                             ;   in Loop: Header=BB468_4 Depth=1
	s_mul_u64 s[16:17], s[26:27], s[34:35]
	s_and_not1_b32 vcc_lo, exec_lo, s39
	s_lshl_b64 s[16:17], s[16:17], 2
	s_delay_alu instid0(SALU_CYCLE_1)
	s_add_nc_u64 s[16:17], s[14:15], s[16:17]
	s_cbranch_vccnz .LBB468_16
; %bb.12:                               ;   in Loop: Header=BB468_4 Depth=1
	s_and_saveexec_b32 s20, s2
	s_cbranch_execz .LBB468_23
; %bb.13:                               ;   in Loop: Header=BB468_4 Depth=1
	v_lshl_add_u64 v[18:19], v[4:5], 2, s[16:17]
	s_delay_alu instid0(VALU_DEP_1)
	v_lshl_add_u64 v[20:21], v[6:7], 2, v[18:19]
	s_and_saveexec_b32 s21, s3
	s_cbranch_execnz .LBB468_17
; %bb.14:                               ;   in Loop: Header=BB468_4 Depth=1
	s_or_b32 exec_lo, exec_lo, s21
	s_and_saveexec_b32 s21, s4
	s_cbranch_execnz .LBB468_18
.LBB468_15:                             ;   in Loop: Header=BB468_4 Depth=1
	s_or_b32 exec_lo, exec_lo, s21
	s_delay_alu instid0(SALU_CYCLE_1)
	s_and_b32 exec_lo, exec_lo, s5
	s_cbranch_execnz .LBB468_19
	s_branch .LBB468_23
.LBB468_16:                             ;   in Loop: Header=BB468_4 Depth=1
	s_branch .LBB468_24
.LBB468_17:                             ;   in Loop: Header=BB468_4 Depth=1
	v_mul_f32_e32 v22, s38, v16
	global_store_b32 v[20:21], v22, off
	s_wait_xcnt 0x0
	s_or_b32 exec_lo, exec_lo, s21
	s_and_saveexec_b32 s21, s4
	s_cbranch_execz .LBB468_15
.LBB468_18:                             ;   in Loop: Header=BB468_4 Depth=1
	v_mul_f32_e32 v22, s38, v17
	global_store_b32 v[20:21], v22, off offset:64
	s_wait_xcnt 0x0
	s_or_b32 exec_lo, exec_lo, s21
	s_delay_alu instid0(SALU_CYCLE_1)
	s_and_b32 exec_lo, exec_lo, s5
	s_cbranch_execz .LBB468_23
.LBB468_19:                             ;   in Loop: Header=BB468_4 Depth=1
	v_lshl_add_u64 v[18:19], s[18:19], 2, v[18:19]
	s_delay_alu instid0(VALU_DEP_1)
	v_lshl_add_u64 v[18:19], v[6:7], 2, v[18:19]
	s_and_saveexec_b32 s21, s3
	s_cbranch_execz .LBB468_21
; %bb.20:                               ;   in Loop: Header=BB468_4 Depth=1
	v_mul_f32_e32 v20, s38, v14
	global_store_b32 v[18:19], v20, off
.LBB468_21:                             ;   in Loop: Header=BB468_4 Depth=1
	s_wait_xcnt 0x0
	s_or_b32 exec_lo, exec_lo, s21
	s_delay_alu instid0(SALU_CYCLE_1)
	s_and_b32 exec_lo, exec_lo, s4
	s_cbranch_execz .LBB468_23
; %bb.22:                               ;   in Loop: Header=BB468_4 Depth=1
	v_mul_f32_e32 v20, s38, v15
	global_store_b32 v[18:19], v20, off offset:64
.LBB468_23:                             ;   in Loop: Header=BB468_4 Depth=1
	s_wait_xcnt 0x0
	s_or_b32 exec_lo, exec_lo, s20
	s_cbranch_execnz .LBB468_3
.LBB468_24:                             ;   in Loop: Header=BB468_4 Depth=1
	s_and_saveexec_b32 s20, s2
	s_cbranch_execz .LBB468_2
; %bb.25:                               ;   in Loop: Header=BB468_4 Depth=1
	s_mul_u64 s[24:25], s[12:13], s[34:35]
	v_lshlrev_b64_e32 v[18:19], 2, v[6:7]
	v_lshl_add_u64 v[20:21], s[24:25], 2, v[8:9]
	v_lshl_add_u64 v[22:23], v[4:5], 2, s[16:17]
	s_delay_alu instid0(VALU_DEP_2) | instskip(NEXT) | instid1(VALU_DEP_2)
	v_add_nc_u64_e32 v[26:27], v[20:21], v[18:19]
	v_add_nc_u64_e32 v[24:25], v[22:23], v[18:19]
	s_and_saveexec_b32 s16, s3
	s_cbranch_execnz .LBB468_28
; %bb.26:                               ;   in Loop: Header=BB468_4 Depth=1
	s_or_b32 exec_lo, exec_lo, s16
	s_and_saveexec_b32 s16, s4
	s_cbranch_execnz .LBB468_29
.LBB468_27:                             ;   in Loop: Header=BB468_4 Depth=1
	s_or_b32 exec_lo, exec_lo, s16
	s_delay_alu instid0(SALU_CYCLE_1)
	s_and_b32 exec_lo, exec_lo, s5
	s_cbranch_execz .LBB468_2
	s_branch .LBB468_30
.LBB468_28:                             ;   in Loop: Header=BB468_4 Depth=1
	global_load_b32 v33, v[26:27], off
	v_mov_b64_e32 v[34:35], s[40:41]
	v_mov_b32_e32 v32, v16
	s_wait_loadcnt 0x0
	s_delay_alu instid0(VALU_DEP_1) | instskip(NEXT) | instid1(VALU_DEP_1)
	v_pk_mul_f32 v[32:33], v[34:35], v[32:33]
	v_add_f32_e32 v16, v32, v33
	global_store_b32 v[24:25], v16, off
	s_wait_xcnt 0x0
	s_or_b32 exec_lo, exec_lo, s16
	s_and_saveexec_b32 s16, s4
	s_cbranch_execz .LBB468_27
.LBB468_29:                             ;   in Loop: Header=BB468_4 Depth=1
	global_load_b32 v27, v[26:27], off offset:64
	s_wait_xcnt 0x0
	v_mov_b32_e32 v26, v17
	v_mov_b64_e32 v[16:17], s[40:41]
	s_wait_loadcnt 0x0
	s_delay_alu instid0(VALU_DEP_1) | instskip(NEXT) | instid1(VALU_DEP_1)
	v_pk_mul_f32 v[16:17], v[16:17], v[26:27]
	v_add_f32_e32 v16, v16, v17
	global_store_b32 v[24:25], v16, off offset:64
	s_wait_xcnt 0x0
	s_or_b32 exec_lo, exec_lo, s16
	s_delay_alu instid0(SALU_CYCLE_1)
	s_and_b32 exec_lo, exec_lo, s5
	s_cbranch_execz .LBB468_2
.LBB468_30:                             ;   in Loop: Header=BB468_4 Depth=1
	v_lshl_add_u64 v[16:17], s[8:9], 2, v[20:21]
	v_lshl_add_u64 v[22:23], s[18:19], 2, v[22:23]
	s_delay_alu instid0(VALU_DEP_2) | instskip(NEXT) | instid1(VALU_DEP_2)
	v_add_nc_u64_e32 v[20:21], v[16:17], v[18:19]
	v_add_nc_u64_e32 v[16:17], v[22:23], v[18:19]
	s_and_saveexec_b32 s16, s3
	s_cbranch_execz .LBB468_32
; %bb.31:                               ;   in Loop: Header=BB468_4 Depth=1
	global_load_b32 v19, v[20:21], off
	v_mov_b64_e32 v[22:23], s[40:41]
	v_mov_b32_e32 v18, v14
	s_wait_loadcnt 0x0
	s_delay_alu instid0(VALU_DEP_1) | instskip(NEXT) | instid1(VALU_DEP_1)
	v_pk_mul_f32 v[18:19], v[22:23], v[18:19]
	v_add_f32_e32 v14, v18, v19
	global_store_b32 v[16:17], v14, off
.LBB468_32:                             ;   in Loop: Header=BB468_4 Depth=1
	s_wait_xcnt 0x0
	s_or_b32 exec_lo, exec_lo, s16
	s_delay_alu instid0(SALU_CYCLE_1)
	s_and_b32 exec_lo, exec_lo, s4
	s_cbranch_execz .LBB468_2
; %bb.33:                               ;   in Loop: Header=BB468_4 Depth=1
	global_load_b32 v19, v[20:21], off offset:64
	v_mov_b32_e32 v18, v15
	v_mov_b64_e32 v[14:15], s[40:41]
	s_wait_loadcnt 0x0
	s_delay_alu instid0(VALU_DEP_1) | instskip(NEXT) | instid1(VALU_DEP_1)
	v_pk_mul_f32 v[14:15], v[14:15], v[18:19]
	v_add_f32_e32 v14, v14, v15
	global_store_b32 v[16:17], v14, off offset:64
	s_branch .LBB468_2
.LBB468_34:
	s_endpgm
	.section	.rodata,"a",@progbits
	.p2align	6, 0x0
	.amdhsa_kernel _ZN12_GLOBAL__N_135rocblas_gemm_batched_general_kernelIfLi16ELi16ELi32ELi32ELi8ELi32ELi8ELi8ELi32ELc67ELc78EK16rocblas_bfloat16KffEEvlllT_PT11_llS6_llS4_PT12_llPT13_lli
		.amdhsa_group_segment_fixed_size 2048
		.amdhsa_private_segment_fixed_size 0
		.amdhsa_kernarg_size 140
		.amdhsa_user_sgpr_count 2
		.amdhsa_user_sgpr_dispatch_ptr 0
		.amdhsa_user_sgpr_queue_ptr 0
		.amdhsa_user_sgpr_kernarg_segment_ptr 1
		.amdhsa_user_sgpr_dispatch_id 0
		.amdhsa_user_sgpr_kernarg_preload_length 0
		.amdhsa_user_sgpr_kernarg_preload_offset 0
		.amdhsa_user_sgpr_private_segment_size 0
		.amdhsa_wavefront_size32 1
		.amdhsa_uses_dynamic_stack 0
		.amdhsa_enable_private_segment 0
		.amdhsa_system_sgpr_workgroup_id_x 1
		.amdhsa_system_sgpr_workgroup_id_y 1
		.amdhsa_system_sgpr_workgroup_id_z 1
		.amdhsa_system_sgpr_workgroup_info 0
		.amdhsa_system_vgpr_workitem_id 1
		.amdhsa_next_free_vgpr 52
		.amdhsa_next_free_sgpr 42
		.amdhsa_named_barrier_count 0
		.amdhsa_reserve_vcc 1
		.amdhsa_float_round_mode_32 0
		.amdhsa_float_round_mode_16_64 0
		.amdhsa_float_denorm_mode_32 3
		.amdhsa_float_denorm_mode_16_64 3
		.amdhsa_fp16_overflow 0
		.amdhsa_memory_ordered 1
		.amdhsa_forward_progress 1
		.amdhsa_inst_pref_size 14
		.amdhsa_round_robin_scheduling 0
		.amdhsa_exception_fp_ieee_invalid_op 0
		.amdhsa_exception_fp_denorm_src 0
		.amdhsa_exception_fp_ieee_div_zero 0
		.amdhsa_exception_fp_ieee_overflow 0
		.amdhsa_exception_fp_ieee_underflow 0
		.amdhsa_exception_fp_ieee_inexact 0
		.amdhsa_exception_int_div_zero 0
	.end_amdhsa_kernel
	.section	.text._ZN12_GLOBAL__N_135rocblas_gemm_batched_general_kernelIfLi16ELi16ELi32ELi32ELi8ELi32ELi8ELi8ELi32ELc67ELc78EK16rocblas_bfloat16KffEEvlllT_PT11_llS6_llS4_PT12_llPT13_lli,"axG",@progbits,_ZN12_GLOBAL__N_135rocblas_gemm_batched_general_kernelIfLi16ELi16ELi32ELi32ELi8ELi32ELi8ELi8ELi32ELc67ELc78EK16rocblas_bfloat16KffEEvlllT_PT11_llS6_llS4_PT12_llPT13_lli,comdat
.Lfunc_end468:
	.size	_ZN12_GLOBAL__N_135rocblas_gemm_batched_general_kernelIfLi16ELi16ELi32ELi32ELi8ELi32ELi8ELi8ELi32ELc67ELc78EK16rocblas_bfloat16KffEEvlllT_PT11_llS6_llS4_PT12_llPT13_lli, .Lfunc_end468-_ZN12_GLOBAL__N_135rocblas_gemm_batched_general_kernelIfLi16ELi16ELi32ELi32ELi8ELi32ELi8ELi8ELi32ELc67ELc78EK16rocblas_bfloat16KffEEvlllT_PT11_llS6_llS4_PT12_llPT13_lli
                                        ; -- End function
	.set _ZN12_GLOBAL__N_135rocblas_gemm_batched_general_kernelIfLi16ELi16ELi32ELi32ELi8ELi32ELi8ELi8ELi32ELc67ELc78EK16rocblas_bfloat16KffEEvlllT_PT11_llS6_llS4_PT12_llPT13_lli.num_vgpr, 52
	.set _ZN12_GLOBAL__N_135rocblas_gemm_batched_general_kernelIfLi16ELi16ELi32ELi32ELi8ELi32ELi8ELi8ELi32ELc67ELc78EK16rocblas_bfloat16KffEEvlllT_PT11_llS6_llS4_PT12_llPT13_lli.num_agpr, 0
	.set _ZN12_GLOBAL__N_135rocblas_gemm_batched_general_kernelIfLi16ELi16ELi32ELi32ELi8ELi32ELi8ELi8ELi32ELc67ELc78EK16rocblas_bfloat16KffEEvlllT_PT11_llS6_llS4_PT12_llPT13_lli.numbered_sgpr, 42
	.set _ZN12_GLOBAL__N_135rocblas_gemm_batched_general_kernelIfLi16ELi16ELi32ELi32ELi8ELi32ELi8ELi8ELi32ELc67ELc78EK16rocblas_bfloat16KffEEvlllT_PT11_llS6_llS4_PT12_llPT13_lli.num_named_barrier, 0
	.set _ZN12_GLOBAL__N_135rocblas_gemm_batched_general_kernelIfLi16ELi16ELi32ELi32ELi8ELi32ELi8ELi8ELi32ELc67ELc78EK16rocblas_bfloat16KffEEvlllT_PT11_llS6_llS4_PT12_llPT13_lli.private_seg_size, 0
	.set _ZN12_GLOBAL__N_135rocblas_gemm_batched_general_kernelIfLi16ELi16ELi32ELi32ELi8ELi32ELi8ELi8ELi32ELc67ELc78EK16rocblas_bfloat16KffEEvlllT_PT11_llS6_llS4_PT12_llPT13_lli.uses_vcc, 1
	.set _ZN12_GLOBAL__N_135rocblas_gemm_batched_general_kernelIfLi16ELi16ELi32ELi32ELi8ELi32ELi8ELi8ELi32ELc67ELc78EK16rocblas_bfloat16KffEEvlllT_PT11_llS6_llS4_PT12_llPT13_lli.uses_flat_scratch, 0
	.set _ZN12_GLOBAL__N_135rocblas_gemm_batched_general_kernelIfLi16ELi16ELi32ELi32ELi8ELi32ELi8ELi8ELi32ELc67ELc78EK16rocblas_bfloat16KffEEvlllT_PT11_llS6_llS4_PT12_llPT13_lli.has_dyn_sized_stack, 0
	.set _ZN12_GLOBAL__N_135rocblas_gemm_batched_general_kernelIfLi16ELi16ELi32ELi32ELi8ELi32ELi8ELi8ELi32ELc67ELc78EK16rocblas_bfloat16KffEEvlllT_PT11_llS6_llS4_PT12_llPT13_lli.has_recursion, 0
	.set _ZN12_GLOBAL__N_135rocblas_gemm_batched_general_kernelIfLi16ELi16ELi32ELi32ELi8ELi32ELi8ELi8ELi32ELc67ELc78EK16rocblas_bfloat16KffEEvlllT_PT11_llS6_llS4_PT12_llPT13_lli.has_indirect_call, 0
	.section	.AMDGPU.csdata,"",@progbits
; Kernel info:
; codeLenInByte = 1756
; TotalNumSgprs: 44
; NumVgprs: 52
; ScratchSize: 0
; MemoryBound: 0
; FloatMode: 240
; IeeeMode: 1
; LDSByteSize: 2048 bytes/workgroup (compile time only)
; SGPRBlocks: 0
; VGPRBlocks: 3
; NumSGPRsForWavesPerEU: 44
; NumVGPRsForWavesPerEU: 52
; NamedBarCnt: 0
; Occupancy: 16
; WaveLimiterHint : 0
; COMPUTE_PGM_RSRC2:SCRATCH_EN: 0
; COMPUTE_PGM_RSRC2:USER_SGPR: 2
; COMPUTE_PGM_RSRC2:TRAP_HANDLER: 0
; COMPUTE_PGM_RSRC2:TGID_X_EN: 1
; COMPUTE_PGM_RSRC2:TGID_Y_EN: 1
; COMPUTE_PGM_RSRC2:TGID_Z_EN: 1
; COMPUTE_PGM_RSRC2:TIDIG_COMP_CNT: 1
	.section	.text._ZN12_GLOBAL__N_135rocblas_gemm_batched_general_kernelIfLi16ELi16ELi32ELi32ELi8ELi32ELi8ELi8ELi32ELc67ELc84EK16rocblas_bfloat16KffEEvlllT_PT11_llS6_llS4_PT12_llPT13_lli,"axG",@progbits,_ZN12_GLOBAL__N_135rocblas_gemm_batched_general_kernelIfLi16ELi16ELi32ELi32ELi8ELi32ELi8ELi8ELi32ELc67ELc84EK16rocblas_bfloat16KffEEvlllT_PT11_llS6_llS4_PT12_llPT13_lli,comdat
	.globl	_ZN12_GLOBAL__N_135rocblas_gemm_batched_general_kernelIfLi16ELi16ELi32ELi32ELi8ELi32ELi8ELi8ELi32ELc67ELc84EK16rocblas_bfloat16KffEEvlllT_PT11_llS6_llS4_PT12_llPT13_lli ; -- Begin function _ZN12_GLOBAL__N_135rocblas_gemm_batched_general_kernelIfLi16ELi16ELi32ELi32ELi8ELi32ELi8ELi8ELi32ELc67ELc84EK16rocblas_bfloat16KffEEvlllT_PT11_llS6_llS4_PT12_llPT13_lli
	.p2align	8
	.type	_ZN12_GLOBAL__N_135rocblas_gemm_batched_general_kernelIfLi16ELi16ELi32ELi32ELi8ELi32ELi8ELi8ELi32ELc67ELc84EK16rocblas_bfloat16KffEEvlllT_PT11_llS6_llS4_PT12_llPT13_lli,@function
_ZN12_GLOBAL__N_135rocblas_gemm_batched_general_kernelIfLi16ELi16ELi32ELi32ELi8ELi32ELi8ELi8ELi32ELc67ELc84EK16rocblas_bfloat16KffEEvlllT_PT11_llS6_llS4_PT12_llPT13_lli: ; @_ZN12_GLOBAL__N_135rocblas_gemm_batched_general_kernelIfLi16ELi16ELi32ELi32ELi8ELi32ELi8ELi8ELi32ELc67ELc84EK16rocblas_bfloat16KffEEvlllT_PT11_llS6_llS4_PT12_llPT13_lli
; %bb.0:
	s_load_b32 s33, s[0:1], 0x88
	s_bfe_u32 s2, ttmp6, 0x40014
	s_lshr_b32 s3, ttmp7, 16
	s_add_co_i32 s2, s2, 1
	s_bfe_u32 s5, ttmp6, 0x40008
	s_mul_i32 s4, s3, s2
	s_getreg_b32 s2, hwreg(HW_REG_IB_STS2, 6, 4)
	s_add_co_i32 s5, s5, s4
	s_cmp_eq_u32 s2, 0
	s_mov_b32 s35, 0
	s_cselect_b32 s34, s3, s5
	s_wait_kmcnt 0x0
	s_cmp_ge_i32 s34, s33
	s_cbranch_scc1 .LBB469_34
; %bb.1:
	s_clause 0x4
	s_load_b128 s[4:7], s[0:1], 0x0
	s_load_b256 s[16:23], s[0:1], 0x20
	s_load_b128 s[28:31], s[0:1], 0x40
	s_load_b32 s41, s[0:1], 0x50
	s_load_b256 s[8:15], s[0:1], 0x58
	v_bfe_u32 v8, v0, 10, 10
	v_and_b32_e32 v10, 0x3ff, v0
	v_dual_mov_b32 v9, 0 :: v_dual_bitop2_b32 v0, 7, v0 bitop3:0x40
	s_bfe_u32 s3, ttmp6, 0x4000c
	s_bfe_u32 s25, ttmp6, 0x40010
	s_add_co_i32 s3, s3, 1
	s_and_b32 s26, ttmp7, 0xffff
	s_add_co_i32 s25, s25, 1
	s_and_b32 s24, ttmp6, 15
	s_mul_i32 s3, ttmp9, s3
	s_mul_i32 s25, s26, s25
	s_bfe_u32 s27, ttmp6, 0x40004
	v_lshl_add_u32 v2, v8, 4, v10
	v_mov_b32_e32 v1, v9
	s_add_co_i32 s24, s24, s3
	s_add_co_i32 s27, s27, s25
	s_cmp_eq_u32 s2, 0
	v_and_b32_e32 v3, 31, v2
	s_cselect_b32 s2, ttmp9, s24
	s_wait_kmcnt 0x0
	v_mul_u64_e32 v[12:13], s[28:29], v[0:1]
	s_cselect_b32 s40, s26, s27
	s_ashr_i32 s3, s2, 31
	s_clause 0x1
	s_load_b128 s[24:27], s[0:1], 0x78
	s_load_b96 s[36:38], s[0:1], 0x10
	s_lshl_b64 s[2:3], s[2:3], 5
	s_lshl_b32 s42, s40, 5
	v_dual_mov_b32 v5, s3 :: v_dual_bitop2_b32 v4, s2, v3 bitop3:0x54
	s_mov_b32 s43, s35
	v_dual_mov_b32 v11, v9 :: v_dual_lshrrev_b32 v16, 3, v2
	v_add_nc_u64_e32 v[14:15], s[42:43], v[8:9]
	s_delay_alu instid0(VALU_DEP_3)
	v_mul_u64_e32 v[18:19], s[18:19], v[4:5]
	v_dual_mov_b32 v17, v9 :: v_dual_lshrrev_b32 v2, 5, v2
	s_wait_xcnt 0x0
	v_cmp_gt_i64_e64 s0, s[4:5], v[4:5]
	s_cmp_eq_f32 s41, 0
	v_dual_lshlrev_b32 v22, 2, v0 :: v_dual_lshlrev_b32 v23, 2, v3
	v_mul_u64_e32 v[20:21], s[10:11], v[14:15]
	v_add_nc_u64_e32 v[6:7], s[42:43], v[16:17]
	s_cselect_b32 s39, -1, 0
	s_wait_kmcnt 0x0
	v_mul_u64_e32 v[4:5], s[24:25], v[14:15]
	v_mov_b32_e32 v3, v9
	v_lshl_add_u32 v30, v8, 5, 0x400
	v_lshlrev_b32_e32 v8, 1, v16
	v_lshl_or_b32 v17, v16, 5, v22
	v_cmp_gt_i64_e64 s1, s[6:7], v[6:7]
	v_add_nc_u64_e32 v[6:7], s[2:3], v[10:11]
	s_lshl_b32 s2, s40, 6
	s_mov_b32 s3, s35
	v_lshlrev_b32_e32 v31, 2, v10
	v_lshl_add_u64 v[12:13], v[12:13], 1, s[2:3]
	v_lshl_or_b32 v28, v2, 7, v23
	v_add_nc_u32_e32 v29, 0x400, v17
	v_add_nc_u64_e32 v[16:17], 16, v[6:7]
	v_add_nc_u64_e32 v[22:23], 16, v[14:15]
	;; [unrolled: 1-line block ×3, first 2 shown]
	v_lshlrev_b32_e32 v8, 1, v2
	v_cmp_gt_i64_e64 s2, s[6:7], v[14:15]
	v_cmp_gt_i64_e64 s3, s[4:5], v[6:7]
	s_mov_b32 s40, s38
	v_cmp_gt_i64_e64 s4, s[4:5], v[16:17]
	v_cmp_gt_i64_e64 s5, s[6:7], v[22:23]
	v_lshl_add_u64 v[12:13], v[18:19], 1, v[8:9]
	v_add_nc_u64_e32 v[10:11], s[22:23], v[10:11]
	v_cmp_gt_i64_e64 s22, s[36:37], 0
	s_lshl_b64 s[6:7], s[24:25], 4
	s_lshl_b64 s[10:11], s[10:11], 4
	v_add_nc_u64_e32 v[12:13], s[16:17], v[12:13]
	s_lshl_b64 s[16:17], s[28:29], 4
	v_lshl_add_u64 v[8:9], v[20:21], 2, s[8:9]
	s_lshl_b64 s[8:9], s[30:31], 1
	s_lshl_b64 s[18:19], s[20:21], 1
	s_branch .LBB469_4
.LBB469_2:                              ;   in Loop: Header=BB469_4 Depth=1
	s_wait_xcnt 0x0
	s_or_b32 exec_lo, exec_lo, s23
.LBB469_3:                              ;   in Loop: Header=BB469_4 Depth=1
	s_add_co_i32 s34, s34, 0x10000
	s_delay_alu instid0(SALU_CYCLE_1)
	s_cmp_lt_i32 s34, s33
	s_cbranch_scc0 .LBB469_34
.LBB469_4:                              ; =>This Loop Header: Depth=1
                                        ;     Child Loop BB469_7 Depth 2
	v_dual_mov_b32 v17, 0 :: v_dual_mov_b32 v16, 0
	v_dual_mov_b32 v15, 0 :: v_dual_mov_b32 v14, 0
	s_and_not1_b32 vcc_lo, exec_lo, s22
	s_cbranch_vccnz .LBB469_11
; %bb.5:                                ;   in Loop: Header=BB469_4 Depth=1
	v_mad_nc_u64_u32 v[18:19], s8, s34, v[10:11]
	v_mad_nc_u64_u32 v[20:21], s18, s34, v[12:13]
	v_mov_b32_e32 v16, 0
	s_mov_b64 s[20:21], 0
	s_delay_alu instid0(VALU_DEP_1)
	v_dual_mov_b32 v17, v16 :: v_dual_mov_b32 v14, v16
	v_mov_b32_e32 v15, v16
	v_mad_u32 v19, s9, s34, v19
	v_mad_u32 v21, s19, s34, v21
	s_branch .LBB469_7
.LBB469_6:                              ;   in Loop: Header=BB469_7 Depth=2
	s_wait_xcnt 0x0
	s_or_b32 exec_lo, exec_lo, s23
	ds_store_b32 v29, v23
	s_wait_dscnt 0x0
	s_barrier_signal -1
	s_barrier_wait -1
	ds_load_b128 v[22:25], v30
	ds_load_2addr_b32 v[26:27], v31 offset1:16
	ds_load_b128 v[32:35], v30 offset:512
	ds_load_2addr_b32 v[44:45], v31 offset0:32 offset1:48
	ds_load_2addr_b32 v[46:47], v31 offset0:64 offset1:80
	;; [unrolled: 1-line block ×3, first 2 shown]
	ds_load_b128 v[36:39], v30 offset:16
	ds_load_2addr_b32 v[50:51], v31 offset0:128 offset1:144
	ds_load_b128 v[40:43], v30 offset:528
	s_add_nc_u64 s[20:21], s[20:21], 8
	v_add_nc_u64_e32 v[18:19], s[16:17], v[18:19]
	v_cmp_lt_i64_e64 s23, s[20:21], s[36:37]
	v_add_nc_u64_e32 v[20:21], 16, v[20:21]
	s_and_b32 vcc_lo, exec_lo, s23
	s_wait_dscnt 0x7
	v_pk_fma_f32 v[16:17], v[26:27], v[22:23], v[16:17] op_sel_hi:[1,0,1]
	s_wait_dscnt 0x6
	v_pk_fma_f32 v[14:15], v[26:27], v[32:33], v[14:15] op_sel_hi:[1,0,1]
	ds_load_2addr_b32 v[26:27], v31 offset0:160 offset1:176
	s_wait_dscnt 0x6
	v_pk_fma_f32 v[16:17], v[44:45], v[22:23], v[16:17] op_sel:[0,1,0]
	v_pk_fma_f32 v[14:15], v[44:45], v[32:33], v[14:15] op_sel:[0,1,0]
	ds_load_2addr_b32 v[22:23], v31 offset0:192 offset1:208
	v_dual_mov_b32 v32, v25 :: v_dual_mov_b32 v44, v35
	s_wait_dscnt 0x6
	v_pk_fma_f32 v[16:17], v[46:47], v[24:25], v[16:17] op_sel_hi:[1,0,1]
	v_pk_fma_f32 v[14:15], v[46:47], v[34:35], v[14:15] op_sel_hi:[1,0,1]
	ds_load_2addr_b32 v[24:25], v31 offset0:224 offset1:240
	s_wait_dscnt 0x0
	s_barrier_signal -1
	v_pk_fma_f32 v[16:17], v[48:49], v[32:33], v[16:17] op_sel_hi:[1,0,1]
	v_pk_fma_f32 v[14:15], v[48:49], v[44:45], v[14:15] op_sel_hi:[1,0,1]
	s_barrier_wait -1
	v_mov_b32_e32 v32, v43
	s_delay_alu instid0(VALU_DEP_3) | instskip(NEXT) | instid1(VALU_DEP_3)
	v_pk_fma_f32 v[16:17], v[50:51], v[36:37], v[16:17] op_sel_hi:[1,0,1]
	v_pk_fma_f32 v[14:15], v[50:51], v[40:41], v[14:15] op_sel_hi:[1,0,1]
	s_delay_alu instid0(VALU_DEP_2) | instskip(NEXT) | instid1(VALU_DEP_2)
	v_pk_fma_f32 v[16:17], v[26:27], v[36:37], v[16:17] op_sel:[0,1,0]
	v_pk_fma_f32 v[14:15], v[26:27], v[40:41], v[14:15] op_sel:[0,1,0]
	v_mov_b32_e32 v26, v39
	s_delay_alu instid0(VALU_DEP_3) | instskip(NEXT) | instid1(VALU_DEP_3)
	v_pk_fma_f32 v[16:17], v[22:23], v[38:39], v[16:17] op_sel_hi:[1,0,1]
	v_pk_fma_f32 v[14:15], v[22:23], v[42:43], v[14:15] op_sel_hi:[1,0,1]
	s_delay_alu instid0(VALU_DEP_2) | instskip(NEXT) | instid1(VALU_DEP_2)
	v_pk_fma_f32 v[16:17], v[24:25], v[26:27], v[16:17] op_sel_hi:[1,0,1]
	v_pk_fma_f32 v[14:15], v[24:25], v[32:33], v[14:15] op_sel_hi:[1,0,1]
	s_cbranch_vccz .LBB469_11
.LBB469_7:                              ;   Parent Loop BB469_4 Depth=1
                                        ; =>  This Inner Loop Header: Depth=2
	v_add_nc_u64_e32 v[22:23], s[20:21], v[2:3]
	s_delay_alu instid0(VALU_DEP_1) | instskip(SKIP_2) | instid1(SALU_CYCLE_1)
	v_cmp_gt_i64_e32 vcc_lo, s[36:37], v[22:23]
	v_mov_b32_e32 v22, 0
	s_and_b32 s24, s0, vcc_lo
	s_and_saveexec_b32 s23, s24
	s_cbranch_execz .LBB469_9
; %bb.8:                                ;   in Loop: Header=BB469_7 Depth=2
	global_load_u16 v22, v[20:21], off
	s_wait_loadcnt 0x0
	v_lshlrev_b32_e32 v22, 16, v22
.LBB469_9:                              ;   in Loop: Header=BB469_7 Depth=2
	s_wait_xcnt 0x0
	s_or_b32 exec_lo, exec_lo, s23
	v_add_nc_u64_e32 v[24:25], s[20:21], v[0:1]
	v_mov_b32_e32 v23, 0
	ds_store_b32 v28, v22
	v_cmp_gt_i64_e32 vcc_lo, s[36:37], v[24:25]
	s_and_b32 s24, vcc_lo, s1
	s_delay_alu instid0(SALU_CYCLE_1)
	s_and_saveexec_b32 s23, s24
	s_cbranch_execz .LBB469_6
; %bb.10:                               ;   in Loop: Header=BB469_7 Depth=2
	global_load_u16 v22, v[18:19], off
	s_wait_loadcnt 0x0
	v_lshlrev_b32_e32 v23, 16, v22
	s_branch .LBB469_6
.LBB469_11:                             ;   in Loop: Header=BB469_4 Depth=1
	s_mul_u64 s[20:21], s[26:27], s[34:35]
	s_and_not1_b32 vcc_lo, exec_lo, s39
	s_lshl_b64 s[20:21], s[20:21], 2
	s_delay_alu instid0(SALU_CYCLE_1)
	s_add_nc_u64 s[20:21], s[14:15], s[20:21]
	s_cbranch_vccnz .LBB469_16
; %bb.12:                               ;   in Loop: Header=BB469_4 Depth=1
	s_and_saveexec_b32 s23, s2
	s_cbranch_execz .LBB469_23
; %bb.13:                               ;   in Loop: Header=BB469_4 Depth=1
	v_lshl_add_u64 v[18:19], v[4:5], 2, s[20:21]
	s_delay_alu instid0(VALU_DEP_1)
	v_lshl_add_u64 v[20:21], v[6:7], 2, v[18:19]
	s_and_saveexec_b32 s24, s3
	s_cbranch_execnz .LBB469_17
; %bb.14:                               ;   in Loop: Header=BB469_4 Depth=1
	s_or_b32 exec_lo, exec_lo, s24
	s_and_saveexec_b32 s24, s4
	s_cbranch_execnz .LBB469_18
.LBB469_15:                             ;   in Loop: Header=BB469_4 Depth=1
	s_or_b32 exec_lo, exec_lo, s24
	s_delay_alu instid0(SALU_CYCLE_1)
	s_and_b32 exec_lo, exec_lo, s5
	s_cbranch_execnz .LBB469_19
	s_branch .LBB469_23
.LBB469_16:                             ;   in Loop: Header=BB469_4 Depth=1
	s_branch .LBB469_24
.LBB469_17:                             ;   in Loop: Header=BB469_4 Depth=1
	v_mul_f32_e32 v22, s38, v16
	global_store_b32 v[20:21], v22, off
	s_wait_xcnt 0x0
	s_or_b32 exec_lo, exec_lo, s24
	s_and_saveexec_b32 s24, s4
	s_cbranch_execz .LBB469_15
.LBB469_18:                             ;   in Loop: Header=BB469_4 Depth=1
	v_mul_f32_e32 v22, s38, v17
	global_store_b32 v[20:21], v22, off offset:64
	s_wait_xcnt 0x0
	s_or_b32 exec_lo, exec_lo, s24
	s_delay_alu instid0(SALU_CYCLE_1)
	s_and_b32 exec_lo, exec_lo, s5
	s_cbranch_execz .LBB469_23
.LBB469_19:                             ;   in Loop: Header=BB469_4 Depth=1
	v_lshl_add_u64 v[18:19], s[6:7], 2, v[18:19]
	s_delay_alu instid0(VALU_DEP_1)
	v_lshl_add_u64 v[18:19], v[6:7], 2, v[18:19]
	s_and_saveexec_b32 s24, s3
	s_cbranch_execz .LBB469_21
; %bb.20:                               ;   in Loop: Header=BB469_4 Depth=1
	v_mul_f32_e32 v20, s38, v14
	global_store_b32 v[18:19], v20, off
.LBB469_21:                             ;   in Loop: Header=BB469_4 Depth=1
	s_wait_xcnt 0x0
	s_or_b32 exec_lo, exec_lo, s24
	s_delay_alu instid0(SALU_CYCLE_1)
	s_and_b32 exec_lo, exec_lo, s4
	s_cbranch_execz .LBB469_23
; %bb.22:                               ;   in Loop: Header=BB469_4 Depth=1
	v_mul_f32_e32 v20, s38, v15
	global_store_b32 v[18:19], v20, off offset:64
.LBB469_23:                             ;   in Loop: Header=BB469_4 Depth=1
	s_wait_xcnt 0x0
	s_or_b32 exec_lo, exec_lo, s23
	s_cbranch_execnz .LBB469_3
.LBB469_24:                             ;   in Loop: Header=BB469_4 Depth=1
	s_and_saveexec_b32 s23, s2
	s_cbranch_execz .LBB469_2
; %bb.25:                               ;   in Loop: Header=BB469_4 Depth=1
	s_mul_u64 s[24:25], s[12:13], s[34:35]
	v_lshlrev_b64_e32 v[18:19], 2, v[6:7]
	v_lshl_add_u64 v[20:21], s[24:25], 2, v[8:9]
	v_lshl_add_u64 v[22:23], v[4:5], 2, s[20:21]
	s_delay_alu instid0(VALU_DEP_2) | instskip(NEXT) | instid1(VALU_DEP_2)
	v_add_nc_u64_e32 v[26:27], v[20:21], v[18:19]
	v_add_nc_u64_e32 v[24:25], v[22:23], v[18:19]
	s_and_saveexec_b32 s20, s3
	s_cbranch_execnz .LBB469_28
; %bb.26:                               ;   in Loop: Header=BB469_4 Depth=1
	s_or_b32 exec_lo, exec_lo, s20
	s_and_saveexec_b32 s20, s4
	s_cbranch_execnz .LBB469_29
.LBB469_27:                             ;   in Loop: Header=BB469_4 Depth=1
	s_or_b32 exec_lo, exec_lo, s20
	s_delay_alu instid0(SALU_CYCLE_1)
	s_and_b32 exec_lo, exec_lo, s5
	s_cbranch_execz .LBB469_2
	s_branch .LBB469_30
.LBB469_28:                             ;   in Loop: Header=BB469_4 Depth=1
	global_load_b32 v33, v[26:27], off
	v_mov_b64_e32 v[34:35], s[40:41]
	v_mov_b32_e32 v32, v16
	s_wait_loadcnt 0x0
	s_delay_alu instid0(VALU_DEP_1) | instskip(NEXT) | instid1(VALU_DEP_1)
	v_pk_mul_f32 v[32:33], v[34:35], v[32:33]
	v_add_f32_e32 v16, v32, v33
	global_store_b32 v[24:25], v16, off
	s_wait_xcnt 0x0
	s_or_b32 exec_lo, exec_lo, s20
	s_and_saveexec_b32 s20, s4
	s_cbranch_execz .LBB469_27
.LBB469_29:                             ;   in Loop: Header=BB469_4 Depth=1
	global_load_b32 v27, v[26:27], off offset:64
	s_wait_xcnt 0x0
	v_mov_b32_e32 v26, v17
	v_mov_b64_e32 v[16:17], s[40:41]
	s_wait_loadcnt 0x0
	s_delay_alu instid0(VALU_DEP_1) | instskip(NEXT) | instid1(VALU_DEP_1)
	v_pk_mul_f32 v[16:17], v[16:17], v[26:27]
	v_add_f32_e32 v16, v16, v17
	global_store_b32 v[24:25], v16, off offset:64
	s_wait_xcnt 0x0
	s_or_b32 exec_lo, exec_lo, s20
	s_delay_alu instid0(SALU_CYCLE_1)
	s_and_b32 exec_lo, exec_lo, s5
	s_cbranch_execz .LBB469_2
.LBB469_30:                             ;   in Loop: Header=BB469_4 Depth=1
	v_lshl_add_u64 v[16:17], s[10:11], 2, v[20:21]
	v_lshl_add_u64 v[22:23], s[6:7], 2, v[22:23]
	s_delay_alu instid0(VALU_DEP_2) | instskip(NEXT) | instid1(VALU_DEP_2)
	v_add_nc_u64_e32 v[20:21], v[16:17], v[18:19]
	v_add_nc_u64_e32 v[16:17], v[22:23], v[18:19]
	s_and_saveexec_b32 s20, s3
	s_cbranch_execz .LBB469_32
; %bb.31:                               ;   in Loop: Header=BB469_4 Depth=1
	global_load_b32 v19, v[20:21], off
	v_mov_b64_e32 v[22:23], s[40:41]
	v_mov_b32_e32 v18, v14
	s_wait_loadcnt 0x0
	s_delay_alu instid0(VALU_DEP_1) | instskip(NEXT) | instid1(VALU_DEP_1)
	v_pk_mul_f32 v[18:19], v[22:23], v[18:19]
	v_add_f32_e32 v14, v18, v19
	global_store_b32 v[16:17], v14, off
.LBB469_32:                             ;   in Loop: Header=BB469_4 Depth=1
	s_wait_xcnt 0x0
	s_or_b32 exec_lo, exec_lo, s20
	s_delay_alu instid0(SALU_CYCLE_1)
	s_and_b32 exec_lo, exec_lo, s4
	s_cbranch_execz .LBB469_2
; %bb.33:                               ;   in Loop: Header=BB469_4 Depth=1
	global_load_b32 v19, v[20:21], off offset:64
	v_mov_b32_e32 v18, v15
	v_mov_b64_e32 v[14:15], s[40:41]
	s_wait_loadcnt 0x0
	s_delay_alu instid0(VALU_DEP_1) | instskip(NEXT) | instid1(VALU_DEP_1)
	v_pk_mul_f32 v[14:15], v[14:15], v[18:19]
	v_add_f32_e32 v14, v14, v15
	global_store_b32 v[16:17], v14, off offset:64
	s_branch .LBB469_2
.LBB469_34:
	s_endpgm
	.section	.rodata,"a",@progbits
	.p2align	6, 0x0
	.amdhsa_kernel _ZN12_GLOBAL__N_135rocblas_gemm_batched_general_kernelIfLi16ELi16ELi32ELi32ELi8ELi32ELi8ELi8ELi32ELc67ELc84EK16rocblas_bfloat16KffEEvlllT_PT11_llS6_llS4_PT12_llPT13_lli
		.amdhsa_group_segment_fixed_size 2048
		.amdhsa_private_segment_fixed_size 0
		.amdhsa_kernarg_size 140
		.amdhsa_user_sgpr_count 2
		.amdhsa_user_sgpr_dispatch_ptr 0
		.amdhsa_user_sgpr_queue_ptr 0
		.amdhsa_user_sgpr_kernarg_segment_ptr 1
		.amdhsa_user_sgpr_dispatch_id 0
		.amdhsa_user_sgpr_kernarg_preload_length 0
		.amdhsa_user_sgpr_kernarg_preload_offset 0
		.amdhsa_user_sgpr_private_segment_size 0
		.amdhsa_wavefront_size32 1
		.amdhsa_uses_dynamic_stack 0
		.amdhsa_enable_private_segment 0
		.amdhsa_system_sgpr_workgroup_id_x 1
		.amdhsa_system_sgpr_workgroup_id_y 1
		.amdhsa_system_sgpr_workgroup_id_z 1
		.amdhsa_system_sgpr_workgroup_info 0
		.amdhsa_system_vgpr_workitem_id 1
		.amdhsa_next_free_vgpr 52
		.amdhsa_next_free_sgpr 44
		.amdhsa_named_barrier_count 0
		.amdhsa_reserve_vcc 1
		.amdhsa_float_round_mode_32 0
		.amdhsa_float_round_mode_16_64 0
		.amdhsa_float_denorm_mode_32 3
		.amdhsa_float_denorm_mode_16_64 3
		.amdhsa_fp16_overflow 0
		.amdhsa_memory_ordered 1
		.amdhsa_forward_progress 1
		.amdhsa_inst_pref_size 14
		.amdhsa_round_robin_scheduling 0
		.amdhsa_exception_fp_ieee_invalid_op 0
		.amdhsa_exception_fp_denorm_src 0
		.amdhsa_exception_fp_ieee_div_zero 0
		.amdhsa_exception_fp_ieee_overflow 0
		.amdhsa_exception_fp_ieee_underflow 0
		.amdhsa_exception_fp_ieee_inexact 0
		.amdhsa_exception_int_div_zero 0
	.end_amdhsa_kernel
	.section	.text._ZN12_GLOBAL__N_135rocblas_gemm_batched_general_kernelIfLi16ELi16ELi32ELi32ELi8ELi32ELi8ELi8ELi32ELc67ELc84EK16rocblas_bfloat16KffEEvlllT_PT11_llS6_llS4_PT12_llPT13_lli,"axG",@progbits,_ZN12_GLOBAL__N_135rocblas_gemm_batched_general_kernelIfLi16ELi16ELi32ELi32ELi8ELi32ELi8ELi8ELi32ELc67ELc84EK16rocblas_bfloat16KffEEvlllT_PT11_llS6_llS4_PT12_llPT13_lli,comdat
.Lfunc_end469:
	.size	_ZN12_GLOBAL__N_135rocblas_gemm_batched_general_kernelIfLi16ELi16ELi32ELi32ELi8ELi32ELi8ELi8ELi32ELc67ELc84EK16rocblas_bfloat16KffEEvlllT_PT11_llS6_llS4_PT12_llPT13_lli, .Lfunc_end469-_ZN12_GLOBAL__N_135rocblas_gemm_batched_general_kernelIfLi16ELi16ELi32ELi32ELi8ELi32ELi8ELi8ELi32ELc67ELc84EK16rocblas_bfloat16KffEEvlllT_PT11_llS6_llS4_PT12_llPT13_lli
                                        ; -- End function
	.set _ZN12_GLOBAL__N_135rocblas_gemm_batched_general_kernelIfLi16ELi16ELi32ELi32ELi8ELi32ELi8ELi8ELi32ELc67ELc84EK16rocblas_bfloat16KffEEvlllT_PT11_llS6_llS4_PT12_llPT13_lli.num_vgpr, 52
	.set _ZN12_GLOBAL__N_135rocblas_gemm_batched_general_kernelIfLi16ELi16ELi32ELi32ELi8ELi32ELi8ELi8ELi32ELc67ELc84EK16rocblas_bfloat16KffEEvlllT_PT11_llS6_llS4_PT12_llPT13_lli.num_agpr, 0
	.set _ZN12_GLOBAL__N_135rocblas_gemm_batched_general_kernelIfLi16ELi16ELi32ELi32ELi8ELi32ELi8ELi8ELi32ELc67ELc84EK16rocblas_bfloat16KffEEvlllT_PT11_llS6_llS4_PT12_llPT13_lli.numbered_sgpr, 44
	.set _ZN12_GLOBAL__N_135rocblas_gemm_batched_general_kernelIfLi16ELi16ELi32ELi32ELi8ELi32ELi8ELi8ELi32ELc67ELc84EK16rocblas_bfloat16KffEEvlllT_PT11_llS6_llS4_PT12_llPT13_lli.num_named_barrier, 0
	.set _ZN12_GLOBAL__N_135rocblas_gemm_batched_general_kernelIfLi16ELi16ELi32ELi32ELi8ELi32ELi8ELi8ELi32ELc67ELc84EK16rocblas_bfloat16KffEEvlllT_PT11_llS6_llS4_PT12_llPT13_lli.private_seg_size, 0
	.set _ZN12_GLOBAL__N_135rocblas_gemm_batched_general_kernelIfLi16ELi16ELi32ELi32ELi8ELi32ELi8ELi8ELi32ELc67ELc84EK16rocblas_bfloat16KffEEvlllT_PT11_llS6_llS4_PT12_llPT13_lli.uses_vcc, 1
	.set _ZN12_GLOBAL__N_135rocblas_gemm_batched_general_kernelIfLi16ELi16ELi32ELi32ELi8ELi32ELi8ELi8ELi32ELc67ELc84EK16rocblas_bfloat16KffEEvlllT_PT11_llS6_llS4_PT12_llPT13_lli.uses_flat_scratch, 0
	.set _ZN12_GLOBAL__N_135rocblas_gemm_batched_general_kernelIfLi16ELi16ELi32ELi32ELi8ELi32ELi8ELi8ELi32ELc67ELc84EK16rocblas_bfloat16KffEEvlllT_PT11_llS6_llS4_PT12_llPT13_lli.has_dyn_sized_stack, 0
	.set _ZN12_GLOBAL__N_135rocblas_gemm_batched_general_kernelIfLi16ELi16ELi32ELi32ELi8ELi32ELi8ELi8ELi32ELc67ELc84EK16rocblas_bfloat16KffEEvlllT_PT11_llS6_llS4_PT12_llPT13_lli.has_recursion, 0
	.set _ZN12_GLOBAL__N_135rocblas_gemm_batched_general_kernelIfLi16ELi16ELi32ELi32ELi8ELi32ELi8ELi8ELi32ELc67ELc84EK16rocblas_bfloat16KffEEvlllT_PT11_llS6_llS4_PT12_llPT13_lli.has_indirect_call, 0
	.section	.AMDGPU.csdata,"",@progbits
; Kernel info:
; codeLenInByte = 1768
; TotalNumSgprs: 46
; NumVgprs: 52
; ScratchSize: 0
; MemoryBound: 0
; FloatMode: 240
; IeeeMode: 1
; LDSByteSize: 2048 bytes/workgroup (compile time only)
; SGPRBlocks: 0
; VGPRBlocks: 3
; NumSGPRsForWavesPerEU: 46
; NumVGPRsForWavesPerEU: 52
; NamedBarCnt: 0
; Occupancy: 16
; WaveLimiterHint : 0
; COMPUTE_PGM_RSRC2:SCRATCH_EN: 0
; COMPUTE_PGM_RSRC2:USER_SGPR: 2
; COMPUTE_PGM_RSRC2:TRAP_HANDLER: 0
; COMPUTE_PGM_RSRC2:TGID_X_EN: 1
; COMPUTE_PGM_RSRC2:TGID_Y_EN: 1
; COMPUTE_PGM_RSRC2:TGID_Z_EN: 1
; COMPUTE_PGM_RSRC2:TIDIG_COMP_CNT: 1
	.section	.text._ZN12_GLOBAL__N_135rocblas_gemm_batched_general_kernelIfLi16ELi16ELi32ELi32ELi8ELi32ELi8ELi8ELi32ELc78ELc67EK16rocblas_bfloat16KffEEvlllT_PT11_llS6_llS4_PT12_llPT13_lli,"axG",@progbits,_ZN12_GLOBAL__N_135rocblas_gemm_batched_general_kernelIfLi16ELi16ELi32ELi32ELi8ELi32ELi8ELi8ELi32ELc78ELc67EK16rocblas_bfloat16KffEEvlllT_PT11_llS6_llS4_PT12_llPT13_lli,comdat
	.globl	_ZN12_GLOBAL__N_135rocblas_gemm_batched_general_kernelIfLi16ELi16ELi32ELi32ELi8ELi32ELi8ELi8ELi32ELc78ELc67EK16rocblas_bfloat16KffEEvlllT_PT11_llS6_llS4_PT12_llPT13_lli ; -- Begin function _ZN12_GLOBAL__N_135rocblas_gemm_batched_general_kernelIfLi16ELi16ELi32ELi32ELi8ELi32ELi8ELi8ELi32ELc78ELc67EK16rocblas_bfloat16KffEEvlllT_PT11_llS6_llS4_PT12_llPT13_lli
	.p2align	8
	.type	_ZN12_GLOBAL__N_135rocblas_gemm_batched_general_kernelIfLi16ELi16ELi32ELi32ELi8ELi32ELi8ELi8ELi32ELc78ELc67EK16rocblas_bfloat16KffEEvlllT_PT11_llS6_llS4_PT12_llPT13_lli,@function
_ZN12_GLOBAL__N_135rocblas_gemm_batched_general_kernelIfLi16ELi16ELi32ELi32ELi8ELi32ELi8ELi8ELi32ELc78ELc67EK16rocblas_bfloat16KffEEvlllT_PT11_llS6_llS4_PT12_llPT13_lli: ; @_ZN12_GLOBAL__N_135rocblas_gemm_batched_general_kernelIfLi16ELi16ELi32ELi32ELi8ELi32ELi8ELi8ELi32ELc78ELc67EK16rocblas_bfloat16KffEEvlllT_PT11_llS6_llS4_PT12_llPT13_lli
; %bb.0:
	s_load_b32 s33, s[0:1], 0x88
	s_bfe_u32 s2, ttmp6, 0x40014
	s_lshr_b32 s3, ttmp7, 16
	s_add_co_i32 s2, s2, 1
	s_bfe_u32 s5, ttmp6, 0x40008
	s_mul_i32 s4, s3, s2
	s_getreg_b32 s2, hwreg(HW_REG_IB_STS2, 6, 4)
	s_add_co_i32 s5, s5, s4
	s_cmp_eq_u32 s2, 0
	s_mov_b32 s35, 0
	s_cselect_b32 s34, s3, s5
	s_wait_kmcnt 0x0
	s_cmp_ge_i32 s34, s33
	s_cbranch_scc1 .LBB470_34
; %bb.1:
	s_clause 0x3
	s_load_b128 s[4:7], s[0:1], 0x0
	s_load_b256 s[16:23], s[0:1], 0x20
	s_load_b128 s[28:31], s[0:1], 0x40
	s_load_b32 s41, s[0:1], 0x50
	v_bfe_u32 v8, v0, 10, 10
	v_and_b32_e32 v10, 0x3ff, v0
	s_bfe_u32 s3, ttmp6, 0x4000c
	s_clause 0x1
	s_load_b128 s[24:27], s[0:1], 0x78
	s_load_b256 s[8:15], s[0:1], 0x58
	s_add_co_i32 s3, s3, 1
	s_bfe_u32 s38, ttmp6, 0x40010
	v_lshl_add_u32 v1, v8, 4, v10
	v_dual_mov_b32 v9, 0 :: v_dual_bitop2_b32 v0, 7, v0 bitop3:0x40
	s_and_b32 s36, ttmp6, 15
	s_mul_i32 s3, ttmp9, s3
	s_delay_alu instid0(VALU_DEP_2) | instskip(NEXT) | instid1(VALU_DEP_2)
	v_dual_lshrrev_b32 v2, 5, v1 :: v_dual_bitop2_b32 v22, 31, v1 bitop3:0x40
	v_dual_mov_b32 v3, v9 :: v_dual_lshrrev_b32 v12, 3, v1
	v_dual_mov_b32 v1, v9 :: v_dual_mov_b32 v13, v9
	s_and_b32 s37, ttmp7, 0xffff
	s_add_co_i32 s38, s38, 1
	s_add_co_i32 s36, s36, s3
	s_wait_kmcnt 0x0
	v_mul_u64_e32 v[14:15], s[28:29], v[0:1]
	s_mul_i32 s3, s37, s38
	s_bfe_u32 s38, ttmp6, 0x40004
	v_mul_u64_e32 v[16:17], s[18:19], v[2:3]
	s_add_co_i32 s38, s38, s3
	s_cmp_eq_u32 s2, 0
	s_mov_b32 s43, s35
	s_cselect_b32 s40, s37, s38
	s_cselect_b32 s2, ttmp9, s36
	s_lshl_b32 s42, s40, 5
	s_ashr_i32 s3, s2, 31
	v_add_nc_u64_e32 v[18:19], s[42:43], v[8:9]
	s_lshl_b64 s[44:45], s[2:3], 5
	v_add_nc_u64_e32 v[6:7], s[42:43], v[12:13]
	v_dual_mov_b32 v5, s45 :: v_dual_bitop2_b32 v4, s44, v22 bitop3:0x54
	v_mov_b32_e32 v11, v9
	s_load_b96 s[36:38], s[0:1], 0x10
	s_delay_alu instid0(VALU_DEP_4)
	v_mul_u64_e32 v[20:21], s[10:11], v[18:19]
	s_cmp_eq_f32 s41, 0
	s_wait_xcnt 0x0
	v_cmp_gt_i64_e64 s0, s[4:5], v[4:5]
	v_mul_u64_e32 v[4:5], s[24:25], v[18:19]
	v_cmp_gt_i64_e64 s1, s[6:7], v[6:7]
	v_lshl_add_u32 v30, v8, 5, 0x400
	v_lshlrev_b32_e32 v8, 1, v12
	v_add_nc_u64_e32 v[6:7], s[44:45], v[10:11]
	v_dual_lshlrev_b32 v23, 2, v0 :: v_dual_lshlrev_b32 v13, 2, v22
	s_cselect_b32 s39, -1, 0
	s_lshl_b32 s42, s40, 6
	v_lshlrev_b32_e32 v31, 2, v10
	s_delay_alu instid0(VALU_DEP_2)
	v_lshl_or_b32 v23, v12, 5, v23
	v_lshl_add_u64 v[14:15], v[14:15], 1, s[42:43]
	v_lshl_or_b32 v28, v2, 7, v13
	v_add_nc_u64_e32 v[10:11], 16, v[6:7]
	v_add_nc_u64_e32 v[12:13], 16, v[18:19]
	s_lshl_b64 s[2:3], s[2:3], 6
	v_add_nc_u64_e32 v[14:15], v[14:15], v[8:9]
	v_lshl_add_u64 v[16:17], v[16:17], 1, s[2:3]
	v_lshlrev_b32_e32 v8, 1, v22
	v_cmp_gt_i64_e64 s3, s[4:5], v[6:7]
	v_cmp_gt_i64_e64 s4, s[4:5], v[10:11]
	v_cmp_gt_i64_e64 s5, s[6:7], v[12:13]
	v_cmp_gt_i64_e64 s2, s[6:7], v[18:19]
	v_add_nc_u64_e32 v[12:13], v[16:17], v[8:9]
	s_lshl_b64 s[6:7], s[24:25], 4
	v_add_nc_u64_e32 v[10:11], s[22:23], v[14:15]
	s_wait_kmcnt 0x0
	v_cmp_gt_i64_e64 s24, s[36:37], 0
	v_add_nc_u32_e32 v29, 0x400, v23
	s_mov_b32 s40, s38
	v_lshl_add_u64 v[8:9], v[20:21], 2, s[8:9]
	v_add_nc_u64_e32 v[12:13], s[16:17], v[12:13]
	s_lshl_b64 s[10:11], s[10:11], 4
	s_lshl_b64 s[8:9], s[30:31], 1
	;; [unrolled: 1-line block ×5, first 2 shown]
	s_branch .LBB470_4
.LBB470_2:                              ;   in Loop: Header=BB470_4 Depth=1
	s_wait_xcnt 0x0
	s_or_b32 exec_lo, exec_lo, s25
.LBB470_3:                              ;   in Loop: Header=BB470_4 Depth=1
	s_add_co_i32 s34, s34, 0x10000
	s_delay_alu instid0(SALU_CYCLE_1)
	s_cmp_lt_i32 s34, s33
	s_cbranch_scc0 .LBB470_34
.LBB470_4:                              ; =>This Loop Header: Depth=1
                                        ;     Child Loop BB470_7 Depth 2
	v_dual_mov_b32 v17, 0 :: v_dual_mov_b32 v16, 0
	v_dual_mov_b32 v15, 0 :: v_dual_mov_b32 v14, 0
	s_and_not1_b32 vcc_lo, exec_lo, s24
	s_cbranch_vccnz .LBB470_11
; %bb.5:                                ;   in Loop: Header=BB470_4 Depth=1
	v_mad_nc_u64_u32 v[18:19], s8, s34, v[10:11]
	v_mad_nc_u64_u32 v[20:21], s20, s34, v[12:13]
	v_mov_b32_e32 v16, 0
	s_mov_b64 s[22:23], 0
	s_delay_alu instid0(VALU_DEP_1)
	v_dual_mov_b32 v17, v16 :: v_dual_mov_b32 v14, v16
	v_mov_b32_e32 v15, v16
	v_mad_u32 v19, s9, s34, v19
	v_mad_u32 v21, s21, s34, v21
	s_branch .LBB470_7
.LBB470_6:                              ;   in Loop: Header=BB470_7 Depth=2
	s_wait_xcnt 0x0
	s_or_b32 exec_lo, exec_lo, s25
	ds_store_b32 v29, v23
	s_wait_dscnt 0x0
	s_barrier_signal -1
	s_barrier_wait -1
	ds_load_b128 v[22:25], v30
	ds_load_2addr_b32 v[26:27], v31 offset1:16
	ds_load_b128 v[32:35], v30 offset:512
	ds_load_2addr_b32 v[44:45], v31 offset0:32 offset1:48
	ds_load_2addr_b32 v[46:47], v31 offset0:64 offset1:80
	ds_load_2addr_b32 v[48:49], v31 offset0:96 offset1:112
	ds_load_b128 v[36:39], v30 offset:16
	ds_load_2addr_b32 v[50:51], v31 offset0:128 offset1:144
	ds_load_b128 v[40:43], v30 offset:528
	s_add_nc_u64 s[22:23], s[22:23], 8
	v_add_nc_u64_e32 v[18:19], s[16:17], v[18:19]
	v_cmp_lt_i64_e64 s25, s[22:23], s[36:37]
	v_add_nc_u64_e32 v[20:21], s[18:19], v[20:21]
	s_and_b32 vcc_lo, exec_lo, s25
	s_wait_dscnt 0x7
	v_pk_fma_f32 v[16:17], v[26:27], v[22:23], v[16:17] op_sel_hi:[1,0,1]
	s_wait_dscnt 0x6
	v_pk_fma_f32 v[14:15], v[26:27], v[32:33], v[14:15] op_sel_hi:[1,0,1]
	ds_load_2addr_b32 v[26:27], v31 offset0:160 offset1:176
	s_wait_dscnt 0x6
	v_pk_fma_f32 v[16:17], v[44:45], v[22:23], v[16:17] op_sel:[0,1,0]
	v_pk_fma_f32 v[14:15], v[44:45], v[32:33], v[14:15] op_sel:[0,1,0]
	ds_load_2addr_b32 v[22:23], v31 offset0:192 offset1:208
	v_dual_mov_b32 v32, v25 :: v_dual_mov_b32 v44, v35
	s_wait_dscnt 0x6
	v_pk_fma_f32 v[16:17], v[46:47], v[24:25], v[16:17] op_sel_hi:[1,0,1]
	v_pk_fma_f32 v[14:15], v[46:47], v[34:35], v[14:15] op_sel_hi:[1,0,1]
	ds_load_2addr_b32 v[24:25], v31 offset0:224 offset1:240
	s_wait_dscnt 0x0
	s_barrier_signal -1
	v_pk_fma_f32 v[16:17], v[48:49], v[32:33], v[16:17] op_sel_hi:[1,0,1]
	v_pk_fma_f32 v[14:15], v[48:49], v[44:45], v[14:15] op_sel_hi:[1,0,1]
	s_barrier_wait -1
	v_mov_b32_e32 v32, v43
	s_delay_alu instid0(VALU_DEP_3) | instskip(NEXT) | instid1(VALU_DEP_3)
	v_pk_fma_f32 v[16:17], v[50:51], v[36:37], v[16:17] op_sel_hi:[1,0,1]
	v_pk_fma_f32 v[14:15], v[50:51], v[40:41], v[14:15] op_sel_hi:[1,0,1]
	s_delay_alu instid0(VALU_DEP_2) | instskip(NEXT) | instid1(VALU_DEP_2)
	v_pk_fma_f32 v[16:17], v[26:27], v[36:37], v[16:17] op_sel:[0,1,0]
	v_pk_fma_f32 v[14:15], v[26:27], v[40:41], v[14:15] op_sel:[0,1,0]
	v_mov_b32_e32 v26, v39
	s_delay_alu instid0(VALU_DEP_3) | instskip(NEXT) | instid1(VALU_DEP_3)
	v_pk_fma_f32 v[16:17], v[22:23], v[38:39], v[16:17] op_sel_hi:[1,0,1]
	v_pk_fma_f32 v[14:15], v[22:23], v[42:43], v[14:15] op_sel_hi:[1,0,1]
	s_delay_alu instid0(VALU_DEP_2) | instskip(NEXT) | instid1(VALU_DEP_2)
	v_pk_fma_f32 v[16:17], v[24:25], v[26:27], v[16:17] op_sel_hi:[1,0,1]
	v_pk_fma_f32 v[14:15], v[24:25], v[32:33], v[14:15] op_sel_hi:[1,0,1]
	s_cbranch_vccz .LBB470_11
.LBB470_7:                              ;   Parent Loop BB470_4 Depth=1
                                        ; =>  This Inner Loop Header: Depth=2
	v_add_nc_u64_e32 v[22:23], s[22:23], v[2:3]
	s_delay_alu instid0(VALU_DEP_1) | instskip(SKIP_2) | instid1(SALU_CYCLE_1)
	v_cmp_gt_i64_e32 vcc_lo, s[36:37], v[22:23]
	v_mov_b32_e32 v22, 0
	s_and_b32 s28, s0, vcc_lo
	s_and_saveexec_b32 s25, s28
	s_cbranch_execz .LBB470_9
; %bb.8:                                ;   in Loop: Header=BB470_7 Depth=2
	global_load_u16 v22, v[20:21], off
	s_wait_loadcnt 0x0
	v_lshlrev_b32_e32 v22, 16, v22
.LBB470_9:                              ;   in Loop: Header=BB470_7 Depth=2
	s_wait_xcnt 0x0
	s_or_b32 exec_lo, exec_lo, s25
	v_add_nc_u64_e32 v[24:25], s[22:23], v[0:1]
	v_mov_b32_e32 v23, 0
	ds_store_b32 v28, v22
	v_cmp_gt_i64_e32 vcc_lo, s[36:37], v[24:25]
	s_and_b32 s28, vcc_lo, s1
	s_delay_alu instid0(SALU_CYCLE_1)
	s_and_saveexec_b32 s25, s28
	s_cbranch_execz .LBB470_6
; %bb.10:                               ;   in Loop: Header=BB470_7 Depth=2
	global_load_u16 v22, v[18:19], off
	s_wait_loadcnt 0x0
	v_lshlrev_b32_e32 v23, 16, v22
	s_branch .LBB470_6
.LBB470_11:                             ;   in Loop: Header=BB470_4 Depth=1
	s_mul_u64 s[22:23], s[26:27], s[34:35]
	s_and_not1_b32 vcc_lo, exec_lo, s39
	s_lshl_b64 s[22:23], s[22:23], 2
	s_delay_alu instid0(SALU_CYCLE_1)
	s_add_nc_u64 s[22:23], s[14:15], s[22:23]
	s_cbranch_vccnz .LBB470_16
; %bb.12:                               ;   in Loop: Header=BB470_4 Depth=1
	s_and_saveexec_b32 s25, s2
	s_cbranch_execz .LBB470_23
; %bb.13:                               ;   in Loop: Header=BB470_4 Depth=1
	v_lshl_add_u64 v[18:19], v[4:5], 2, s[22:23]
	s_delay_alu instid0(VALU_DEP_1)
	v_lshl_add_u64 v[20:21], v[6:7], 2, v[18:19]
	s_and_saveexec_b32 s28, s3
	s_cbranch_execnz .LBB470_17
; %bb.14:                               ;   in Loop: Header=BB470_4 Depth=1
	s_or_b32 exec_lo, exec_lo, s28
	s_and_saveexec_b32 s28, s4
	s_cbranch_execnz .LBB470_18
.LBB470_15:                             ;   in Loop: Header=BB470_4 Depth=1
	s_or_b32 exec_lo, exec_lo, s28
	s_delay_alu instid0(SALU_CYCLE_1)
	s_and_b32 exec_lo, exec_lo, s5
	s_cbranch_execnz .LBB470_19
	s_branch .LBB470_23
.LBB470_16:                             ;   in Loop: Header=BB470_4 Depth=1
	s_branch .LBB470_24
.LBB470_17:                             ;   in Loop: Header=BB470_4 Depth=1
	v_mul_f32_e32 v22, s38, v16
	global_store_b32 v[20:21], v22, off
	s_wait_xcnt 0x0
	s_or_b32 exec_lo, exec_lo, s28
	s_and_saveexec_b32 s28, s4
	s_cbranch_execz .LBB470_15
.LBB470_18:                             ;   in Loop: Header=BB470_4 Depth=1
	v_mul_f32_e32 v22, s38, v17
	global_store_b32 v[20:21], v22, off offset:64
	s_wait_xcnt 0x0
	s_or_b32 exec_lo, exec_lo, s28
	s_delay_alu instid0(SALU_CYCLE_1)
	s_and_b32 exec_lo, exec_lo, s5
	s_cbranch_execz .LBB470_23
.LBB470_19:                             ;   in Loop: Header=BB470_4 Depth=1
	v_lshl_add_u64 v[18:19], s[6:7], 2, v[18:19]
	s_delay_alu instid0(VALU_DEP_1)
	v_lshl_add_u64 v[18:19], v[6:7], 2, v[18:19]
	s_and_saveexec_b32 s28, s3
	s_cbranch_execz .LBB470_21
; %bb.20:                               ;   in Loop: Header=BB470_4 Depth=1
	v_mul_f32_e32 v20, s38, v14
	global_store_b32 v[18:19], v20, off
.LBB470_21:                             ;   in Loop: Header=BB470_4 Depth=1
	s_wait_xcnt 0x0
	s_or_b32 exec_lo, exec_lo, s28
	s_delay_alu instid0(SALU_CYCLE_1)
	s_and_b32 exec_lo, exec_lo, s4
	s_cbranch_execz .LBB470_23
; %bb.22:                               ;   in Loop: Header=BB470_4 Depth=1
	v_mul_f32_e32 v20, s38, v15
	global_store_b32 v[18:19], v20, off offset:64
.LBB470_23:                             ;   in Loop: Header=BB470_4 Depth=1
	s_wait_xcnt 0x0
	s_or_b32 exec_lo, exec_lo, s25
	s_cbranch_execnz .LBB470_3
.LBB470_24:                             ;   in Loop: Header=BB470_4 Depth=1
	s_and_saveexec_b32 s25, s2
	s_cbranch_execz .LBB470_2
; %bb.25:                               ;   in Loop: Header=BB470_4 Depth=1
	s_mul_u64 s[28:29], s[12:13], s[34:35]
	v_lshlrev_b64_e32 v[18:19], 2, v[6:7]
	v_lshl_add_u64 v[20:21], s[28:29], 2, v[8:9]
	v_lshl_add_u64 v[22:23], v[4:5], 2, s[22:23]
	s_delay_alu instid0(VALU_DEP_2) | instskip(NEXT) | instid1(VALU_DEP_2)
	v_add_nc_u64_e32 v[26:27], v[20:21], v[18:19]
	v_add_nc_u64_e32 v[24:25], v[22:23], v[18:19]
	s_and_saveexec_b32 s22, s3
	s_cbranch_execnz .LBB470_28
; %bb.26:                               ;   in Loop: Header=BB470_4 Depth=1
	s_or_b32 exec_lo, exec_lo, s22
	s_and_saveexec_b32 s22, s4
	s_cbranch_execnz .LBB470_29
.LBB470_27:                             ;   in Loop: Header=BB470_4 Depth=1
	s_or_b32 exec_lo, exec_lo, s22
	s_delay_alu instid0(SALU_CYCLE_1)
	s_and_b32 exec_lo, exec_lo, s5
	s_cbranch_execz .LBB470_2
	s_branch .LBB470_30
.LBB470_28:                             ;   in Loop: Header=BB470_4 Depth=1
	global_load_b32 v33, v[26:27], off
	v_mov_b64_e32 v[34:35], s[40:41]
	v_mov_b32_e32 v32, v16
	s_wait_loadcnt 0x0
	s_delay_alu instid0(VALU_DEP_1) | instskip(NEXT) | instid1(VALU_DEP_1)
	v_pk_mul_f32 v[32:33], v[34:35], v[32:33]
	v_add_f32_e32 v16, v32, v33
	global_store_b32 v[24:25], v16, off
	s_wait_xcnt 0x0
	s_or_b32 exec_lo, exec_lo, s22
	s_and_saveexec_b32 s22, s4
	s_cbranch_execz .LBB470_27
.LBB470_29:                             ;   in Loop: Header=BB470_4 Depth=1
	global_load_b32 v27, v[26:27], off offset:64
	s_wait_xcnt 0x0
	v_mov_b32_e32 v26, v17
	v_mov_b64_e32 v[16:17], s[40:41]
	s_wait_loadcnt 0x0
	s_delay_alu instid0(VALU_DEP_1) | instskip(NEXT) | instid1(VALU_DEP_1)
	v_pk_mul_f32 v[16:17], v[16:17], v[26:27]
	v_add_f32_e32 v16, v16, v17
	global_store_b32 v[24:25], v16, off offset:64
	s_wait_xcnt 0x0
	s_or_b32 exec_lo, exec_lo, s22
	s_delay_alu instid0(SALU_CYCLE_1)
	s_and_b32 exec_lo, exec_lo, s5
	s_cbranch_execz .LBB470_2
.LBB470_30:                             ;   in Loop: Header=BB470_4 Depth=1
	v_lshl_add_u64 v[16:17], s[10:11], 2, v[20:21]
	v_lshl_add_u64 v[22:23], s[6:7], 2, v[22:23]
	s_delay_alu instid0(VALU_DEP_2) | instskip(NEXT) | instid1(VALU_DEP_2)
	v_add_nc_u64_e32 v[20:21], v[16:17], v[18:19]
	v_add_nc_u64_e32 v[16:17], v[22:23], v[18:19]
	s_and_saveexec_b32 s22, s3
	s_cbranch_execz .LBB470_32
; %bb.31:                               ;   in Loop: Header=BB470_4 Depth=1
	global_load_b32 v19, v[20:21], off
	v_mov_b64_e32 v[22:23], s[40:41]
	v_mov_b32_e32 v18, v14
	s_wait_loadcnt 0x0
	s_delay_alu instid0(VALU_DEP_1) | instskip(NEXT) | instid1(VALU_DEP_1)
	v_pk_mul_f32 v[18:19], v[22:23], v[18:19]
	v_add_f32_e32 v14, v18, v19
	global_store_b32 v[16:17], v14, off
.LBB470_32:                             ;   in Loop: Header=BB470_4 Depth=1
	s_wait_xcnt 0x0
	s_or_b32 exec_lo, exec_lo, s22
	s_delay_alu instid0(SALU_CYCLE_1)
	s_and_b32 exec_lo, exec_lo, s4
	s_cbranch_execz .LBB470_2
; %bb.33:                               ;   in Loop: Header=BB470_4 Depth=1
	global_load_b32 v19, v[20:21], off offset:64
	v_mov_b32_e32 v18, v15
	v_mov_b64_e32 v[14:15], s[40:41]
	s_wait_loadcnt 0x0
	s_delay_alu instid0(VALU_DEP_1) | instskip(NEXT) | instid1(VALU_DEP_1)
	v_pk_mul_f32 v[14:15], v[14:15], v[18:19]
	v_add_f32_e32 v14, v14, v15
	global_store_b32 v[16:17], v14, off offset:64
	s_branch .LBB470_2
.LBB470_34:
	s_endpgm
	.section	.rodata,"a",@progbits
	.p2align	6, 0x0
	.amdhsa_kernel _ZN12_GLOBAL__N_135rocblas_gemm_batched_general_kernelIfLi16ELi16ELi32ELi32ELi8ELi32ELi8ELi8ELi32ELc78ELc67EK16rocblas_bfloat16KffEEvlllT_PT11_llS6_llS4_PT12_llPT13_lli
		.amdhsa_group_segment_fixed_size 2048
		.amdhsa_private_segment_fixed_size 0
		.amdhsa_kernarg_size 140
		.amdhsa_user_sgpr_count 2
		.amdhsa_user_sgpr_dispatch_ptr 0
		.amdhsa_user_sgpr_queue_ptr 0
		.amdhsa_user_sgpr_kernarg_segment_ptr 1
		.amdhsa_user_sgpr_dispatch_id 0
		.amdhsa_user_sgpr_kernarg_preload_length 0
		.amdhsa_user_sgpr_kernarg_preload_offset 0
		.amdhsa_user_sgpr_private_segment_size 0
		.amdhsa_wavefront_size32 1
		.amdhsa_uses_dynamic_stack 0
		.amdhsa_enable_private_segment 0
		.amdhsa_system_sgpr_workgroup_id_x 1
		.amdhsa_system_sgpr_workgroup_id_y 1
		.amdhsa_system_sgpr_workgroup_id_z 1
		.amdhsa_system_sgpr_workgroup_info 0
		.amdhsa_system_vgpr_workitem_id 1
		.amdhsa_next_free_vgpr 52
		.amdhsa_next_free_sgpr 46
		.amdhsa_named_barrier_count 0
		.amdhsa_reserve_vcc 1
		.amdhsa_float_round_mode_32 0
		.amdhsa_float_round_mode_16_64 0
		.amdhsa_float_denorm_mode_32 3
		.amdhsa_float_denorm_mode_16_64 3
		.amdhsa_fp16_overflow 0
		.amdhsa_memory_ordered 1
		.amdhsa_forward_progress 1
		.amdhsa_inst_pref_size 14
		.amdhsa_round_robin_scheduling 0
		.amdhsa_exception_fp_ieee_invalid_op 0
		.amdhsa_exception_fp_denorm_src 0
		.amdhsa_exception_fp_ieee_div_zero 0
		.amdhsa_exception_fp_ieee_overflow 0
		.amdhsa_exception_fp_ieee_underflow 0
		.amdhsa_exception_fp_ieee_inexact 0
		.amdhsa_exception_int_div_zero 0
	.end_amdhsa_kernel
	.section	.text._ZN12_GLOBAL__N_135rocblas_gemm_batched_general_kernelIfLi16ELi16ELi32ELi32ELi8ELi32ELi8ELi8ELi32ELc78ELc67EK16rocblas_bfloat16KffEEvlllT_PT11_llS6_llS4_PT12_llPT13_lli,"axG",@progbits,_ZN12_GLOBAL__N_135rocblas_gemm_batched_general_kernelIfLi16ELi16ELi32ELi32ELi8ELi32ELi8ELi8ELi32ELc78ELc67EK16rocblas_bfloat16KffEEvlllT_PT11_llS6_llS4_PT12_llPT13_lli,comdat
.Lfunc_end470:
	.size	_ZN12_GLOBAL__N_135rocblas_gemm_batched_general_kernelIfLi16ELi16ELi32ELi32ELi8ELi32ELi8ELi8ELi32ELc78ELc67EK16rocblas_bfloat16KffEEvlllT_PT11_llS6_llS4_PT12_llPT13_lli, .Lfunc_end470-_ZN12_GLOBAL__N_135rocblas_gemm_batched_general_kernelIfLi16ELi16ELi32ELi32ELi8ELi32ELi8ELi8ELi32ELc78ELc67EK16rocblas_bfloat16KffEEvlllT_PT11_llS6_llS4_PT12_llPT13_lli
                                        ; -- End function
	.set _ZN12_GLOBAL__N_135rocblas_gemm_batched_general_kernelIfLi16ELi16ELi32ELi32ELi8ELi32ELi8ELi8ELi32ELc78ELc67EK16rocblas_bfloat16KffEEvlllT_PT11_llS6_llS4_PT12_llPT13_lli.num_vgpr, 52
	.set _ZN12_GLOBAL__N_135rocblas_gemm_batched_general_kernelIfLi16ELi16ELi32ELi32ELi8ELi32ELi8ELi8ELi32ELc78ELc67EK16rocblas_bfloat16KffEEvlllT_PT11_llS6_llS4_PT12_llPT13_lli.num_agpr, 0
	.set _ZN12_GLOBAL__N_135rocblas_gemm_batched_general_kernelIfLi16ELi16ELi32ELi32ELi8ELi32ELi8ELi8ELi32ELc78ELc67EK16rocblas_bfloat16KffEEvlllT_PT11_llS6_llS4_PT12_llPT13_lli.numbered_sgpr, 46
	.set _ZN12_GLOBAL__N_135rocblas_gemm_batched_general_kernelIfLi16ELi16ELi32ELi32ELi8ELi32ELi8ELi8ELi32ELc78ELc67EK16rocblas_bfloat16KffEEvlllT_PT11_llS6_llS4_PT12_llPT13_lli.num_named_barrier, 0
	.set _ZN12_GLOBAL__N_135rocblas_gemm_batched_general_kernelIfLi16ELi16ELi32ELi32ELi8ELi32ELi8ELi8ELi32ELc78ELc67EK16rocblas_bfloat16KffEEvlllT_PT11_llS6_llS4_PT12_llPT13_lli.private_seg_size, 0
	.set _ZN12_GLOBAL__N_135rocblas_gemm_batched_general_kernelIfLi16ELi16ELi32ELi32ELi8ELi32ELi8ELi8ELi32ELc78ELc67EK16rocblas_bfloat16KffEEvlllT_PT11_llS6_llS4_PT12_llPT13_lli.uses_vcc, 1
	.set _ZN12_GLOBAL__N_135rocblas_gemm_batched_general_kernelIfLi16ELi16ELi32ELi32ELi8ELi32ELi8ELi8ELi32ELc78ELc67EK16rocblas_bfloat16KffEEvlllT_PT11_llS6_llS4_PT12_llPT13_lli.uses_flat_scratch, 0
	.set _ZN12_GLOBAL__N_135rocblas_gemm_batched_general_kernelIfLi16ELi16ELi32ELi32ELi8ELi32ELi8ELi8ELi32ELc78ELc67EK16rocblas_bfloat16KffEEvlllT_PT11_llS6_llS4_PT12_llPT13_lli.has_dyn_sized_stack, 0
	.set _ZN12_GLOBAL__N_135rocblas_gemm_batched_general_kernelIfLi16ELi16ELi32ELi32ELi8ELi32ELi8ELi8ELi32ELc78ELc67EK16rocblas_bfloat16KffEEvlllT_PT11_llS6_llS4_PT12_llPT13_lli.has_recursion, 0
	.set _ZN12_GLOBAL__N_135rocblas_gemm_batched_general_kernelIfLi16ELi16ELi32ELi32ELi8ELi32ELi8ELi8ELi32ELc78ELc67EK16rocblas_bfloat16KffEEvlllT_PT11_llS6_llS4_PT12_llPT13_lli.has_indirect_call, 0
	.section	.AMDGPU.csdata,"",@progbits
; Kernel info:
; codeLenInByte = 1792
; TotalNumSgprs: 48
; NumVgprs: 52
; ScratchSize: 0
; MemoryBound: 0
; FloatMode: 240
; IeeeMode: 1
; LDSByteSize: 2048 bytes/workgroup (compile time only)
; SGPRBlocks: 0
; VGPRBlocks: 3
; NumSGPRsForWavesPerEU: 48
; NumVGPRsForWavesPerEU: 52
; NamedBarCnt: 0
; Occupancy: 16
; WaveLimiterHint : 0
; COMPUTE_PGM_RSRC2:SCRATCH_EN: 0
; COMPUTE_PGM_RSRC2:USER_SGPR: 2
; COMPUTE_PGM_RSRC2:TRAP_HANDLER: 0
; COMPUTE_PGM_RSRC2:TGID_X_EN: 1
; COMPUTE_PGM_RSRC2:TGID_Y_EN: 1
; COMPUTE_PGM_RSRC2:TGID_Z_EN: 1
; COMPUTE_PGM_RSRC2:TIDIG_COMP_CNT: 1
	.section	.text._ZN12_GLOBAL__N_135rocblas_gemm_batched_general_kernelIfLi16ELi16ELi32ELi32ELi8ELi32ELi8ELi8ELi32ELc84ELc67EK16rocblas_bfloat16KffEEvlllT_PT11_llS6_llS4_PT12_llPT13_lli,"axG",@progbits,_ZN12_GLOBAL__N_135rocblas_gemm_batched_general_kernelIfLi16ELi16ELi32ELi32ELi8ELi32ELi8ELi8ELi32ELc84ELc67EK16rocblas_bfloat16KffEEvlllT_PT11_llS6_llS4_PT12_llPT13_lli,comdat
	.globl	_ZN12_GLOBAL__N_135rocblas_gemm_batched_general_kernelIfLi16ELi16ELi32ELi32ELi8ELi32ELi8ELi8ELi32ELc84ELc67EK16rocblas_bfloat16KffEEvlllT_PT11_llS6_llS4_PT12_llPT13_lli ; -- Begin function _ZN12_GLOBAL__N_135rocblas_gemm_batched_general_kernelIfLi16ELi16ELi32ELi32ELi8ELi32ELi8ELi8ELi32ELc84ELc67EK16rocblas_bfloat16KffEEvlllT_PT11_llS6_llS4_PT12_llPT13_lli
	.p2align	8
	.type	_ZN12_GLOBAL__N_135rocblas_gemm_batched_general_kernelIfLi16ELi16ELi32ELi32ELi8ELi32ELi8ELi8ELi32ELc84ELc67EK16rocblas_bfloat16KffEEvlllT_PT11_llS6_llS4_PT12_llPT13_lli,@function
_ZN12_GLOBAL__N_135rocblas_gemm_batched_general_kernelIfLi16ELi16ELi32ELi32ELi8ELi32ELi8ELi8ELi32ELc84ELc67EK16rocblas_bfloat16KffEEvlllT_PT11_llS6_llS4_PT12_llPT13_lli: ; @_ZN12_GLOBAL__N_135rocblas_gemm_batched_general_kernelIfLi16ELi16ELi32ELi32ELi8ELi32ELi8ELi8ELi32ELc84ELc67EK16rocblas_bfloat16KffEEvlllT_PT11_llS6_llS4_PT12_llPT13_lli
; %bb.0:
	s_load_b32 s33, s[0:1], 0x88
	s_bfe_u32 s2, ttmp6, 0x40014
	s_lshr_b32 s3, ttmp7, 16
	s_add_co_i32 s2, s2, 1
	s_bfe_u32 s5, ttmp6, 0x40008
	s_mul_i32 s4, s3, s2
	s_getreg_b32 s2, hwreg(HW_REG_IB_STS2, 6, 4)
	s_add_co_i32 s5, s5, s4
	s_cmp_eq_u32 s2, 0
	s_mov_b32 s35, 0
	s_cselect_b32 s34, s3, s5
	s_wait_kmcnt 0x0
	s_cmp_ge_i32 s34, s33
	s_cbranch_scc1 .LBB471_34
; %bb.1:
	s_clause 0x4
	s_load_b128 s[4:7], s[0:1], 0x0
	s_load_b256 s[16:23], s[0:1], 0x20
	s_load_b128 s[28:31], s[0:1], 0x40
	s_load_b32 s41, s[0:1], 0x50
	s_load_b256 s[8:15], s[0:1], 0x58
	v_bfe_u32 v8, v0, 10, 10
	v_and_b32_e32 v10, 0x3ff, v0
	v_dual_mov_b32 v9, 0 :: v_dual_bitop2_b32 v0, 7, v0 bitop3:0x40
	s_bfe_u32 s3, ttmp6, 0x4000c
	s_bfe_u32 s25, ttmp6, 0x40010
	s_add_co_i32 s3, s3, 1
	s_and_b32 s26, ttmp7, 0xffff
	s_add_co_i32 s25, s25, 1
	s_and_b32 s24, ttmp6, 15
	s_mul_i32 s3, ttmp9, s3
	s_mul_i32 s25, s26, s25
	s_bfe_u32 s27, ttmp6, 0x40004
	v_lshl_add_u32 v2, v8, 4, v10
	v_mov_b32_e32 v1, v9
	s_add_co_i32 s24, s24, s3
	s_add_co_i32 s27, s27, s25
	s_cmp_eq_u32 s2, 0
	v_and_b32_e32 v3, 31, v2
	s_cselect_b32 s2, ttmp9, s24
	s_wait_kmcnt 0x0
	v_mul_u64_e32 v[12:13], s[28:29], v[0:1]
	s_cselect_b32 s40, s26, s27
	s_ashr_i32 s3, s2, 31
	s_clause 0x1
	s_load_b128 s[24:27], s[0:1], 0x78
	s_load_b96 s[36:38], s[0:1], 0x10
	s_lshl_b64 s[2:3], s[2:3], 5
	s_lshl_b32 s42, s40, 5
	v_dual_mov_b32 v5, s3 :: v_dual_bitop2_b32 v4, s2, v3 bitop3:0x54
	s_mov_b32 s43, s35
	v_dual_mov_b32 v11, v9 :: v_dual_lshrrev_b32 v16, 3, v2
	v_add_nc_u64_e32 v[14:15], s[42:43], v[8:9]
	s_delay_alu instid0(VALU_DEP_3)
	v_mul_u64_e32 v[18:19], s[18:19], v[4:5]
	v_dual_mov_b32 v17, v9 :: v_dual_lshrrev_b32 v2, 5, v2
	s_wait_xcnt 0x0
	v_cmp_gt_i64_e64 s0, s[4:5], v[4:5]
	s_cmp_eq_f32 s41, 0
	v_dual_lshlrev_b32 v22, 2, v0 :: v_dual_lshlrev_b32 v23, 2, v3
	v_mul_u64_e32 v[20:21], s[10:11], v[14:15]
	v_add_nc_u64_e32 v[6:7], s[42:43], v[16:17]
	s_cselect_b32 s39, -1, 0
	s_wait_kmcnt 0x0
	v_mul_u64_e32 v[4:5], s[24:25], v[14:15]
	v_mov_b32_e32 v3, v9
	v_lshl_add_u32 v30, v8, 5, 0x400
	v_lshlrev_b32_e32 v8, 1, v16
	v_lshl_or_b32 v17, v16, 5, v22
	v_cmp_gt_i64_e64 s1, s[6:7], v[6:7]
	v_add_nc_u64_e32 v[6:7], s[2:3], v[10:11]
	s_lshl_b32 s2, s40, 6
	s_mov_b32 s3, s35
	v_lshlrev_b32_e32 v31, 2, v10
	v_lshl_add_u64 v[12:13], v[12:13], 1, s[2:3]
	v_lshl_or_b32 v28, v2, 7, v23
	v_add_nc_u32_e32 v29, 0x400, v17
	v_add_nc_u64_e32 v[16:17], 16, v[6:7]
	v_add_nc_u64_e32 v[22:23], 16, v[14:15]
	;; [unrolled: 1-line block ×3, first 2 shown]
	v_lshlrev_b32_e32 v8, 1, v2
	v_cmp_gt_i64_e64 s2, s[6:7], v[14:15]
	v_cmp_gt_i64_e64 s3, s[4:5], v[6:7]
	s_mov_b32 s40, s38
	v_cmp_gt_i64_e64 s4, s[4:5], v[16:17]
	v_cmp_gt_i64_e64 s5, s[6:7], v[22:23]
	v_lshl_add_u64 v[12:13], v[18:19], 1, v[8:9]
	v_add_nc_u64_e32 v[10:11], s[22:23], v[10:11]
	v_cmp_gt_i64_e64 s22, s[36:37], 0
	s_lshl_b64 s[6:7], s[24:25], 4
	s_lshl_b64 s[10:11], s[10:11], 4
	v_add_nc_u64_e32 v[12:13], s[16:17], v[12:13]
	s_lshl_b64 s[16:17], s[28:29], 4
	v_lshl_add_u64 v[8:9], v[20:21], 2, s[8:9]
	s_lshl_b64 s[8:9], s[30:31], 1
	s_lshl_b64 s[18:19], s[20:21], 1
	s_branch .LBB471_4
.LBB471_2:                              ;   in Loop: Header=BB471_4 Depth=1
	s_wait_xcnt 0x0
	s_or_b32 exec_lo, exec_lo, s23
.LBB471_3:                              ;   in Loop: Header=BB471_4 Depth=1
	s_add_co_i32 s34, s34, 0x10000
	s_delay_alu instid0(SALU_CYCLE_1)
	s_cmp_lt_i32 s34, s33
	s_cbranch_scc0 .LBB471_34
.LBB471_4:                              ; =>This Loop Header: Depth=1
                                        ;     Child Loop BB471_7 Depth 2
	v_dual_mov_b32 v17, 0 :: v_dual_mov_b32 v16, 0
	v_dual_mov_b32 v15, 0 :: v_dual_mov_b32 v14, 0
	s_and_not1_b32 vcc_lo, exec_lo, s22
	s_cbranch_vccnz .LBB471_11
; %bb.5:                                ;   in Loop: Header=BB471_4 Depth=1
	v_mad_nc_u64_u32 v[18:19], s8, s34, v[10:11]
	v_mad_nc_u64_u32 v[20:21], s18, s34, v[12:13]
	v_mov_b32_e32 v16, 0
	s_mov_b64 s[20:21], 0
	s_delay_alu instid0(VALU_DEP_1)
	v_dual_mov_b32 v17, v16 :: v_dual_mov_b32 v14, v16
	v_mov_b32_e32 v15, v16
	v_mad_u32 v19, s9, s34, v19
	v_mad_u32 v21, s19, s34, v21
	s_branch .LBB471_7
.LBB471_6:                              ;   in Loop: Header=BB471_7 Depth=2
	s_wait_xcnt 0x0
	s_or_b32 exec_lo, exec_lo, s23
	ds_store_b32 v29, v23
	s_wait_dscnt 0x0
	s_barrier_signal -1
	s_barrier_wait -1
	ds_load_b128 v[22:25], v30
	ds_load_2addr_b32 v[26:27], v31 offset1:16
	ds_load_b128 v[32:35], v30 offset:512
	ds_load_2addr_b32 v[44:45], v31 offset0:32 offset1:48
	ds_load_2addr_b32 v[46:47], v31 offset0:64 offset1:80
	;; [unrolled: 1-line block ×3, first 2 shown]
	ds_load_b128 v[36:39], v30 offset:16
	ds_load_2addr_b32 v[50:51], v31 offset0:128 offset1:144
	ds_load_b128 v[40:43], v30 offset:528
	s_add_nc_u64 s[20:21], s[20:21], 8
	v_add_nc_u64_e32 v[18:19], s[16:17], v[18:19]
	v_cmp_lt_i64_e64 s23, s[20:21], s[36:37]
	v_add_nc_u64_e32 v[20:21], 16, v[20:21]
	s_and_b32 vcc_lo, exec_lo, s23
	s_wait_dscnt 0x7
	v_pk_fma_f32 v[16:17], v[26:27], v[22:23], v[16:17] op_sel_hi:[1,0,1]
	s_wait_dscnt 0x6
	v_pk_fma_f32 v[14:15], v[26:27], v[32:33], v[14:15] op_sel_hi:[1,0,1]
	ds_load_2addr_b32 v[26:27], v31 offset0:160 offset1:176
	s_wait_dscnt 0x6
	v_pk_fma_f32 v[16:17], v[44:45], v[22:23], v[16:17] op_sel:[0,1,0]
	v_pk_fma_f32 v[14:15], v[44:45], v[32:33], v[14:15] op_sel:[0,1,0]
	ds_load_2addr_b32 v[22:23], v31 offset0:192 offset1:208
	v_dual_mov_b32 v32, v25 :: v_dual_mov_b32 v44, v35
	s_wait_dscnt 0x6
	v_pk_fma_f32 v[16:17], v[46:47], v[24:25], v[16:17] op_sel_hi:[1,0,1]
	v_pk_fma_f32 v[14:15], v[46:47], v[34:35], v[14:15] op_sel_hi:[1,0,1]
	ds_load_2addr_b32 v[24:25], v31 offset0:224 offset1:240
	s_wait_dscnt 0x0
	s_barrier_signal -1
	v_pk_fma_f32 v[16:17], v[48:49], v[32:33], v[16:17] op_sel_hi:[1,0,1]
	v_pk_fma_f32 v[14:15], v[48:49], v[44:45], v[14:15] op_sel_hi:[1,0,1]
	s_barrier_wait -1
	v_mov_b32_e32 v32, v43
	s_delay_alu instid0(VALU_DEP_3) | instskip(NEXT) | instid1(VALU_DEP_3)
	v_pk_fma_f32 v[16:17], v[50:51], v[36:37], v[16:17] op_sel_hi:[1,0,1]
	v_pk_fma_f32 v[14:15], v[50:51], v[40:41], v[14:15] op_sel_hi:[1,0,1]
	s_delay_alu instid0(VALU_DEP_2) | instskip(NEXT) | instid1(VALU_DEP_2)
	v_pk_fma_f32 v[16:17], v[26:27], v[36:37], v[16:17] op_sel:[0,1,0]
	v_pk_fma_f32 v[14:15], v[26:27], v[40:41], v[14:15] op_sel:[0,1,0]
	v_mov_b32_e32 v26, v39
	s_delay_alu instid0(VALU_DEP_3) | instskip(NEXT) | instid1(VALU_DEP_3)
	v_pk_fma_f32 v[16:17], v[22:23], v[38:39], v[16:17] op_sel_hi:[1,0,1]
	v_pk_fma_f32 v[14:15], v[22:23], v[42:43], v[14:15] op_sel_hi:[1,0,1]
	s_delay_alu instid0(VALU_DEP_2) | instskip(NEXT) | instid1(VALU_DEP_2)
	v_pk_fma_f32 v[16:17], v[24:25], v[26:27], v[16:17] op_sel_hi:[1,0,1]
	v_pk_fma_f32 v[14:15], v[24:25], v[32:33], v[14:15] op_sel_hi:[1,0,1]
	s_cbranch_vccz .LBB471_11
.LBB471_7:                              ;   Parent Loop BB471_4 Depth=1
                                        ; =>  This Inner Loop Header: Depth=2
	v_add_nc_u64_e32 v[22:23], s[20:21], v[2:3]
	s_delay_alu instid0(VALU_DEP_1) | instskip(SKIP_2) | instid1(SALU_CYCLE_1)
	v_cmp_gt_i64_e32 vcc_lo, s[36:37], v[22:23]
	v_mov_b32_e32 v22, 0
	s_and_b32 s24, s0, vcc_lo
	s_and_saveexec_b32 s23, s24
	s_cbranch_execz .LBB471_9
; %bb.8:                                ;   in Loop: Header=BB471_7 Depth=2
	global_load_u16 v22, v[20:21], off
	s_wait_loadcnt 0x0
	v_lshlrev_b32_e32 v22, 16, v22
.LBB471_9:                              ;   in Loop: Header=BB471_7 Depth=2
	s_wait_xcnt 0x0
	s_or_b32 exec_lo, exec_lo, s23
	v_add_nc_u64_e32 v[24:25], s[20:21], v[0:1]
	v_mov_b32_e32 v23, 0
	ds_store_b32 v28, v22
	v_cmp_gt_i64_e32 vcc_lo, s[36:37], v[24:25]
	s_and_b32 s24, vcc_lo, s1
	s_delay_alu instid0(SALU_CYCLE_1)
	s_and_saveexec_b32 s23, s24
	s_cbranch_execz .LBB471_6
; %bb.10:                               ;   in Loop: Header=BB471_7 Depth=2
	global_load_u16 v22, v[18:19], off
	s_wait_loadcnt 0x0
	v_lshlrev_b32_e32 v23, 16, v22
	s_branch .LBB471_6
.LBB471_11:                             ;   in Loop: Header=BB471_4 Depth=1
	s_mul_u64 s[20:21], s[26:27], s[34:35]
	s_and_not1_b32 vcc_lo, exec_lo, s39
	s_lshl_b64 s[20:21], s[20:21], 2
	s_delay_alu instid0(SALU_CYCLE_1)
	s_add_nc_u64 s[20:21], s[14:15], s[20:21]
	s_cbranch_vccnz .LBB471_16
; %bb.12:                               ;   in Loop: Header=BB471_4 Depth=1
	s_and_saveexec_b32 s23, s2
	s_cbranch_execz .LBB471_23
; %bb.13:                               ;   in Loop: Header=BB471_4 Depth=1
	v_lshl_add_u64 v[18:19], v[4:5], 2, s[20:21]
	s_delay_alu instid0(VALU_DEP_1)
	v_lshl_add_u64 v[20:21], v[6:7], 2, v[18:19]
	s_and_saveexec_b32 s24, s3
	s_cbranch_execnz .LBB471_17
; %bb.14:                               ;   in Loop: Header=BB471_4 Depth=1
	s_or_b32 exec_lo, exec_lo, s24
	s_and_saveexec_b32 s24, s4
	s_cbranch_execnz .LBB471_18
.LBB471_15:                             ;   in Loop: Header=BB471_4 Depth=1
	s_or_b32 exec_lo, exec_lo, s24
	s_delay_alu instid0(SALU_CYCLE_1)
	s_and_b32 exec_lo, exec_lo, s5
	s_cbranch_execnz .LBB471_19
	s_branch .LBB471_23
.LBB471_16:                             ;   in Loop: Header=BB471_4 Depth=1
	s_branch .LBB471_24
.LBB471_17:                             ;   in Loop: Header=BB471_4 Depth=1
	v_mul_f32_e32 v22, s38, v16
	global_store_b32 v[20:21], v22, off
	s_wait_xcnt 0x0
	s_or_b32 exec_lo, exec_lo, s24
	s_and_saveexec_b32 s24, s4
	s_cbranch_execz .LBB471_15
.LBB471_18:                             ;   in Loop: Header=BB471_4 Depth=1
	v_mul_f32_e32 v22, s38, v17
	global_store_b32 v[20:21], v22, off offset:64
	s_wait_xcnt 0x0
	s_or_b32 exec_lo, exec_lo, s24
	s_delay_alu instid0(SALU_CYCLE_1)
	s_and_b32 exec_lo, exec_lo, s5
	s_cbranch_execz .LBB471_23
.LBB471_19:                             ;   in Loop: Header=BB471_4 Depth=1
	v_lshl_add_u64 v[18:19], s[6:7], 2, v[18:19]
	s_delay_alu instid0(VALU_DEP_1)
	v_lshl_add_u64 v[18:19], v[6:7], 2, v[18:19]
	s_and_saveexec_b32 s24, s3
	s_cbranch_execz .LBB471_21
; %bb.20:                               ;   in Loop: Header=BB471_4 Depth=1
	v_mul_f32_e32 v20, s38, v14
	global_store_b32 v[18:19], v20, off
.LBB471_21:                             ;   in Loop: Header=BB471_4 Depth=1
	s_wait_xcnt 0x0
	s_or_b32 exec_lo, exec_lo, s24
	s_delay_alu instid0(SALU_CYCLE_1)
	s_and_b32 exec_lo, exec_lo, s4
	s_cbranch_execz .LBB471_23
; %bb.22:                               ;   in Loop: Header=BB471_4 Depth=1
	v_mul_f32_e32 v20, s38, v15
	global_store_b32 v[18:19], v20, off offset:64
.LBB471_23:                             ;   in Loop: Header=BB471_4 Depth=1
	s_wait_xcnt 0x0
	s_or_b32 exec_lo, exec_lo, s23
	s_cbranch_execnz .LBB471_3
.LBB471_24:                             ;   in Loop: Header=BB471_4 Depth=1
	s_and_saveexec_b32 s23, s2
	s_cbranch_execz .LBB471_2
; %bb.25:                               ;   in Loop: Header=BB471_4 Depth=1
	s_mul_u64 s[24:25], s[12:13], s[34:35]
	v_lshlrev_b64_e32 v[18:19], 2, v[6:7]
	v_lshl_add_u64 v[20:21], s[24:25], 2, v[8:9]
	v_lshl_add_u64 v[22:23], v[4:5], 2, s[20:21]
	s_delay_alu instid0(VALU_DEP_2) | instskip(NEXT) | instid1(VALU_DEP_2)
	v_add_nc_u64_e32 v[26:27], v[20:21], v[18:19]
	v_add_nc_u64_e32 v[24:25], v[22:23], v[18:19]
	s_and_saveexec_b32 s20, s3
	s_cbranch_execnz .LBB471_28
; %bb.26:                               ;   in Loop: Header=BB471_4 Depth=1
	s_or_b32 exec_lo, exec_lo, s20
	s_and_saveexec_b32 s20, s4
	s_cbranch_execnz .LBB471_29
.LBB471_27:                             ;   in Loop: Header=BB471_4 Depth=1
	s_or_b32 exec_lo, exec_lo, s20
	s_delay_alu instid0(SALU_CYCLE_1)
	s_and_b32 exec_lo, exec_lo, s5
	s_cbranch_execz .LBB471_2
	s_branch .LBB471_30
.LBB471_28:                             ;   in Loop: Header=BB471_4 Depth=1
	global_load_b32 v33, v[26:27], off
	v_mov_b64_e32 v[34:35], s[40:41]
	v_mov_b32_e32 v32, v16
	s_wait_loadcnt 0x0
	s_delay_alu instid0(VALU_DEP_1) | instskip(NEXT) | instid1(VALU_DEP_1)
	v_pk_mul_f32 v[32:33], v[34:35], v[32:33]
	v_add_f32_e32 v16, v32, v33
	global_store_b32 v[24:25], v16, off
	s_wait_xcnt 0x0
	s_or_b32 exec_lo, exec_lo, s20
	s_and_saveexec_b32 s20, s4
	s_cbranch_execz .LBB471_27
.LBB471_29:                             ;   in Loop: Header=BB471_4 Depth=1
	global_load_b32 v27, v[26:27], off offset:64
	s_wait_xcnt 0x0
	v_mov_b32_e32 v26, v17
	v_mov_b64_e32 v[16:17], s[40:41]
	s_wait_loadcnt 0x0
	s_delay_alu instid0(VALU_DEP_1) | instskip(NEXT) | instid1(VALU_DEP_1)
	v_pk_mul_f32 v[16:17], v[16:17], v[26:27]
	v_add_f32_e32 v16, v16, v17
	global_store_b32 v[24:25], v16, off offset:64
	s_wait_xcnt 0x0
	s_or_b32 exec_lo, exec_lo, s20
	s_delay_alu instid0(SALU_CYCLE_1)
	s_and_b32 exec_lo, exec_lo, s5
	s_cbranch_execz .LBB471_2
.LBB471_30:                             ;   in Loop: Header=BB471_4 Depth=1
	v_lshl_add_u64 v[16:17], s[10:11], 2, v[20:21]
	v_lshl_add_u64 v[22:23], s[6:7], 2, v[22:23]
	s_delay_alu instid0(VALU_DEP_2) | instskip(NEXT) | instid1(VALU_DEP_2)
	v_add_nc_u64_e32 v[20:21], v[16:17], v[18:19]
	v_add_nc_u64_e32 v[16:17], v[22:23], v[18:19]
	s_and_saveexec_b32 s20, s3
	s_cbranch_execz .LBB471_32
; %bb.31:                               ;   in Loop: Header=BB471_4 Depth=1
	global_load_b32 v19, v[20:21], off
	v_mov_b64_e32 v[22:23], s[40:41]
	v_mov_b32_e32 v18, v14
	s_wait_loadcnt 0x0
	s_delay_alu instid0(VALU_DEP_1) | instskip(NEXT) | instid1(VALU_DEP_1)
	v_pk_mul_f32 v[18:19], v[22:23], v[18:19]
	v_add_f32_e32 v14, v18, v19
	global_store_b32 v[16:17], v14, off
.LBB471_32:                             ;   in Loop: Header=BB471_4 Depth=1
	s_wait_xcnt 0x0
	s_or_b32 exec_lo, exec_lo, s20
	s_delay_alu instid0(SALU_CYCLE_1)
	s_and_b32 exec_lo, exec_lo, s4
	s_cbranch_execz .LBB471_2
; %bb.33:                               ;   in Loop: Header=BB471_4 Depth=1
	global_load_b32 v19, v[20:21], off offset:64
	v_mov_b32_e32 v18, v15
	v_mov_b64_e32 v[14:15], s[40:41]
	s_wait_loadcnt 0x0
	s_delay_alu instid0(VALU_DEP_1) | instskip(NEXT) | instid1(VALU_DEP_1)
	v_pk_mul_f32 v[14:15], v[14:15], v[18:19]
	v_add_f32_e32 v14, v14, v15
	global_store_b32 v[16:17], v14, off offset:64
	s_branch .LBB471_2
.LBB471_34:
	s_endpgm
	.section	.rodata,"a",@progbits
	.p2align	6, 0x0
	.amdhsa_kernel _ZN12_GLOBAL__N_135rocblas_gemm_batched_general_kernelIfLi16ELi16ELi32ELi32ELi8ELi32ELi8ELi8ELi32ELc84ELc67EK16rocblas_bfloat16KffEEvlllT_PT11_llS6_llS4_PT12_llPT13_lli
		.amdhsa_group_segment_fixed_size 2048
		.amdhsa_private_segment_fixed_size 0
		.amdhsa_kernarg_size 140
		.amdhsa_user_sgpr_count 2
		.amdhsa_user_sgpr_dispatch_ptr 0
		.amdhsa_user_sgpr_queue_ptr 0
		.amdhsa_user_sgpr_kernarg_segment_ptr 1
		.amdhsa_user_sgpr_dispatch_id 0
		.amdhsa_user_sgpr_kernarg_preload_length 0
		.amdhsa_user_sgpr_kernarg_preload_offset 0
		.amdhsa_user_sgpr_private_segment_size 0
		.amdhsa_wavefront_size32 1
		.amdhsa_uses_dynamic_stack 0
		.amdhsa_enable_private_segment 0
		.amdhsa_system_sgpr_workgroup_id_x 1
		.amdhsa_system_sgpr_workgroup_id_y 1
		.amdhsa_system_sgpr_workgroup_id_z 1
		.amdhsa_system_sgpr_workgroup_info 0
		.amdhsa_system_vgpr_workitem_id 1
		.amdhsa_next_free_vgpr 52
		.amdhsa_next_free_sgpr 44
		.amdhsa_named_barrier_count 0
		.amdhsa_reserve_vcc 1
		.amdhsa_float_round_mode_32 0
		.amdhsa_float_round_mode_16_64 0
		.amdhsa_float_denorm_mode_32 3
		.amdhsa_float_denorm_mode_16_64 3
		.amdhsa_fp16_overflow 0
		.amdhsa_memory_ordered 1
		.amdhsa_forward_progress 1
		.amdhsa_inst_pref_size 14
		.amdhsa_round_robin_scheduling 0
		.amdhsa_exception_fp_ieee_invalid_op 0
		.amdhsa_exception_fp_denorm_src 0
		.amdhsa_exception_fp_ieee_div_zero 0
		.amdhsa_exception_fp_ieee_overflow 0
		.amdhsa_exception_fp_ieee_underflow 0
		.amdhsa_exception_fp_ieee_inexact 0
		.amdhsa_exception_int_div_zero 0
	.end_amdhsa_kernel
	.section	.text._ZN12_GLOBAL__N_135rocblas_gemm_batched_general_kernelIfLi16ELi16ELi32ELi32ELi8ELi32ELi8ELi8ELi32ELc84ELc67EK16rocblas_bfloat16KffEEvlllT_PT11_llS6_llS4_PT12_llPT13_lli,"axG",@progbits,_ZN12_GLOBAL__N_135rocblas_gemm_batched_general_kernelIfLi16ELi16ELi32ELi32ELi8ELi32ELi8ELi8ELi32ELc84ELc67EK16rocblas_bfloat16KffEEvlllT_PT11_llS6_llS4_PT12_llPT13_lli,comdat
.Lfunc_end471:
	.size	_ZN12_GLOBAL__N_135rocblas_gemm_batched_general_kernelIfLi16ELi16ELi32ELi32ELi8ELi32ELi8ELi8ELi32ELc84ELc67EK16rocblas_bfloat16KffEEvlllT_PT11_llS6_llS4_PT12_llPT13_lli, .Lfunc_end471-_ZN12_GLOBAL__N_135rocblas_gemm_batched_general_kernelIfLi16ELi16ELi32ELi32ELi8ELi32ELi8ELi8ELi32ELc84ELc67EK16rocblas_bfloat16KffEEvlllT_PT11_llS6_llS4_PT12_llPT13_lli
                                        ; -- End function
	.set _ZN12_GLOBAL__N_135rocblas_gemm_batched_general_kernelIfLi16ELi16ELi32ELi32ELi8ELi32ELi8ELi8ELi32ELc84ELc67EK16rocblas_bfloat16KffEEvlllT_PT11_llS6_llS4_PT12_llPT13_lli.num_vgpr, 52
	.set _ZN12_GLOBAL__N_135rocblas_gemm_batched_general_kernelIfLi16ELi16ELi32ELi32ELi8ELi32ELi8ELi8ELi32ELc84ELc67EK16rocblas_bfloat16KffEEvlllT_PT11_llS6_llS4_PT12_llPT13_lli.num_agpr, 0
	.set _ZN12_GLOBAL__N_135rocblas_gemm_batched_general_kernelIfLi16ELi16ELi32ELi32ELi8ELi32ELi8ELi8ELi32ELc84ELc67EK16rocblas_bfloat16KffEEvlllT_PT11_llS6_llS4_PT12_llPT13_lli.numbered_sgpr, 44
	.set _ZN12_GLOBAL__N_135rocblas_gemm_batched_general_kernelIfLi16ELi16ELi32ELi32ELi8ELi32ELi8ELi8ELi32ELc84ELc67EK16rocblas_bfloat16KffEEvlllT_PT11_llS6_llS4_PT12_llPT13_lli.num_named_barrier, 0
	.set _ZN12_GLOBAL__N_135rocblas_gemm_batched_general_kernelIfLi16ELi16ELi32ELi32ELi8ELi32ELi8ELi8ELi32ELc84ELc67EK16rocblas_bfloat16KffEEvlllT_PT11_llS6_llS4_PT12_llPT13_lli.private_seg_size, 0
	.set _ZN12_GLOBAL__N_135rocblas_gemm_batched_general_kernelIfLi16ELi16ELi32ELi32ELi8ELi32ELi8ELi8ELi32ELc84ELc67EK16rocblas_bfloat16KffEEvlllT_PT11_llS6_llS4_PT12_llPT13_lli.uses_vcc, 1
	.set _ZN12_GLOBAL__N_135rocblas_gemm_batched_general_kernelIfLi16ELi16ELi32ELi32ELi8ELi32ELi8ELi8ELi32ELc84ELc67EK16rocblas_bfloat16KffEEvlllT_PT11_llS6_llS4_PT12_llPT13_lli.uses_flat_scratch, 0
	.set _ZN12_GLOBAL__N_135rocblas_gemm_batched_general_kernelIfLi16ELi16ELi32ELi32ELi8ELi32ELi8ELi8ELi32ELc84ELc67EK16rocblas_bfloat16KffEEvlllT_PT11_llS6_llS4_PT12_llPT13_lli.has_dyn_sized_stack, 0
	.set _ZN12_GLOBAL__N_135rocblas_gemm_batched_general_kernelIfLi16ELi16ELi32ELi32ELi8ELi32ELi8ELi8ELi32ELc84ELc67EK16rocblas_bfloat16KffEEvlllT_PT11_llS6_llS4_PT12_llPT13_lli.has_recursion, 0
	.set _ZN12_GLOBAL__N_135rocblas_gemm_batched_general_kernelIfLi16ELi16ELi32ELi32ELi8ELi32ELi8ELi8ELi32ELc84ELc67EK16rocblas_bfloat16KffEEvlllT_PT11_llS6_llS4_PT12_llPT13_lli.has_indirect_call, 0
	.section	.AMDGPU.csdata,"",@progbits
; Kernel info:
; codeLenInByte = 1768
; TotalNumSgprs: 46
; NumVgprs: 52
; ScratchSize: 0
; MemoryBound: 0
; FloatMode: 240
; IeeeMode: 1
; LDSByteSize: 2048 bytes/workgroup (compile time only)
; SGPRBlocks: 0
; VGPRBlocks: 3
; NumSGPRsForWavesPerEU: 46
; NumVGPRsForWavesPerEU: 52
; NamedBarCnt: 0
; Occupancy: 16
; WaveLimiterHint : 0
; COMPUTE_PGM_RSRC2:SCRATCH_EN: 0
; COMPUTE_PGM_RSRC2:USER_SGPR: 2
; COMPUTE_PGM_RSRC2:TRAP_HANDLER: 0
; COMPUTE_PGM_RSRC2:TGID_X_EN: 1
; COMPUTE_PGM_RSRC2:TGID_Y_EN: 1
; COMPUTE_PGM_RSRC2:TGID_Z_EN: 1
; COMPUTE_PGM_RSRC2:TIDIG_COMP_CNT: 1
	.section	.text._ZN12_GLOBAL__N_120gemm_ex_scale_kernelILi32ELi32EiPKiPiEEviiT1_T2_lllT3_llli,"axG",@progbits,_ZN12_GLOBAL__N_120gemm_ex_scale_kernelILi32ELi32EiPKiPiEEviiT1_T2_lllT3_llli,comdat
	.globl	_ZN12_GLOBAL__N_120gemm_ex_scale_kernelILi32ELi32EiPKiPiEEviiT1_T2_lllT3_llli ; -- Begin function _ZN12_GLOBAL__N_120gemm_ex_scale_kernelILi32ELi32EiPKiPiEEviiT1_T2_lllT3_llli
	.p2align	8
	.type	_ZN12_GLOBAL__N_120gemm_ex_scale_kernelILi32ELi32EiPKiPiEEviiT1_T2_lllT3_llli,@function
_ZN12_GLOBAL__N_120gemm_ex_scale_kernelILi32ELi32EiPKiPiEEviiT1_T2_lllT3_llli: ; @_ZN12_GLOBAL__N_120gemm_ex_scale_kernelILi32ELi32EiPKiPiEEviiT1_T2_lllT3_llli
; %bb.0:
	s_load_b32 s3, s[0:1], 0x50
	s_bfe_u32 s2, ttmp6, 0x40014
	s_lshr_b32 s4, ttmp7, 16
	s_add_co_i32 s2, s2, 1
	s_bfe_u32 s6, ttmp6, 0x40008
	s_mul_i32 s5, s4, s2
	s_getreg_b32 s2, hwreg(HW_REG_IB_STS2, 6, 4)
	s_add_co_i32 s6, s6, s5
	s_cmp_eq_u32 s2, 0
	s_mov_b32 s21, 0
	s_cselect_b32 s20, s4, s6
	s_wait_kmcnt 0x0
	s_cmp_ge_u32 s20, s3
	s_cbranch_scc1 .LBB472_8
; %bb.1:
	s_load_b512 s[4:19], s[0:1], 0x10
	s_bfe_u32 s23, ttmp6, 0x40010
	s_bfe_u32 s26, ttmp6, 0x4000c
	s_and_b32 s22, ttmp7, 0xffff
	s_add_co_i32 s23, s23, 1
	s_add_co_i32 s26, s26, 1
	s_bfe_u32 s24, ttmp6, 0x40004
	s_and_b32 s25, ttmp6, 15
	s_mul_i32 s23, s22, s23
	s_mul_i32 s26, ttmp9, s26
	v_bfe_u32 v1, v0, 10, 10
	s_add_co_i32 s24, s24, s23
	s_add_co_i32 s25, s25, s26
	v_mov_b32_e32 v3, 0
	v_and_b32_e32 v0, 0x3ff, v0
	s_wait_kmcnt 0x0
	s_lshl_b64 s[14:15], s[14:15], 2
	s_lshl_b64 s[6:7], s[6:7], 2
	s_cmp_eq_u32 s2, 0
	s_add_nc_u64 s[4:5], s[4:5], s[6:7]
	s_cselect_b32 s2, s22, s24
	s_add_nc_u64 s[6:7], s[12:13], s[14:15]
	v_lshl_add_u32 v2, s2, 5, v1
	s_load_b96 s[0:2], s[0:1], 0x0
	v_mov_b32_e32 v1, v3
	s_delay_alu instid0(VALU_DEP_2) | instskip(SKIP_2) | instid1(SALU_CYCLE_1)
	v_mul_u64_e32 v[4:5], s[8:9], v[2:3]
	v_mul_u64_e32 v[6:7], s[16:17], v[2:3]
	s_cselect_b32 s8, ttmp9, s25
	v_lshl_add_u32 v0, s8, 5, v0
	s_wait_kmcnt 0x0
	s_delay_alu instid0(VALU_DEP_1)
	v_cmp_gt_u32_e32 vcc_lo, s0, v0
	v_cmp_gt_u32_e64 s0, s1, v2
	v_lshlrev_b64_e32 v[2:3], 2, v[0:1]
	s_and_b32 s0, vcc_lo, s0
	s_cmp_lg_u32 s2, 0
	s_cselect_b32 s1, -1, 0
	v_lshl_add_u64 v[0:1], v[4:5], 2, s[4:5]
	v_lshl_add_u64 v[4:5], v[6:7], 2, s[6:7]
	s_delay_alu instid0(VALU_DEP_2) | instskip(NEXT) | instid1(VALU_DEP_2)
	v_add_nc_u64_e32 v[0:1], v[0:1], v[2:3]
	v_add_nc_u64_e32 v[2:3], v[4:5], v[2:3]
	s_branch .LBB472_5
.LBB472_2:                              ;   in Loop: Header=BB472_5 Depth=1
	s_mul_u64 s[6:7], s[10:11], s[20:21]
	s_delay_alu instid0(SALU_CYCLE_1)
	v_lshl_add_u64 v[4:5], s[6:7], 2, v[0:1]
	global_load_b32 v4, v[4:5], off
	s_wait_loadcnt 0x0
	s_wait_xcnt 0x0
	v_mul_lo_u32 v4, v4, s2
.LBB472_3:                              ;   in Loop: Header=BB472_5 Depth=1
	s_mul_u64 s[6:7], s[18:19], s[20:21]
	s_delay_alu instid0(SALU_CYCLE_1)
	v_lshl_add_u64 v[6:7], s[6:7], 2, v[2:3]
	global_store_b32 v[6:7], v4, off
.LBB472_4:                              ;   in Loop: Header=BB472_5 Depth=1
	s_wait_xcnt 0x0
	s_or_b32 exec_lo, exec_lo, s4
	s_add_co_i32 s20, s20, 0x10000
	s_delay_alu instid0(SALU_CYCLE_1)
	s_cmp_lt_u32 s20, s3
	s_cbranch_scc0 .LBB472_8
.LBB472_5:                              ; =>This Inner Loop Header: Depth=1
	s_and_saveexec_b32 s4, s0
	s_cbranch_execz .LBB472_4
; %bb.6:                                ;   in Loop: Header=BB472_5 Depth=1
	s_and_not1_b32 vcc_lo, exec_lo, s1
	s_cbranch_vccz .LBB472_2
; %bb.7:                                ;   in Loop: Header=BB472_5 Depth=1
	v_mov_b32_e32 v4, 0
	s_branch .LBB472_3
.LBB472_8:
	s_endpgm
	.section	.rodata,"a",@progbits
	.p2align	6, 0x0
	.amdhsa_kernel _ZN12_GLOBAL__N_120gemm_ex_scale_kernelILi32ELi32EiPKiPiEEviiT1_T2_lllT3_llli
		.amdhsa_group_segment_fixed_size 0
		.amdhsa_private_segment_fixed_size 0
		.amdhsa_kernarg_size 84
		.amdhsa_user_sgpr_count 2
		.amdhsa_user_sgpr_dispatch_ptr 0
		.amdhsa_user_sgpr_queue_ptr 0
		.amdhsa_user_sgpr_kernarg_segment_ptr 1
		.amdhsa_user_sgpr_dispatch_id 0
		.amdhsa_user_sgpr_kernarg_preload_length 0
		.amdhsa_user_sgpr_kernarg_preload_offset 0
		.amdhsa_user_sgpr_private_segment_size 0
		.amdhsa_wavefront_size32 1
		.amdhsa_uses_dynamic_stack 0
		.amdhsa_enable_private_segment 0
		.amdhsa_system_sgpr_workgroup_id_x 1
		.amdhsa_system_sgpr_workgroup_id_y 1
		.amdhsa_system_sgpr_workgroup_id_z 1
		.amdhsa_system_sgpr_workgroup_info 0
		.amdhsa_system_vgpr_workitem_id 1
		.amdhsa_next_free_vgpr 8
		.amdhsa_next_free_sgpr 27
		.amdhsa_named_barrier_count 0
		.amdhsa_reserve_vcc 1
		.amdhsa_float_round_mode_32 0
		.amdhsa_float_round_mode_16_64 0
		.amdhsa_float_denorm_mode_32 3
		.amdhsa_float_denorm_mode_16_64 3
		.amdhsa_fp16_overflow 0
		.amdhsa_memory_ordered 1
		.amdhsa_forward_progress 1
		.amdhsa_inst_pref_size 4
		.amdhsa_round_robin_scheduling 0
		.amdhsa_exception_fp_ieee_invalid_op 0
		.amdhsa_exception_fp_denorm_src 0
		.amdhsa_exception_fp_ieee_div_zero 0
		.amdhsa_exception_fp_ieee_overflow 0
		.amdhsa_exception_fp_ieee_underflow 0
		.amdhsa_exception_fp_ieee_inexact 0
		.amdhsa_exception_int_div_zero 0
	.end_amdhsa_kernel
	.section	.text._ZN12_GLOBAL__N_120gemm_ex_scale_kernelILi32ELi32EiPKiPiEEviiT1_T2_lllT3_llli,"axG",@progbits,_ZN12_GLOBAL__N_120gemm_ex_scale_kernelILi32ELi32EiPKiPiEEviiT1_T2_lllT3_llli,comdat
.Lfunc_end472:
	.size	_ZN12_GLOBAL__N_120gemm_ex_scale_kernelILi32ELi32EiPKiPiEEviiT1_T2_lllT3_llli, .Lfunc_end472-_ZN12_GLOBAL__N_120gemm_ex_scale_kernelILi32ELi32EiPKiPiEEviiT1_T2_lllT3_llli
                                        ; -- End function
	.set _ZN12_GLOBAL__N_120gemm_ex_scale_kernelILi32ELi32EiPKiPiEEviiT1_T2_lllT3_llli.num_vgpr, 8
	.set _ZN12_GLOBAL__N_120gemm_ex_scale_kernelILi32ELi32EiPKiPiEEviiT1_T2_lllT3_llli.num_agpr, 0
	.set _ZN12_GLOBAL__N_120gemm_ex_scale_kernelILi32ELi32EiPKiPiEEviiT1_T2_lllT3_llli.numbered_sgpr, 27
	.set _ZN12_GLOBAL__N_120gemm_ex_scale_kernelILi32ELi32EiPKiPiEEviiT1_T2_lllT3_llli.num_named_barrier, 0
	.set _ZN12_GLOBAL__N_120gemm_ex_scale_kernelILi32ELi32EiPKiPiEEviiT1_T2_lllT3_llli.private_seg_size, 0
	.set _ZN12_GLOBAL__N_120gemm_ex_scale_kernelILi32ELi32EiPKiPiEEviiT1_T2_lllT3_llli.uses_vcc, 1
	.set _ZN12_GLOBAL__N_120gemm_ex_scale_kernelILi32ELi32EiPKiPiEEviiT1_T2_lllT3_llli.uses_flat_scratch, 0
	.set _ZN12_GLOBAL__N_120gemm_ex_scale_kernelILi32ELi32EiPKiPiEEviiT1_T2_lllT3_llli.has_dyn_sized_stack, 0
	.set _ZN12_GLOBAL__N_120gemm_ex_scale_kernelILi32ELi32EiPKiPiEEviiT1_T2_lllT3_llli.has_recursion, 0
	.set _ZN12_GLOBAL__N_120gemm_ex_scale_kernelILi32ELi32EiPKiPiEEviiT1_T2_lllT3_llli.has_indirect_call, 0
	.section	.AMDGPU.csdata,"",@progbits
; Kernel info:
; codeLenInByte = 424
; TotalNumSgprs: 29
; NumVgprs: 8
; ScratchSize: 0
; MemoryBound: 0
; FloatMode: 240
; IeeeMode: 1
; LDSByteSize: 0 bytes/workgroup (compile time only)
; SGPRBlocks: 0
; VGPRBlocks: 0
; NumSGPRsForWavesPerEU: 29
; NumVGPRsForWavesPerEU: 8
; NamedBarCnt: 0
; Occupancy: 16
; WaveLimiterHint : 0
; COMPUTE_PGM_RSRC2:SCRATCH_EN: 0
; COMPUTE_PGM_RSRC2:USER_SGPR: 2
; COMPUTE_PGM_RSRC2:TRAP_HANDLER: 0
; COMPUTE_PGM_RSRC2:TGID_X_EN: 1
; COMPUTE_PGM_RSRC2:TGID_Y_EN: 1
; COMPUTE_PGM_RSRC2:TGID_Z_EN: 1
; COMPUTE_PGM_RSRC2:TIDIG_COMP_CNT: 1
	.section	.text._ZN12_GLOBAL__N_127rocblas_gemm_batched_kernelIiLi16ELi16ELi64ELi64ELi4ELi64ELi4ELi4ELi64ELc78ELc78EKaKiiEEvlllT_PT11_llS5_llS3_PT12_llPT13_lli,"axG",@progbits,_ZN12_GLOBAL__N_127rocblas_gemm_batched_kernelIiLi16ELi16ELi64ELi64ELi4ELi64ELi4ELi4ELi64ELc78ELc78EKaKiiEEvlllT_PT11_llS5_llS3_PT12_llPT13_lli,comdat
	.globl	_ZN12_GLOBAL__N_127rocblas_gemm_batched_kernelIiLi16ELi16ELi64ELi64ELi4ELi64ELi4ELi4ELi64ELc78ELc78EKaKiiEEvlllT_PT11_llS5_llS3_PT12_llPT13_lli ; -- Begin function _ZN12_GLOBAL__N_127rocblas_gemm_batched_kernelIiLi16ELi16ELi64ELi64ELi4ELi64ELi4ELi4ELi64ELc78ELc78EKaKiiEEvlllT_PT11_llS5_llS3_PT12_llPT13_lli
	.p2align	8
	.type	_ZN12_GLOBAL__N_127rocblas_gemm_batched_kernelIiLi16ELi16ELi64ELi64ELi4ELi64ELi4ELi4ELi64ELc78ELc78EKaKiiEEvlllT_PT11_llS5_llS3_PT12_llPT13_lli,@function
_ZN12_GLOBAL__N_127rocblas_gemm_batched_kernelIiLi16ELi16ELi64ELi64ELi4ELi64ELi4ELi4ELi64ELc78ELc78EKaKiiEEvlllT_PT11_llS5_llS3_PT12_llPT13_lli: ; @_ZN12_GLOBAL__N_127rocblas_gemm_batched_kernelIiLi16ELi16ELi64ELi64ELi4ELi64ELi4ELi4ELi64ELc78ELc78EKaKiiEEvlllT_PT11_llS5_llS3_PT12_llPT13_lli
; %bb.0:
	s_load_b32 s31, s[0:1], 0x88
	s_bfe_u32 s2, ttmp6, 0x40014
	s_lshr_b32 s3, ttmp7, 16
	s_add_co_i32 s2, s2, 1
	s_bfe_u32 s4, ttmp6, 0x40008
	s_mul_i32 s2, s3, s2
	s_getreg_b32 s28, hwreg(HW_REG_IB_STS2, 6, 4)
	s_add_co_i32 s4, s4, s2
	s_cmp_eq_u32 s28, 0
	s_cselect_b32 s2, s3, s4
	s_mov_b32 s3, 0
	s_wait_kmcnt 0x0
	s_cmp_ge_i32 s2, s31
	s_cbranch_scc1 .LBB473_10
; %bb.1:
	v_bfe_u32 v2, v0, 10, 10
	v_and_b32_e32 v4, 0x3ff, v0
	s_bfe_u32 s30, ttmp6, 0x4000c
	s_bfe_u32 s34, ttmp6, 0x40010
	s_clause 0x2
	s_load_b256 s[4:11], s[0:1], 0x20
	s_load_b128 s[20:23], s[0:1], 0x40
	s_load_b128 s[24:27], s[0:1], 0x78
	v_dual_lshlrev_b32 v17, 4, v2 :: v_dual_mov_b32 v3, 0
	s_and_b32 s33, ttmp7, 0xffff
	s_add_co_i32 s30, s30, 1
	s_add_co_i32 s34, s34, 1
	s_load_b256 s[12:19], s[0:1], 0x58
	v_dual_add_nc_u32 v5, v17, v4 :: v_dual_mov_b32 v7, v3
	s_and_b32 s29, ttmp6, 15
	s_mul_i32 s30, ttmp9, s30
	s_mul_i32 s34, s33, s34
	s_bfe_u32 s35, ttmp6, 0x40004
	s_add_co_i32 s29, s29, s30
	s_add_co_i32 s35, s35, s34
	s_cmp_eq_u32 s28, 0
	v_dual_lshrrev_b32 v6, 2, v5 :: v_dual_bitop2_b32 v0, 3, v0 bitop3:0x40
	s_cselect_b32 s30, s33, s35
	s_cselect_b32 s28, ttmp9, s29
	s_lshl_b32 s34, s30, 6
	s_mov_b32 s35, s3
	v_mov_b32_e32 v1, v3
	v_add_nc_u64_e32 v[8:9], s[34:35], v[6:7]
	v_add_nc_u64_e32 v[10:11], s[34:35], v[2:3]
	v_lshrrev_b32_e32 v7, 6, v5
	s_ashr_i32 s29, s28, 31
	s_load_b32 s33, s[0:1], 0x50
	s_lshl_b64 s[34:35], s[28:29], 6
	s_load_b96 s[28:30], s[0:1], 0x10
	s_wait_kmcnt 0x0
	v_mad_nc_u64_u32 v[12:13], s20, v8, v[0:1]
	v_mul_u64_e32 v[18:19], s[14:15], v[10:11]
	v_mad_nc_u64_u32 v[20:21], s6, v7, s[34:35]
	v_dual_lshlrev_b32 v5, 2, v0 :: v_dual_bitop2_b32 v2, 63, v5 bitop3:0x40
	v_mul_u64_e32 v[0:1], s[24:25], v[10:11]
	v_lshlrev_b32_e32 v16, 2, v4
	v_add_nc_u32_e32 v17, 0x400, v17
	s_delay_alu instid0(VALU_DEP_4)
	v_lshlrev_b32_e32 v10, 2, v2
	v_lshl_or_b32 v6, v6, 4, v5
	v_mov_b32_e32 v5, v3
	v_mad_u32 v8, s21, v8, v13
	v_mad_u32 v21, s7, v7, v21
	v_lshl_or_b32 v14, v7, 8, v10
	v_add_nc_u32_e32 v15, 0x400, v6
	s_lshl_b64 s[6:7], s[6:7], 2
	s_cmp_lg_u32 s33, 0
	v_cmp_gt_i64_e64 s0, s[28:29], 0
	s_cselect_b32 s1, -1, 0
	s_lshl_b64 s[14:15], s[14:15], 4
	v_mad_u32 v13, s20, v9, v8
	v_add_nc_u64_e32 v[8:9], s[34:35], v[4:5]
	v_add_nc_u64_e32 v[6:7], v[20:21], v[2:3]
	v_cndmask_b32_e64 v10, 0, 1, s0
	s_delay_alu instid0(VALU_DEP_2) | instskip(NEXT) | instid1(VALU_DEP_4)
	v_add_nc_u64_e32 v[4:5], s[4:5], v[6:7]
	v_lshlrev_b64_e32 v[6:7], 2, v[8:9]
	v_add_nc_u64_e32 v[2:3], s[10:11], v[12:13]
	v_lshl_add_u64 v[8:9], v[18:19], 2, s[12:13]
	v_cmp_ne_u32_e64 s0, 1, v10
	s_lshl_b64 s[10:11], s[24:25], 4
	s_lshl_b64 s[4:5], s[14:15], 2
	;; [unrolled: 1-line block ×3, first 2 shown]
	s_branch .LBB473_3
.LBB473_2:                              ;   in Loop: Header=BB473_3 Depth=1
	s_add_co_i32 s2, s2, 0x10000
	s_delay_alu instid0(SALU_CYCLE_1)
	s_cmp_lt_i32 s2, s31
	s_cbranch_scc0 .LBB473_10
.LBB473_3:                              ; =>This Loop Header: Depth=1
                                        ;     Child Loop BB473_5 Depth 2
	s_wait_xcnt 0xa
	v_dual_mov_b32 v21, 0 :: v_dual_mov_b32 v20, 0
	s_wait_xcnt 0x7
	v_dual_mov_b32 v19, 0 :: v_dual_mov_b32 v18, 0
	;; [unrolled: 2-line block ×3, first 2 shown]
	v_dual_mov_b32 v24, 0 :: v_dual_mov_b32 v23, 0
	v_dual_mov_b32 v22, 0 :: v_dual_mov_b32 v26, 0
	s_wait_xcnt 0x0
	v_dual_mov_b32 v25, 0 :: v_dual_mov_b32 v32, 0
	v_dual_mov_b32 v31, 0 :: v_dual_mov_b32 v29, 0
	;; [unrolled: 1-line block ×3, first 2 shown]
	s_and_b32 vcc_lo, exec_lo, s0
	s_cbranch_vccnz .LBB473_6
; %bb.4:                                ;   in Loop: Header=BB473_3 Depth=1
	v_mad_nc_u64_u32 v[10:11], s22, s2, v[2:3]
	v_mad_nc_u64_u32 v[12:13], s8, s2, v[4:5]
	v_dual_mov_b32 v27, 0 :: v_dual_mov_b32 v28, 0
	v_dual_mov_b32 v29, 0 :: v_dual_mov_b32 v31, 0
	;; [unrolled: 1-line block ×5, first 2 shown]
	v_mad_u32 v11, s23, s2, v11
	v_mad_u32 v13, s9, s2, v13
	v_dual_mov_b32 v30, 0 :: v_dual_mov_b32 v33, 0
	v_dual_mov_b32 v18, 0 :: v_dual_mov_b32 v19, 0
	;; [unrolled: 1-line block ×3, first 2 shown]
	s_mov_b64 s[12:13], 0
.LBB473_5:                              ;   Parent Loop BB473_3 Depth=1
                                        ; =>  This Inner Loop Header: Depth=2
	global_load_i8 v34, v[12:13], off
	s_wait_xcnt 0x0
	v_add_nc_u64_e32 v[12:13], s[6:7], v[12:13]
	s_wait_loadcnt 0x0
	ds_store_b32 v14, v34
	v_add_nc_u64_e32 v[34:35], s[12:13], v[10:11]
	s_add_nc_u64 s[12:13], s[12:13], 4
	s_delay_alu instid0(SALU_CYCLE_1)
	v_cmp_lt_i64_e64 s14, s[12:13], s[28:29]
	global_load_i8 v34, v[34:35], off
	s_and_b32 vcc_lo, exec_lo, s14
	s_wait_loadcnt 0x0
	ds_store_b32 v15, v34
	s_wait_dscnt 0x0
	s_barrier_signal -1
	s_barrier_wait -1
	ds_load_2addr_b32 v[46:47], v16 offset1:16
	ds_load_2addr_b32 v[48:49], v16 offset0:32 offset1:48
	ds_load_2addr_b32 v[50:51], v16 offset0:64 offset1:80
	;; [unrolled: 1-line block ×7, first 2 shown]
	s_wait_xcnt 0x0
	ds_load_b128 v[34:37], v17 offset:512
	ds_load_b128 v[38:41], v17 offset:768
	ds_load_b128 v[42:45], v17
	s_wait_dscnt 0x2
	v_mad_u32 v31, v34, v48, v31
	s_wait_dscnt 0x1
	v_mad_u32 v30, v38, v46, v30
	v_mad_u32 v29, v38, v47, v29
	;; [unrolled: 1-line block ×7, first 2 shown]
	s_wait_dscnt 0x0
	v_mad_u32 v24, v42, v46, v24
	v_mad_u32 v23, v42, v47, v23
	v_mad_u32 v22, v42, v48, v22
	v_mad_u32 v31, v35, v52, v31
	v_mad_u32 v30, v39, v50, v30
	v_mad_u32 v29, v39, v51, v29
	v_mad_u32 v28, v39, v52, v28
	v_mad_u32 v27, v39, v53, v27
	v_mad_u32 v21, v42, v49, v21
	v_mad_u32 v32, v35, v51, v32
	v_mad_u32 v33, v35, v53, v33
	v_mad_u32 v18, v35, v50, v18
	v_mad_u32 v24, v43, v50, v24
	v_mad_u32 v23, v43, v51, v23
	v_mad_u32 v38, v36, v56, v31
	v_mad_u32 v39, v40, v54, v30
	v_mad_u32 v62, v40, v55, v29
	v_mad_u32 v63, v40, v56, v28
	ds_load_b128 v[28:31], v17 offset:256
	v_mad_u32 v22, v43, v52, v22
	v_mad_u32 v21, v43, v53, v21
	;; [unrolled: 1-line block ×6, first 2 shown]
	s_wait_dscnt 0x0
	s_barrier_signal -1
	s_barrier_wait -1
	v_mad_u32 v24, v44, v54, v24
	v_mad_u32 v23, v44, v55, v23
	v_mad_u32 v22, v44, v56, v22
	v_mad_u32 v21, v44, v57, v21
	v_mad_u32 v32, v37, v59, v32
	v_mad_u32 v33, v37, v61, v33
	v_mad_u32 v18, v37, v58, v18
	v_mad_u32 v27, v41, v61, v27
	v_mad_u32 v26, v28, v47, v26
	v_mad_u32 v25, v28, v48, v25
	v_mad_u32 v20, v28, v46, v20
	v_mad_u32 v19, v28, v49, v19
	v_mad_u32 v28, v41, v60, v63
	v_mad_u32 v24, v45, v58, v24
	v_mad_u32 v23, v45, v59, v23
	v_mad_u32 v22, v45, v60, v22
	v_mad_u32 v21, v45, v61, v21
	v_mad_u32 v26, v29, v51, v26
	v_mad_u32 v25, v29, v52, v25
	v_mad_u32 v20, v29, v50, v20
	v_mad_u32 v19, v29, v53, v19
	v_mad_u32 v29, v41, v59, v62
	v_mad_u32 v26, v30, v55, v26
	v_mad_u32 v25, v30, v56, v25
	v_mad_u32 v20, v30, v54, v20
	v_mad_u32 v19, v30, v57, v19
	v_mad_u32 v30, v41, v58, v39
	v_mad_u32 v26, v31, v59, v26
	v_mad_u32 v25, v31, v60, v25
	v_mad_u32 v20, v31, v58, v20
	v_mad_u32 v19, v31, v61, v19
	v_mad_u32 v31, v37, v60, v38
	s_cbranch_vccnz .LBB473_5
.LBB473_6:                              ;   in Loop: Header=BB473_3 Depth=1
	s_mul_u64 s[12:13], s[26:27], s[2:3]
	v_mul_lo_u32 v24, v24, s30
	s_lshl_b64 s[12:13], s[12:13], 2
	v_mul_lo_u32 v23, v23, s30
	s_add_nc_u64 s[12:13], s[18:19], s[12:13]
	v_mul_lo_u32 v34, v22, s30
	v_lshl_add_u64 v[12:13], v[0:1], 2, s[12:13]
	v_mul_lo_u32 v35, v21, s30
	v_mul_lo_u32 v20, v20, s30
	;; [unrolled: 1-line block ×13, first 2 shown]
	v_add_nc_u64_e32 v[10:11], v[12:13], v[6:7]
	v_add_nc_u64_e32 v[12:13], s[10:11], v[12:13]
	s_and_not1_b32 vcc_lo, exec_lo, s1
	s_cbranch_vccnz .LBB473_8
; %bb.7:                                ;   in Loop: Header=BB473_3 Depth=1
	s_mul_u64 s[12:13], s[16:17], s[2:3]
	s_delay_alu instid0(SALU_CYCLE_1) | instskip(NEXT) | instid1(VALU_DEP_1)
	v_lshl_add_u64 v[32:33], s[12:13], 2, v[8:9]
	v_add_nc_u64_e32 v[36:37], v[32:33], v[6:7]
	v_add_nc_u64_e32 v[32:33], s[4:5], v[32:33]
	global_load_b32 v38, v[36:37], off
	s_wait_loadcnt 0x0
	v_mad_u32 v38, v38, s33, v24
	global_store_b32 v[10:11], v38, off
	global_load_b32 v38, v[36:37], off offset:64
	s_wait_loadcnt 0x0
	v_mad_u32 v38, v38, s33, v23
	global_store_b32 v[10:11], v38, off offset:64
	global_load_b32 v38, v[36:37], off offset:128
	s_wait_loadcnt 0x0
	v_mad_u32 v38, v38, s33, v34
	global_store_b32 v[10:11], v38, off offset:128
	global_load_b32 v36, v[36:37], off offset:192
	s_wait_loadcnt 0x0
	s_wait_xcnt 0x1
	v_mad_u32 v38, v36, s33, v35
	s_wait_xcnt 0x0
	v_add_nc_u64_e32 v[36:37], v[32:33], v[6:7]
	v_add_nc_u64_e32 v[32:33], s[4:5], v[32:33]
	global_store_b32 v[10:11], v38, off offset:192
	global_load_b32 v38, v[36:37], off
	s_wait_loadcnt 0x0
	v_mad_u32 v40, v38, s33, v20
	v_add_nc_u64_e32 v[38:39], v[12:13], v[6:7]
	global_store_b32 v[38:39], v40, off
	global_load_b32 v40, v[36:37], off offset:64
	s_wait_loadcnt 0x0
	v_mad_u32 v40, v40, s33, v21
	global_store_b32 v[38:39], v40, off offset:64
	global_load_b32 v40, v[36:37], off offset:128
	s_wait_loadcnt 0x0
	v_mad_u32 v40, v40, s33, v22
	global_store_b32 v[38:39], v40, off offset:128
	global_load_b32 v36, v[36:37], off offset:192
	s_wait_loadcnt 0x0
	s_wait_xcnt 0x1
	v_mad_u32 v40, v36, s33, v19
	s_wait_xcnt 0x0
	v_add_nc_u64_e32 v[36:37], v[32:33], v[6:7]
	v_add_nc_u64_e32 v[32:33], s[4:5], v[32:33]
	s_delay_alu instid0(VALU_DEP_1)
	v_add_nc_u64_e32 v[32:33], v[32:33], v[6:7]
	global_store_b32 v[38:39], v40, off offset:192
	global_load_b32 v40, v[36:37], off
	v_add_nc_u64_e32 v[38:39], s[10:11], v[12:13]
	s_wait_loadcnt 0x0
	v_mad_u32 v42, v40, s33, v18
	s_delay_alu instid0(VALU_DEP_2)
	v_add_nc_u64_e32 v[40:41], v[38:39], v[6:7]
	global_store_b32 v[40:41], v42, off
	global_load_b32 v42, v[36:37], off offset:64
	s_wait_loadcnt 0x0
	v_mad_u32 v42, v42, s33, v25
	global_store_b32 v[40:41], v42, off offset:64
	global_load_b32 v42, v[36:37], off offset:128
	s_wait_loadcnt 0x0
	v_mad_u32 v42, v42, s33, v26
	global_store_b32 v[40:41], v42, off offset:128
	global_load_b32 v36, v[36:37], off offset:192
	s_wait_loadcnt 0x0
	s_wait_xcnt 0x0
	v_mad_u32 v36, v36, s33, v31
	global_store_b32 v[40:41], v36, off offset:192
	global_load_b32 v40, v[32:33], off
	v_add_nc_u64_e32 v[36:37], s[10:11], v[38:39]
	s_delay_alu instid0(VALU_DEP_1)
	v_add_nc_u64_e32 v[36:37], v[36:37], v[6:7]
	s_wait_loadcnt 0x0
	v_mad_u32 v38, v40, s33, v30
	global_store_b32 v[36:37], v38, off
	global_load_b32 v38, v[32:33], off offset:64
	s_wait_loadcnt 0x0
	v_mad_u32 v38, v38, s33, v29
	global_store_b32 v[36:37], v38, off offset:64
	global_load_b32 v38, v[32:33], off offset:128
	s_wait_loadcnt 0x0
	v_mad_u32 v38, v38, s33, v28
	global_store_b32 v[36:37], v38, off offset:128
	global_load_b32 v32, v[32:33], off offset:192
	s_wait_loadcnt 0x0
	s_wait_xcnt 0x0
	v_mad_u32 v32, v32, s33, v27
	global_store_b32 v[36:37], v32, off offset:192
	s_cbranch_execnz .LBB473_2
	s_branch .LBB473_9
.LBB473_8:                              ;   in Loop: Header=BB473_3 Depth=1
.LBB473_9:                              ;   in Loop: Header=BB473_3 Depth=1
	s_wait_xcnt 0x0
	s_delay_alu instid0(VALU_DEP_1)
	v_add_nc_u64_e32 v[32:33], s[10:11], v[12:13]
	v_add_nc_u64_e32 v[12:13], v[12:13], v[6:7]
	s_clause 0x3
	global_store_b32 v[10:11], v24, off
	global_store_b32 v[10:11], v23, off offset:64
	global_store_b32 v[10:11], v34, off offset:128
	;; [unrolled: 1-line block ×3, first 2 shown]
	v_add_nc_u64_e32 v[36:37], s[10:11], v[32:33]
	v_add_nc_u64_e32 v[32:33], v[32:33], v[6:7]
	s_wait_xcnt 0x0
	s_delay_alu instid0(VALU_DEP_2)
	v_add_nc_u64_e32 v[10:11], v[36:37], v[6:7]
	s_clause 0xb
	global_store_b32 v[12:13], v20, off
	global_store_b32 v[12:13], v21, off offset:64
	global_store_b32 v[12:13], v22, off offset:128
	global_store_b32 v[12:13], v19, off offset:192
	global_store_b32 v[32:33], v18, off
	global_store_b32 v[32:33], v25, off offset:64
	global_store_b32 v[32:33], v26, off offset:128
	global_store_b32 v[32:33], v31, off offset:192
	global_store_b32 v[10:11], v30, off
	global_store_b32 v[10:11], v29, off offset:64
	global_store_b32 v[10:11], v28, off offset:128
	global_store_b32 v[10:11], v27, off offset:192
	s_branch .LBB473_2
.LBB473_10:
	s_endpgm
	.section	.rodata,"a",@progbits
	.p2align	6, 0x0
	.amdhsa_kernel _ZN12_GLOBAL__N_127rocblas_gemm_batched_kernelIiLi16ELi16ELi64ELi64ELi4ELi64ELi4ELi4ELi64ELc78ELc78EKaKiiEEvlllT_PT11_llS5_llS3_PT12_llPT13_lli
		.amdhsa_group_segment_fixed_size 2048
		.amdhsa_private_segment_fixed_size 0
		.amdhsa_kernarg_size 140
		.amdhsa_user_sgpr_count 2
		.amdhsa_user_sgpr_dispatch_ptr 0
		.amdhsa_user_sgpr_queue_ptr 0
		.amdhsa_user_sgpr_kernarg_segment_ptr 1
		.amdhsa_user_sgpr_dispatch_id 0
		.amdhsa_user_sgpr_kernarg_preload_length 0
		.amdhsa_user_sgpr_kernarg_preload_offset 0
		.amdhsa_user_sgpr_private_segment_size 0
		.amdhsa_wavefront_size32 1
		.amdhsa_uses_dynamic_stack 0
		.amdhsa_enable_private_segment 0
		.amdhsa_system_sgpr_workgroup_id_x 1
		.amdhsa_system_sgpr_workgroup_id_y 1
		.amdhsa_system_sgpr_workgroup_id_z 1
		.amdhsa_system_sgpr_workgroup_info 0
		.amdhsa_system_vgpr_workitem_id 1
		.amdhsa_next_free_vgpr 64
		.amdhsa_next_free_sgpr 36
		.amdhsa_named_barrier_count 0
		.amdhsa_reserve_vcc 1
		.amdhsa_float_round_mode_32 0
		.amdhsa_float_round_mode_16_64 0
		.amdhsa_float_denorm_mode_32 3
		.amdhsa_float_denorm_mode_16_64 3
		.amdhsa_fp16_overflow 0
		.amdhsa_memory_ordered 1
		.amdhsa_forward_progress 1
		.amdhsa_inst_pref_size 20
		.amdhsa_round_robin_scheduling 0
		.amdhsa_exception_fp_ieee_invalid_op 0
		.amdhsa_exception_fp_denorm_src 0
		.amdhsa_exception_fp_ieee_div_zero 0
		.amdhsa_exception_fp_ieee_overflow 0
		.amdhsa_exception_fp_ieee_underflow 0
		.amdhsa_exception_fp_ieee_inexact 0
		.amdhsa_exception_int_div_zero 0
	.end_amdhsa_kernel
	.section	.text._ZN12_GLOBAL__N_127rocblas_gemm_batched_kernelIiLi16ELi16ELi64ELi64ELi4ELi64ELi4ELi4ELi64ELc78ELc78EKaKiiEEvlllT_PT11_llS5_llS3_PT12_llPT13_lli,"axG",@progbits,_ZN12_GLOBAL__N_127rocblas_gemm_batched_kernelIiLi16ELi16ELi64ELi64ELi4ELi64ELi4ELi4ELi64ELc78ELc78EKaKiiEEvlllT_PT11_llS5_llS3_PT12_llPT13_lli,comdat
.Lfunc_end473:
	.size	_ZN12_GLOBAL__N_127rocblas_gemm_batched_kernelIiLi16ELi16ELi64ELi64ELi4ELi64ELi4ELi4ELi64ELc78ELc78EKaKiiEEvlllT_PT11_llS5_llS3_PT12_llPT13_lli, .Lfunc_end473-_ZN12_GLOBAL__N_127rocblas_gemm_batched_kernelIiLi16ELi16ELi64ELi64ELi4ELi64ELi4ELi4ELi64ELc78ELc78EKaKiiEEvlllT_PT11_llS5_llS3_PT12_llPT13_lli
                                        ; -- End function
	.set _ZN12_GLOBAL__N_127rocblas_gemm_batched_kernelIiLi16ELi16ELi64ELi64ELi4ELi64ELi4ELi4ELi64ELc78ELc78EKaKiiEEvlllT_PT11_llS5_llS3_PT12_llPT13_lli.num_vgpr, 64
	.set _ZN12_GLOBAL__N_127rocblas_gemm_batched_kernelIiLi16ELi16ELi64ELi64ELi4ELi64ELi4ELi4ELi64ELc78ELc78EKaKiiEEvlllT_PT11_llS5_llS3_PT12_llPT13_lli.num_agpr, 0
	.set _ZN12_GLOBAL__N_127rocblas_gemm_batched_kernelIiLi16ELi16ELi64ELi64ELi4ELi64ELi4ELi4ELi64ELc78ELc78EKaKiiEEvlllT_PT11_llS5_llS3_PT12_llPT13_lli.numbered_sgpr, 36
	.set _ZN12_GLOBAL__N_127rocblas_gemm_batched_kernelIiLi16ELi16ELi64ELi64ELi4ELi64ELi4ELi4ELi64ELc78ELc78EKaKiiEEvlllT_PT11_llS5_llS3_PT12_llPT13_lli.num_named_barrier, 0
	.set _ZN12_GLOBAL__N_127rocblas_gemm_batched_kernelIiLi16ELi16ELi64ELi64ELi4ELi64ELi4ELi4ELi64ELc78ELc78EKaKiiEEvlllT_PT11_llS5_llS3_PT12_llPT13_lli.private_seg_size, 0
	.set _ZN12_GLOBAL__N_127rocblas_gemm_batched_kernelIiLi16ELi16ELi64ELi64ELi4ELi64ELi4ELi4ELi64ELc78ELc78EKaKiiEEvlllT_PT11_llS5_llS3_PT12_llPT13_lli.uses_vcc, 1
	.set _ZN12_GLOBAL__N_127rocblas_gemm_batched_kernelIiLi16ELi16ELi64ELi64ELi4ELi64ELi4ELi4ELi64ELc78ELc78EKaKiiEEvlllT_PT11_llS5_llS3_PT12_llPT13_lli.uses_flat_scratch, 0
	.set _ZN12_GLOBAL__N_127rocblas_gemm_batched_kernelIiLi16ELi16ELi64ELi64ELi4ELi64ELi4ELi4ELi64ELc78ELc78EKaKiiEEvlllT_PT11_llS5_llS3_PT12_llPT13_lli.has_dyn_sized_stack, 0
	.set _ZN12_GLOBAL__N_127rocblas_gemm_batched_kernelIiLi16ELi16ELi64ELi64ELi4ELi64ELi4ELi4ELi64ELc78ELc78EKaKiiEEvlllT_PT11_llS5_llS3_PT12_llPT13_lli.has_recursion, 0
	.set _ZN12_GLOBAL__N_127rocblas_gemm_batched_kernelIiLi16ELi16ELi64ELi64ELi4ELi64ELi4ELi4ELi64ELc78ELc78EKaKiiEEvlllT_PT11_llS5_llS3_PT12_llPT13_lli.has_indirect_call, 0
	.section	.AMDGPU.csdata,"",@progbits
; Kernel info:
; codeLenInByte = 2524
; TotalNumSgprs: 38
; NumVgprs: 64
; ScratchSize: 0
; MemoryBound: 0
; FloatMode: 240
; IeeeMode: 1
; LDSByteSize: 2048 bytes/workgroup (compile time only)
; SGPRBlocks: 0
; VGPRBlocks: 3
; NumSGPRsForWavesPerEU: 38
; NumVGPRsForWavesPerEU: 64
; NamedBarCnt: 0
; Occupancy: 16
; WaveLimiterHint : 0
; COMPUTE_PGM_RSRC2:SCRATCH_EN: 0
; COMPUTE_PGM_RSRC2:USER_SGPR: 2
; COMPUTE_PGM_RSRC2:TRAP_HANDLER: 0
; COMPUTE_PGM_RSRC2:TGID_X_EN: 1
; COMPUTE_PGM_RSRC2:TGID_Y_EN: 1
; COMPUTE_PGM_RSRC2:TGID_Z_EN: 1
; COMPUTE_PGM_RSRC2:TIDIG_COMP_CNT: 1
	.section	.text._ZN12_GLOBAL__N_127rocblas_gemm_batched_kernelIiLi16ELi16ELi64ELi64ELi4ELi64ELi4ELi4ELi64ELc84ELc78EKaKiiEEvlllT_PT11_llS5_llS3_PT12_llPT13_lli,"axG",@progbits,_ZN12_GLOBAL__N_127rocblas_gemm_batched_kernelIiLi16ELi16ELi64ELi64ELi4ELi64ELi4ELi4ELi64ELc84ELc78EKaKiiEEvlllT_PT11_llS5_llS3_PT12_llPT13_lli,comdat
	.globl	_ZN12_GLOBAL__N_127rocblas_gemm_batched_kernelIiLi16ELi16ELi64ELi64ELi4ELi64ELi4ELi4ELi64ELc84ELc78EKaKiiEEvlllT_PT11_llS5_llS3_PT12_llPT13_lli ; -- Begin function _ZN12_GLOBAL__N_127rocblas_gemm_batched_kernelIiLi16ELi16ELi64ELi64ELi4ELi64ELi4ELi4ELi64ELc84ELc78EKaKiiEEvlllT_PT11_llS5_llS3_PT12_llPT13_lli
	.p2align	8
	.type	_ZN12_GLOBAL__N_127rocblas_gemm_batched_kernelIiLi16ELi16ELi64ELi64ELi4ELi64ELi4ELi4ELi64ELc84ELc78EKaKiiEEvlllT_PT11_llS5_llS3_PT12_llPT13_lli,@function
_ZN12_GLOBAL__N_127rocblas_gemm_batched_kernelIiLi16ELi16ELi64ELi64ELi4ELi64ELi4ELi4ELi64ELc84ELc78EKaKiiEEvlllT_PT11_llS5_llS3_PT12_llPT13_lli: ; @_ZN12_GLOBAL__N_127rocblas_gemm_batched_kernelIiLi16ELi16ELi64ELi64ELi4ELi64ELi4ELi4ELi64ELc84ELc78EKaKiiEEvlllT_PT11_llS5_llS3_PT12_llPT13_lli
; %bb.0:
	s_load_b32 s31, s[0:1], 0x88
	s_bfe_u32 s2, ttmp6, 0x40014
	s_lshr_b32 s3, ttmp7, 16
	s_add_co_i32 s2, s2, 1
	s_bfe_u32 s4, ttmp6, 0x40008
	s_mul_i32 s2, s3, s2
	s_getreg_b32 s28, hwreg(HW_REG_IB_STS2, 6, 4)
	s_add_co_i32 s4, s4, s2
	s_cmp_eq_u32 s28, 0
	s_cselect_b32 s2, s3, s4
	s_mov_b32 s3, 0
	s_wait_kmcnt 0x0
	s_cmp_ge_i32 s2, s31
	s_cbranch_scc1 .LBB474_10
; %bb.1:
	v_bfe_u32 v2, v0, 10, 10
	v_and_b32_e32 v4, 0x3ff, v0
	s_load_b256 s[4:11], s[0:1], 0x20
	s_bfe_u32 s30, ttmp6, 0x4000c
	s_bfe_u32 s33, ttmp6, 0x40010
	v_dual_lshlrev_b32 v17, 4, v2 :: v_dual_mov_b32 v3, 0
	s_clause 0x2
	s_load_b128 s[20:23], s[0:1], 0x40
	s_load_b128 s[24:27], s[0:1], 0x78
	s_load_b256 s[12:19], s[0:1], 0x58
	s_add_co_i32 s30, s30, 1
	s_and_b32 s34, ttmp7, 0xffff
	s_add_co_i32 s33, s33, 1
	v_dual_add_nc_u32 v1, v17, v4 :: v_dual_mov_b32 v9, v3
	s_and_b32 s29, ttmp6, 15
	s_mul_i32 s30, ttmp9, s30
	s_mul_i32 s33, s34, s33
	s_bfe_u32 s35, ttmp6, 0x40004
	s_add_co_i32 s29, s29, s30
	s_add_co_i32 s35, s35, s33
	s_cmp_eq_u32 s28, 0
	v_dual_lshrrev_b32 v10, 2, v1 :: v_dual_bitop2_b32 v5, 63, v1 bitop3:0x40
	v_dual_mov_b32 v11, v3 :: v_dual_mov_b32 v7, v3
	s_cselect_b32 s30, s34, s35
	s_cselect_b32 s28, ttmp9, s29
	s_lshl_b32 s34, s30, 6
	s_mov_b32 s35, s3
	s_ashr_i32 s29, s28, 31
	v_add_nc_u64_e32 v[12:13], s[34:35], v[10:11]
	s_lshl_b64 s[36:37], s[28:29], 6
	v_dual_lshrrev_b32 v8, 6, v1 :: v_dual_bitop2_b32 v6, 3, v0 bitop3:0x40
	v_or_b32_e32 v11, s36, v5
	v_add_nc_u64_e32 v[0:1], s[34:35], v[2:3]
	s_load_b96 s[28:30], s[0:1], 0x10
	s_wait_kmcnt 0x0
	v_mad_nc_u64_u32 v[18:19], s20, v12, v[6:7]
	v_lshlrev_b32_e32 v6, 2, v6
	v_mad_nc_u64_u32 v[20:21], s6, v11, v[8:9]
	s_load_b32 s33, s[0:1], 0x50
	v_dual_lshlrev_b32 v9, 2, v5 :: v_dual_mov_b32 v5, v3
	v_mul_u64_e32 v[22:23], s[14:15], v[0:1]
	v_mul_u64_e32 v[0:1], s[24:25], v[0:1]
	v_lshl_or_b32 v6, v10, 4, v6
	v_lshlrev_b32_e32 v16, 2, v4
	v_lshl_or_b32 v14, v8, 8, v9
	v_mad_u32 v2, s21, v12, v19
	v_add_nc_u32_e32 v17, 0x400, v17
	v_mad_u32 v7, s7, v11, v21
	v_add_nc_u32_e32 v15, 0x400, v6
	s_wait_xcnt 0x0
	v_cmp_gt_i64_e64 s0, s[28:29], 0
	v_mad_u32 v19, s20, v13, v2
	s_wait_kmcnt 0x0
	s_cmp_lg_u32 s33, 0
	v_mad_u32 v21, s6, s37, v7
	v_add_nc_u64_e32 v[6:7], s[36:37], v[4:5]
	v_cndmask_b32_e64 v10, 0, 1, s0
	s_cselect_b32 s1, -1, 0
	s_lshl_b64 s[6:7], s[14:15], 4
	s_delay_alu instid0(VALU_DEP_1) | instskip(NEXT) | instid1(VALU_DEP_3)
	v_cmp_ne_u32_e64 s0, 1, v10
	v_lshlrev_b64_e32 v[6:7], 2, v[6:7]
	v_add_nc_u64_e32 v[2:3], s[10:11], v[18:19]
	s_lshl_b64 s[10:11], s[24:25], 4
	v_add_nc_u64_e32 v[4:5], s[4:5], v[20:21]
	s_lshl_b64 s[4:5], s[6:7], 2
	s_lshl_b64 s[6:7], s[10:11], 2
	v_lshl_add_u64 v[8:9], v[22:23], 2, s[12:13]
	s_branch .LBB474_3
.LBB474_2:                              ;   in Loop: Header=BB474_3 Depth=1
	s_add_co_i32 s2, s2, 0x10000
	s_delay_alu instid0(SALU_CYCLE_1)
	s_cmp_lt_i32 s2, s31
	s_cbranch_scc0 .LBB474_10
.LBB474_3:                              ; =>This Loop Header: Depth=1
                                        ;     Child Loop BB474_5 Depth 2
	s_wait_xcnt 0xa
	v_dual_mov_b32 v21, 0 :: v_dual_mov_b32 v20, 0
	s_wait_xcnt 0x7
	v_dual_mov_b32 v19, 0 :: v_dual_mov_b32 v18, 0
	;; [unrolled: 2-line block ×3, first 2 shown]
	v_dual_mov_b32 v24, 0 :: v_dual_mov_b32 v23, 0
	v_dual_mov_b32 v22, 0 :: v_dual_mov_b32 v26, 0
	s_wait_xcnt 0x0
	v_dual_mov_b32 v25, 0 :: v_dual_mov_b32 v32, 0
	v_dual_mov_b32 v31, 0 :: v_dual_mov_b32 v29, 0
	;; [unrolled: 1-line block ×3, first 2 shown]
	s_and_b32 vcc_lo, exec_lo, s0
	s_cbranch_vccnz .LBB474_6
; %bb.4:                                ;   in Loop: Header=BB474_3 Depth=1
	v_mad_nc_u64_u32 v[10:11], s22, s2, v[2:3]
	v_mad_nc_u64_u32 v[12:13], s8, s2, v[4:5]
	v_dual_mov_b32 v27, 0 :: v_dual_mov_b32 v28, 0
	v_dual_mov_b32 v29, 0 :: v_dual_mov_b32 v31, 0
	;; [unrolled: 1-line block ×5, first 2 shown]
	v_mad_u32 v11, s23, s2, v11
	v_mad_u32 v13, s9, s2, v13
	v_dual_mov_b32 v30, 0 :: v_dual_mov_b32 v33, 0
	v_dual_mov_b32 v18, 0 :: v_dual_mov_b32 v19, 0
	;; [unrolled: 1-line block ×3, first 2 shown]
	s_mov_b64 s[10:11], 0
.LBB474_5:                              ;   Parent Loop BB474_3 Depth=1
                                        ; =>  This Inner Loop Header: Depth=2
	s_delay_alu instid0(VALU_DEP_4) | instid1(SALU_CYCLE_1)
	v_add_nc_u64_e32 v[34:35], s[10:11], v[12:13]
	global_load_i8 v34, v[34:35], off
	s_wait_loadcnt 0x0
	ds_store_b32 v14, v34
	s_wait_xcnt 0x0
	v_add_nc_u64_e32 v[34:35], s[10:11], v[10:11]
	s_add_nc_u64 s[10:11], s[10:11], 4
	s_delay_alu instid0(SALU_CYCLE_1)
	v_cmp_lt_i64_e64 s12, s[10:11], s[28:29]
	global_load_i8 v34, v[34:35], off
	s_and_b32 vcc_lo, exec_lo, s12
	s_wait_loadcnt 0x0
	ds_store_b32 v15, v34
	s_wait_dscnt 0x0
	s_barrier_signal -1
	s_barrier_wait -1
	ds_load_2addr_b32 v[46:47], v16 offset1:16
	ds_load_2addr_b32 v[48:49], v16 offset0:32 offset1:48
	ds_load_2addr_b32 v[50:51], v16 offset0:64 offset1:80
	ds_load_2addr_b32 v[52:53], v16 offset0:96 offset1:112
	ds_load_2addr_b32 v[54:55], v16 offset0:128 offset1:144
	ds_load_2addr_b32 v[56:57], v16 offset0:160 offset1:176
	ds_load_2addr_b32 v[58:59], v16 offset0:192 offset1:208
	ds_load_2addr_b32 v[60:61], v16 offset0:224 offset1:240
	s_wait_xcnt 0x0
	ds_load_b128 v[34:37], v17 offset:512
	ds_load_b128 v[38:41], v17 offset:768
	ds_load_b128 v[42:45], v17
	s_wait_dscnt 0x2
	v_mad_u32 v31, v34, v48, v31
	s_wait_dscnt 0x1
	v_mad_u32 v30, v38, v46, v30
	v_mad_u32 v29, v38, v47, v29
	;; [unrolled: 1-line block ×7, first 2 shown]
	s_wait_dscnt 0x0
	v_mad_u32 v24, v42, v46, v24
	v_mad_u32 v23, v42, v47, v23
	v_mad_u32 v22, v42, v48, v22
	v_mad_u32 v31, v35, v52, v31
	v_mad_u32 v30, v39, v50, v30
	v_mad_u32 v29, v39, v51, v29
	v_mad_u32 v28, v39, v52, v28
	v_mad_u32 v27, v39, v53, v27
	v_mad_u32 v21, v42, v49, v21
	v_mad_u32 v32, v35, v51, v32
	v_mad_u32 v33, v35, v53, v33
	v_mad_u32 v18, v35, v50, v18
	v_mad_u32 v24, v43, v50, v24
	v_mad_u32 v23, v43, v51, v23
	v_mad_u32 v38, v36, v56, v31
	v_mad_u32 v39, v40, v54, v30
	v_mad_u32 v62, v40, v55, v29
	v_mad_u32 v63, v40, v56, v28
	ds_load_b128 v[28:31], v17 offset:256
	v_mad_u32 v22, v43, v52, v22
	v_mad_u32 v21, v43, v53, v21
	;; [unrolled: 1-line block ×6, first 2 shown]
	s_wait_dscnt 0x0
	s_barrier_signal -1
	s_barrier_wait -1
	v_mad_u32 v24, v44, v54, v24
	v_mad_u32 v23, v44, v55, v23
	;; [unrolled: 1-line block ×32, first 2 shown]
	s_cbranch_vccnz .LBB474_5
.LBB474_6:                              ;   in Loop: Header=BB474_3 Depth=1
	s_mul_u64 s[10:11], s[26:27], s[2:3]
	v_mul_lo_u32 v24, v24, s30
	s_lshl_b64 s[10:11], s[10:11], 2
	v_mul_lo_u32 v23, v23, s30
	s_add_nc_u64 s[10:11], s[18:19], s[10:11]
	v_mul_lo_u32 v34, v22, s30
	v_lshl_add_u64 v[12:13], v[0:1], 2, s[10:11]
	v_mul_lo_u32 v35, v21, s30
	v_mul_lo_u32 v20, v20, s30
	;; [unrolled: 1-line block ×13, first 2 shown]
	v_add_nc_u64_e32 v[10:11], v[12:13], v[6:7]
	v_add_nc_u64_e32 v[12:13], s[6:7], v[12:13]
	s_and_not1_b32 vcc_lo, exec_lo, s1
	s_cbranch_vccnz .LBB474_8
; %bb.7:                                ;   in Loop: Header=BB474_3 Depth=1
	s_mul_u64 s[10:11], s[16:17], s[2:3]
	s_delay_alu instid0(SALU_CYCLE_1) | instskip(NEXT) | instid1(VALU_DEP_1)
	v_lshl_add_u64 v[32:33], s[10:11], 2, v[8:9]
	v_add_nc_u64_e32 v[36:37], v[32:33], v[6:7]
	v_add_nc_u64_e32 v[32:33], s[4:5], v[32:33]
	global_load_b32 v38, v[36:37], off
	s_wait_loadcnt 0x0
	v_mad_u32 v38, v38, s33, v24
	global_store_b32 v[10:11], v38, off
	global_load_b32 v38, v[36:37], off offset:64
	s_wait_loadcnt 0x0
	v_mad_u32 v38, v38, s33, v23
	global_store_b32 v[10:11], v38, off offset:64
	global_load_b32 v38, v[36:37], off offset:128
	s_wait_loadcnt 0x0
	v_mad_u32 v38, v38, s33, v34
	global_store_b32 v[10:11], v38, off offset:128
	global_load_b32 v36, v[36:37], off offset:192
	s_wait_loadcnt 0x0
	s_wait_xcnt 0x1
	v_mad_u32 v38, v36, s33, v35
	s_wait_xcnt 0x0
	v_add_nc_u64_e32 v[36:37], v[32:33], v[6:7]
	v_add_nc_u64_e32 v[32:33], s[4:5], v[32:33]
	global_store_b32 v[10:11], v38, off offset:192
	global_load_b32 v38, v[36:37], off
	s_wait_loadcnt 0x0
	v_mad_u32 v40, v38, s33, v20
	v_add_nc_u64_e32 v[38:39], v[12:13], v[6:7]
	global_store_b32 v[38:39], v40, off
	global_load_b32 v40, v[36:37], off offset:64
	s_wait_loadcnt 0x0
	v_mad_u32 v40, v40, s33, v21
	global_store_b32 v[38:39], v40, off offset:64
	global_load_b32 v40, v[36:37], off offset:128
	s_wait_loadcnt 0x0
	v_mad_u32 v40, v40, s33, v22
	global_store_b32 v[38:39], v40, off offset:128
	global_load_b32 v36, v[36:37], off offset:192
	s_wait_loadcnt 0x0
	s_wait_xcnt 0x1
	v_mad_u32 v40, v36, s33, v19
	s_wait_xcnt 0x0
	v_add_nc_u64_e32 v[36:37], v[32:33], v[6:7]
	v_add_nc_u64_e32 v[32:33], s[4:5], v[32:33]
	s_delay_alu instid0(VALU_DEP_1)
	v_add_nc_u64_e32 v[32:33], v[32:33], v[6:7]
	global_store_b32 v[38:39], v40, off offset:192
	global_load_b32 v40, v[36:37], off
	v_add_nc_u64_e32 v[38:39], s[6:7], v[12:13]
	s_wait_loadcnt 0x0
	v_mad_u32 v42, v40, s33, v18
	s_delay_alu instid0(VALU_DEP_2)
	v_add_nc_u64_e32 v[40:41], v[38:39], v[6:7]
	global_store_b32 v[40:41], v42, off
	global_load_b32 v42, v[36:37], off offset:64
	s_wait_loadcnt 0x0
	v_mad_u32 v42, v42, s33, v25
	global_store_b32 v[40:41], v42, off offset:64
	global_load_b32 v42, v[36:37], off offset:128
	s_wait_loadcnt 0x0
	v_mad_u32 v42, v42, s33, v26
	global_store_b32 v[40:41], v42, off offset:128
	global_load_b32 v36, v[36:37], off offset:192
	s_wait_loadcnt 0x0
	s_wait_xcnt 0x0
	v_mad_u32 v36, v36, s33, v31
	global_store_b32 v[40:41], v36, off offset:192
	global_load_b32 v40, v[32:33], off
	v_add_nc_u64_e32 v[36:37], s[6:7], v[38:39]
	s_delay_alu instid0(VALU_DEP_1)
	v_add_nc_u64_e32 v[36:37], v[36:37], v[6:7]
	s_wait_loadcnt 0x0
	v_mad_u32 v38, v40, s33, v30
	global_store_b32 v[36:37], v38, off
	global_load_b32 v38, v[32:33], off offset:64
	s_wait_loadcnt 0x0
	v_mad_u32 v38, v38, s33, v29
	global_store_b32 v[36:37], v38, off offset:64
	global_load_b32 v38, v[32:33], off offset:128
	s_wait_loadcnt 0x0
	v_mad_u32 v38, v38, s33, v28
	global_store_b32 v[36:37], v38, off offset:128
	global_load_b32 v32, v[32:33], off offset:192
	s_wait_loadcnt 0x0
	s_wait_xcnt 0x0
	v_mad_u32 v32, v32, s33, v27
	global_store_b32 v[36:37], v32, off offset:192
	s_cbranch_execnz .LBB474_2
	s_branch .LBB474_9
.LBB474_8:                              ;   in Loop: Header=BB474_3 Depth=1
.LBB474_9:                              ;   in Loop: Header=BB474_3 Depth=1
	s_wait_xcnt 0x0
	s_delay_alu instid0(VALU_DEP_1)
	v_add_nc_u64_e32 v[32:33], s[6:7], v[12:13]
	v_add_nc_u64_e32 v[12:13], v[12:13], v[6:7]
	s_clause 0x3
	global_store_b32 v[10:11], v24, off
	global_store_b32 v[10:11], v23, off offset:64
	global_store_b32 v[10:11], v34, off offset:128
	;; [unrolled: 1-line block ×3, first 2 shown]
	v_add_nc_u64_e32 v[36:37], s[6:7], v[32:33]
	v_add_nc_u64_e32 v[32:33], v[32:33], v[6:7]
	s_wait_xcnt 0x0
	s_delay_alu instid0(VALU_DEP_2)
	v_add_nc_u64_e32 v[10:11], v[36:37], v[6:7]
	s_clause 0xb
	global_store_b32 v[12:13], v20, off
	global_store_b32 v[12:13], v21, off offset:64
	global_store_b32 v[12:13], v22, off offset:128
	global_store_b32 v[12:13], v19, off offset:192
	global_store_b32 v[32:33], v18, off
	global_store_b32 v[32:33], v25, off offset:64
	global_store_b32 v[32:33], v26, off offset:128
	global_store_b32 v[32:33], v31, off offset:192
	;; [unrolled: 4-line block ×3, first 2 shown]
	s_branch .LBB474_2
.LBB474_10:
	s_endpgm
	.section	.rodata,"a",@progbits
	.p2align	6, 0x0
	.amdhsa_kernel _ZN12_GLOBAL__N_127rocblas_gemm_batched_kernelIiLi16ELi16ELi64ELi64ELi4ELi64ELi4ELi4ELi64ELc84ELc78EKaKiiEEvlllT_PT11_llS5_llS3_PT12_llPT13_lli
		.amdhsa_group_segment_fixed_size 2048
		.amdhsa_private_segment_fixed_size 0
		.amdhsa_kernarg_size 140
		.amdhsa_user_sgpr_count 2
		.amdhsa_user_sgpr_dispatch_ptr 0
		.amdhsa_user_sgpr_queue_ptr 0
		.amdhsa_user_sgpr_kernarg_segment_ptr 1
		.amdhsa_user_sgpr_dispatch_id 0
		.amdhsa_user_sgpr_kernarg_preload_length 0
		.amdhsa_user_sgpr_kernarg_preload_offset 0
		.amdhsa_user_sgpr_private_segment_size 0
		.amdhsa_wavefront_size32 1
		.amdhsa_uses_dynamic_stack 0
		.amdhsa_enable_private_segment 0
		.amdhsa_system_sgpr_workgroup_id_x 1
		.amdhsa_system_sgpr_workgroup_id_y 1
		.amdhsa_system_sgpr_workgroup_id_z 1
		.amdhsa_system_sgpr_workgroup_info 0
		.amdhsa_system_vgpr_workitem_id 1
		.amdhsa_next_free_vgpr 64
		.amdhsa_next_free_sgpr 38
		.amdhsa_named_barrier_count 0
		.amdhsa_reserve_vcc 1
		.amdhsa_float_round_mode_32 0
		.amdhsa_float_round_mode_16_64 0
		.amdhsa_float_denorm_mode_32 3
		.amdhsa_float_denorm_mode_16_64 3
		.amdhsa_fp16_overflow 0
		.amdhsa_memory_ordered 1
		.amdhsa_forward_progress 1
		.amdhsa_inst_pref_size 20
		.amdhsa_round_robin_scheduling 0
		.amdhsa_exception_fp_ieee_invalid_op 0
		.amdhsa_exception_fp_denorm_src 0
		.amdhsa_exception_fp_ieee_div_zero 0
		.amdhsa_exception_fp_ieee_overflow 0
		.amdhsa_exception_fp_ieee_underflow 0
		.amdhsa_exception_fp_ieee_inexact 0
		.amdhsa_exception_int_div_zero 0
	.end_amdhsa_kernel
	.section	.text._ZN12_GLOBAL__N_127rocblas_gemm_batched_kernelIiLi16ELi16ELi64ELi64ELi4ELi64ELi4ELi4ELi64ELc84ELc78EKaKiiEEvlllT_PT11_llS5_llS3_PT12_llPT13_lli,"axG",@progbits,_ZN12_GLOBAL__N_127rocblas_gemm_batched_kernelIiLi16ELi16ELi64ELi64ELi4ELi64ELi4ELi4ELi64ELc84ELc78EKaKiiEEvlllT_PT11_llS5_llS3_PT12_llPT13_lli,comdat
.Lfunc_end474:
	.size	_ZN12_GLOBAL__N_127rocblas_gemm_batched_kernelIiLi16ELi16ELi64ELi64ELi4ELi64ELi4ELi4ELi64ELc84ELc78EKaKiiEEvlllT_PT11_llS5_llS3_PT12_llPT13_lli, .Lfunc_end474-_ZN12_GLOBAL__N_127rocblas_gemm_batched_kernelIiLi16ELi16ELi64ELi64ELi4ELi64ELi4ELi4ELi64ELc84ELc78EKaKiiEEvlllT_PT11_llS5_llS3_PT12_llPT13_lli
                                        ; -- End function
	.set _ZN12_GLOBAL__N_127rocblas_gemm_batched_kernelIiLi16ELi16ELi64ELi64ELi4ELi64ELi4ELi4ELi64ELc84ELc78EKaKiiEEvlllT_PT11_llS5_llS3_PT12_llPT13_lli.num_vgpr, 64
	.set _ZN12_GLOBAL__N_127rocblas_gemm_batched_kernelIiLi16ELi16ELi64ELi64ELi4ELi64ELi4ELi4ELi64ELc84ELc78EKaKiiEEvlllT_PT11_llS5_llS3_PT12_llPT13_lli.num_agpr, 0
	.set _ZN12_GLOBAL__N_127rocblas_gemm_batched_kernelIiLi16ELi16ELi64ELi64ELi4ELi64ELi4ELi4ELi64ELc84ELc78EKaKiiEEvlllT_PT11_llS5_llS3_PT12_llPT13_lli.numbered_sgpr, 38
	.set _ZN12_GLOBAL__N_127rocblas_gemm_batched_kernelIiLi16ELi16ELi64ELi64ELi4ELi64ELi4ELi4ELi64ELc84ELc78EKaKiiEEvlllT_PT11_llS5_llS3_PT12_llPT13_lli.num_named_barrier, 0
	.set _ZN12_GLOBAL__N_127rocblas_gemm_batched_kernelIiLi16ELi16ELi64ELi64ELi4ELi64ELi4ELi4ELi64ELc84ELc78EKaKiiEEvlllT_PT11_llS5_llS3_PT12_llPT13_lli.private_seg_size, 0
	.set _ZN12_GLOBAL__N_127rocblas_gemm_batched_kernelIiLi16ELi16ELi64ELi64ELi4ELi64ELi4ELi4ELi64ELc84ELc78EKaKiiEEvlllT_PT11_llS5_llS3_PT12_llPT13_lli.uses_vcc, 1
	.set _ZN12_GLOBAL__N_127rocblas_gemm_batched_kernelIiLi16ELi16ELi64ELi64ELi4ELi64ELi4ELi4ELi64ELc84ELc78EKaKiiEEvlllT_PT11_llS5_llS3_PT12_llPT13_lli.uses_flat_scratch, 0
	.set _ZN12_GLOBAL__N_127rocblas_gemm_batched_kernelIiLi16ELi16ELi64ELi64ELi4ELi64ELi4ELi4ELi64ELc84ELc78EKaKiiEEvlllT_PT11_llS5_llS3_PT12_llPT13_lli.has_dyn_sized_stack, 0
	.set _ZN12_GLOBAL__N_127rocblas_gemm_batched_kernelIiLi16ELi16ELi64ELi64ELi4ELi64ELi4ELi4ELi64ELc84ELc78EKaKiiEEvlllT_PT11_llS5_llS3_PT12_llPT13_lli.has_recursion, 0
	.set _ZN12_GLOBAL__N_127rocblas_gemm_batched_kernelIiLi16ELi16ELi64ELi64ELi4ELi64ELi4ELi4ELi64ELc84ELc78EKaKiiEEvlllT_PT11_llS5_llS3_PT12_llPT13_lli.has_indirect_call, 0
	.section	.AMDGPU.csdata,"",@progbits
; Kernel info:
; codeLenInByte = 2548
; TotalNumSgprs: 40
; NumVgprs: 64
; ScratchSize: 0
; MemoryBound: 0
; FloatMode: 240
; IeeeMode: 1
; LDSByteSize: 2048 bytes/workgroup (compile time only)
; SGPRBlocks: 0
; VGPRBlocks: 3
; NumSGPRsForWavesPerEU: 40
; NumVGPRsForWavesPerEU: 64
; NamedBarCnt: 0
; Occupancy: 16
; WaveLimiterHint : 0
; COMPUTE_PGM_RSRC2:SCRATCH_EN: 0
; COMPUTE_PGM_RSRC2:USER_SGPR: 2
; COMPUTE_PGM_RSRC2:TRAP_HANDLER: 0
; COMPUTE_PGM_RSRC2:TGID_X_EN: 1
; COMPUTE_PGM_RSRC2:TGID_Y_EN: 1
; COMPUTE_PGM_RSRC2:TGID_Z_EN: 1
; COMPUTE_PGM_RSRC2:TIDIG_COMP_CNT: 1
	.section	.text._ZN12_GLOBAL__N_127rocblas_gemm_batched_kernelIiLi16ELi16ELi64ELi64ELi4ELi64ELi4ELi4ELi64ELc78ELc84EKaKiiEEvlllT_PT11_llS5_llS3_PT12_llPT13_lli,"axG",@progbits,_ZN12_GLOBAL__N_127rocblas_gemm_batched_kernelIiLi16ELi16ELi64ELi64ELi4ELi64ELi4ELi4ELi64ELc78ELc84EKaKiiEEvlllT_PT11_llS5_llS3_PT12_llPT13_lli,comdat
	.globl	_ZN12_GLOBAL__N_127rocblas_gemm_batched_kernelIiLi16ELi16ELi64ELi64ELi4ELi64ELi4ELi4ELi64ELc78ELc84EKaKiiEEvlllT_PT11_llS5_llS3_PT12_llPT13_lli ; -- Begin function _ZN12_GLOBAL__N_127rocblas_gemm_batched_kernelIiLi16ELi16ELi64ELi64ELi4ELi64ELi4ELi4ELi64ELc78ELc84EKaKiiEEvlllT_PT11_llS5_llS3_PT12_llPT13_lli
	.p2align	8
	.type	_ZN12_GLOBAL__N_127rocblas_gemm_batched_kernelIiLi16ELi16ELi64ELi64ELi4ELi64ELi4ELi4ELi64ELc78ELc84EKaKiiEEvlllT_PT11_llS5_llS3_PT12_llPT13_lli,@function
_ZN12_GLOBAL__N_127rocblas_gemm_batched_kernelIiLi16ELi16ELi64ELi64ELi4ELi64ELi4ELi4ELi64ELc78ELc84EKaKiiEEvlllT_PT11_llS5_llS3_PT12_llPT13_lli: ; @_ZN12_GLOBAL__N_127rocblas_gemm_batched_kernelIiLi16ELi16ELi64ELi64ELi4ELi64ELi4ELi4ELi64ELc78ELc84EKaKiiEEvlllT_PT11_llS5_llS3_PT12_llPT13_lli
; %bb.0:
	s_load_b32 s31, s[0:1], 0x88
	s_bfe_u32 s2, ttmp6, 0x40014
	s_lshr_b32 s3, ttmp7, 16
	s_add_co_i32 s2, s2, 1
	s_bfe_u32 s4, ttmp6, 0x40008
	s_mul_i32 s2, s3, s2
	s_getreg_b32 s28, hwreg(HW_REG_IB_STS2, 6, 4)
	s_add_co_i32 s4, s4, s2
	s_cmp_eq_u32 s28, 0
	s_cselect_b32 s2, s3, s4
	s_mov_b32 s3, 0
	s_wait_kmcnt 0x0
	s_cmp_ge_i32 s2, s31
	s_cbranch_scc1 .LBB475_10
; %bb.1:
	s_clause 0x3
	s_load_b256 s[4:11], s[0:1], 0x20
	s_load_b128 s[20:23], s[0:1], 0x40
	s_load_b128 s[24:27], s[0:1], 0x78
	s_load_b256 s[12:19], s[0:1], 0x58
	s_bfe_u32 s29, ttmp6, 0x4000c
	s_bfe_u32 s33, ttmp6, 0x40010
	v_bfe_u32 v2, v0, 10, 10
	s_add_co_i32 s29, s29, 1
	s_and_b32 s34, ttmp7, 0xffff
	s_add_co_i32 s33, s33, 1
	s_and_b32 s30, ttmp6, 15
	s_mul_i32 s29, ttmp9, s29
	s_mul_i32 s33, s34, s33
	s_bfe_u32 s35, ttmp6, 0x40004
	v_dual_mov_b32 v3, 0 :: v_dual_lshlrev_b32 v17, 4, v2
	v_and_b32_e32 v4, 0x3ff, v0
	s_add_co_i32 s30, s30, s29
	s_add_co_i32 s35, s35, s33
	s_cmp_eq_u32 s28, 0
	s_delay_alu instid0(VALU_DEP_1)
	v_dual_mov_b32 v9, v3 :: v_dual_add_nc_u32 v1, v17, v4
	s_cselect_b32 s29, s34, s35
	s_cselect_b32 s28, ttmp9, s30
	s_lshl_b32 s34, s29, 6
	s_mov_b32 s35, s3
	v_dual_lshrrev_b32 v14, 6, v1 :: v_dual_bitop2_b32 v18, 3, v0 bitop3:0x40
	v_add_nc_u64_e32 v[6:7], s[34:35], v[2:3]
	s_ashr_i32 s29, s28, 31
	s_load_b32 s33, s[0:1], 0x50
	s_lshl_b64 s[36:37], s[28:29], 6
	s_load_b96 s[28:30], s[0:1], 0x10
	s_wait_kmcnt 0x0
	v_mad_nc_u64_u32 v[12:13], s6, v14, s[36:37]
	v_dual_lshrrev_b32 v8, 2, v1 :: v_dual_bitop2_b32 v2, 63, v1 bitop3:0x40
	v_mul_u64_e32 v[10:11], s[14:15], v[6:7]
	v_mul_u64_e32 v[0:1], s[24:25], v[6:7]
	v_dual_lshlrev_b32 v5, 2, v18 :: v_dual_lshlrev_b32 v16, 2, v4
	s_delay_alu instid0(VALU_DEP_4) | instskip(SKIP_2) | instid1(VALU_DEP_3)
	v_mad_nc_u64_u32 v[6:7], s20, v18, v[8:9]
	v_lshlrev_b32_e32 v9, 2, v2
	s_add_nc_u64 s[10:11], s[10:11], s[34:35]
	v_lshl_or_b32 v8, v8, 4, v5
	v_mad_u32 v13, s7, v14, v13
	v_mov_b32_e32 v5, v3
	v_lshl_or_b32 v14, v14, 8, v9
	s_lshl_b64 s[6:7], s[6:7], 2
	v_add_nc_u32_e32 v15, 0x400, v8
	v_add_nc_u32_e32 v17, 0x400, v17
	v_mad_u32 v7, s21, v18, v7
	v_cmp_gt_i64_e64 s0, s[28:29], 0
	s_lshl_b64 s[20:21], s[20:21], 2
	s_cmp_lg_u32 s33, 0
	v_add_nc_u64_e32 v[8:9], v[12:13], v[2:3]
	v_add_nc_u64_e32 v[12:13], s[36:37], v[4:5]
	s_cselect_b32 s1, -1, 0
	s_lshl_b64 s[14:15], s[14:15], 4
	v_cndmask_b32_e64 v18, 0, 1, s0
	v_add_nc_u64_e32 v[2:3], s[10:11], v[6:7]
	s_delay_alu instid0(VALU_DEP_4) | instskip(NEXT) | instid1(VALU_DEP_4)
	v_add_nc_u64_e32 v[4:5], s[4:5], v[8:9]
	v_lshlrev_b64_e32 v[6:7], 2, v[12:13]
	s_delay_alu instid0(VALU_DEP_4)
	v_cmp_ne_u32_e64 s0, 1, v18
	s_lshl_b64 s[10:11], s[24:25], 4
	s_lshl_b64 s[4:5], s[14:15], 2
	v_lshl_add_u64 v[8:9], v[10:11], 2, s[12:13]
	s_lshl_b64 s[10:11], s[10:11], 2
	s_branch .LBB475_3
.LBB475_2:                              ;   in Loop: Header=BB475_3 Depth=1
	s_add_co_i32 s2, s2, 0x10000
	s_delay_alu instid0(SALU_CYCLE_1)
	s_cmp_lt_i32 s2, s31
	s_cbranch_scc0 .LBB475_10
.LBB475_3:                              ; =>This Loop Header: Depth=1
                                        ;     Child Loop BB475_5 Depth 2
	s_wait_xcnt 0xa
	v_dual_mov_b32 v21, 0 :: v_dual_mov_b32 v20, 0
	s_wait_xcnt 0x7
	v_dual_mov_b32 v19, 0 :: v_dual_mov_b32 v18, 0
	;; [unrolled: 2-line block ×3, first 2 shown]
	v_dual_mov_b32 v24, 0 :: v_dual_mov_b32 v23, 0
	v_dual_mov_b32 v22, 0 :: v_dual_mov_b32 v26, 0
	s_wait_xcnt 0x0
	v_dual_mov_b32 v25, 0 :: v_dual_mov_b32 v32, 0
	v_dual_mov_b32 v31, 0 :: v_dual_mov_b32 v29, 0
	;; [unrolled: 1-line block ×3, first 2 shown]
	s_and_b32 vcc_lo, exec_lo, s0
	s_cbranch_vccnz .LBB475_6
; %bb.4:                                ;   in Loop: Header=BB475_3 Depth=1
	v_mad_nc_u64_u32 v[10:11], s22, s2, v[2:3]
	v_mad_nc_u64_u32 v[12:13], s8, s2, v[4:5]
	v_dual_mov_b32 v27, 0 :: v_dual_mov_b32 v28, 0
	v_dual_mov_b32 v29, 0 :: v_dual_mov_b32 v31, 0
	;; [unrolled: 1-line block ×5, first 2 shown]
	v_mad_u32 v11, s23, s2, v11
	v_mad_u32 v13, s9, s2, v13
	v_dual_mov_b32 v30, 0 :: v_dual_mov_b32 v33, 0
	v_dual_mov_b32 v18, 0 :: v_dual_mov_b32 v19, 0
	;; [unrolled: 1-line block ×3, first 2 shown]
	s_mov_b64 s[12:13], 0
.LBB475_5:                              ;   Parent Loop BB475_3 Depth=1
                                        ; =>  This Inner Loop Header: Depth=2
	global_load_i8 v34, v[12:13], off
	s_add_nc_u64 s[12:13], s[12:13], 4
	s_wait_xcnt 0x0
	v_add_nc_u64_e32 v[12:13], s[6:7], v[12:13]
	v_cmp_lt_i64_e64 s14, s[12:13], s[28:29]
	s_and_b32 vcc_lo, exec_lo, s14
	s_wait_loadcnt 0x0
	ds_store_b32 v14, v34
	global_load_i8 v34, v[10:11], off
	s_wait_xcnt 0x0
	v_add_nc_u64_e32 v[10:11], s[20:21], v[10:11]
	s_wait_loadcnt 0x0
	ds_store_b32 v15, v34
	s_wait_dscnt 0x0
	s_barrier_signal -1
	s_barrier_wait -1
	ds_load_2addr_b32 v[46:47], v16 offset1:16
	ds_load_2addr_b32 v[48:49], v16 offset0:32 offset1:48
	ds_load_2addr_b32 v[50:51], v16 offset0:64 offset1:80
	ds_load_2addr_b32 v[52:53], v16 offset0:96 offset1:112
	ds_load_2addr_b32 v[54:55], v16 offset0:128 offset1:144
	ds_load_2addr_b32 v[56:57], v16 offset0:160 offset1:176
	ds_load_2addr_b32 v[58:59], v16 offset0:192 offset1:208
	ds_load_2addr_b32 v[60:61], v16 offset0:224 offset1:240
	ds_load_b128 v[34:37], v17 offset:512
	ds_load_b128 v[38:41], v17 offset:768
	ds_load_b128 v[42:45], v17
	s_wait_dscnt 0x2
	v_mad_u32 v31, v34, v48, v31
	s_wait_dscnt 0x1
	v_mad_u32 v30, v38, v46, v30
	v_mad_u32 v29, v38, v47, v29
	;; [unrolled: 1-line block ×7, first 2 shown]
	s_wait_dscnt 0x0
	v_mad_u32 v24, v42, v46, v24
	v_mad_u32 v23, v42, v47, v23
	;; [unrolled: 1-line block ×18, first 2 shown]
	ds_load_b128 v[28:31], v17 offset:256
	v_mad_u32 v22, v43, v52, v22
	v_mad_u32 v21, v43, v53, v21
	;; [unrolled: 1-line block ×6, first 2 shown]
	s_wait_dscnt 0x0
	s_barrier_signal -1
	s_barrier_wait -1
	v_mad_u32 v24, v44, v54, v24
	v_mad_u32 v23, v44, v55, v23
	;; [unrolled: 1-line block ×32, first 2 shown]
	s_cbranch_vccnz .LBB475_5
.LBB475_6:                              ;   in Loop: Header=BB475_3 Depth=1
	s_mul_u64 s[12:13], s[26:27], s[2:3]
	v_mul_lo_u32 v24, v24, s30
	s_lshl_b64 s[12:13], s[12:13], 2
	v_mul_lo_u32 v23, v23, s30
	s_add_nc_u64 s[12:13], s[18:19], s[12:13]
	v_mul_lo_u32 v34, v22, s30
	v_lshl_add_u64 v[12:13], v[0:1], 2, s[12:13]
	v_mul_lo_u32 v35, v21, s30
	v_mul_lo_u32 v20, v20, s30
	v_mul_lo_u32 v21, v26, s30
	v_mul_lo_u32 v22, v25, s30
	v_mul_lo_u32 v19, v19, s30
	v_mul_lo_u32 v18, v18, s30
	v_mul_lo_u32 v25, v32, s30
	v_mul_lo_u32 v26, v31, s30
	v_mul_lo_u32 v31, v33, s30
	v_mul_lo_u32 v30, v30, s30
	v_mul_lo_u32 v29, v29, s30
	v_mul_lo_u32 v28, v28, s30
	v_mul_lo_u32 v27, v27, s30
	v_add_nc_u64_e32 v[10:11], v[12:13], v[6:7]
	v_add_nc_u64_e32 v[12:13], s[10:11], v[12:13]
	s_and_not1_b32 vcc_lo, exec_lo, s1
	s_cbranch_vccnz .LBB475_8
; %bb.7:                                ;   in Loop: Header=BB475_3 Depth=1
	s_mul_u64 s[12:13], s[16:17], s[2:3]
	s_delay_alu instid0(SALU_CYCLE_1) | instskip(NEXT) | instid1(VALU_DEP_1)
	v_lshl_add_u64 v[32:33], s[12:13], 2, v[8:9]
	v_add_nc_u64_e32 v[36:37], v[32:33], v[6:7]
	v_add_nc_u64_e32 v[32:33], s[4:5], v[32:33]
	global_load_b32 v38, v[36:37], off
	s_wait_loadcnt 0x0
	v_mad_u32 v38, v38, s33, v24
	global_store_b32 v[10:11], v38, off
	global_load_b32 v38, v[36:37], off offset:64
	s_wait_loadcnt 0x0
	v_mad_u32 v38, v38, s33, v23
	global_store_b32 v[10:11], v38, off offset:64
	global_load_b32 v38, v[36:37], off offset:128
	s_wait_loadcnt 0x0
	v_mad_u32 v38, v38, s33, v34
	global_store_b32 v[10:11], v38, off offset:128
	global_load_b32 v36, v[36:37], off offset:192
	s_wait_loadcnt 0x0
	s_wait_xcnt 0x1
	v_mad_u32 v38, v36, s33, v35
	s_wait_xcnt 0x0
	v_add_nc_u64_e32 v[36:37], v[32:33], v[6:7]
	v_add_nc_u64_e32 v[32:33], s[4:5], v[32:33]
	global_store_b32 v[10:11], v38, off offset:192
	global_load_b32 v38, v[36:37], off
	s_wait_loadcnt 0x0
	v_mad_u32 v40, v38, s33, v20
	v_add_nc_u64_e32 v[38:39], v[12:13], v[6:7]
	global_store_b32 v[38:39], v40, off
	global_load_b32 v40, v[36:37], off offset:64
	s_wait_loadcnt 0x0
	v_mad_u32 v40, v40, s33, v21
	global_store_b32 v[38:39], v40, off offset:64
	global_load_b32 v40, v[36:37], off offset:128
	s_wait_loadcnt 0x0
	v_mad_u32 v40, v40, s33, v22
	global_store_b32 v[38:39], v40, off offset:128
	global_load_b32 v36, v[36:37], off offset:192
	s_wait_loadcnt 0x0
	s_wait_xcnt 0x1
	v_mad_u32 v40, v36, s33, v19
	s_wait_xcnt 0x0
	v_add_nc_u64_e32 v[36:37], v[32:33], v[6:7]
	v_add_nc_u64_e32 v[32:33], s[4:5], v[32:33]
	s_delay_alu instid0(VALU_DEP_1)
	v_add_nc_u64_e32 v[32:33], v[32:33], v[6:7]
	global_store_b32 v[38:39], v40, off offset:192
	global_load_b32 v40, v[36:37], off
	v_add_nc_u64_e32 v[38:39], s[10:11], v[12:13]
	s_wait_loadcnt 0x0
	v_mad_u32 v42, v40, s33, v18
	s_delay_alu instid0(VALU_DEP_2)
	v_add_nc_u64_e32 v[40:41], v[38:39], v[6:7]
	global_store_b32 v[40:41], v42, off
	global_load_b32 v42, v[36:37], off offset:64
	s_wait_loadcnt 0x0
	v_mad_u32 v42, v42, s33, v25
	global_store_b32 v[40:41], v42, off offset:64
	global_load_b32 v42, v[36:37], off offset:128
	s_wait_loadcnt 0x0
	v_mad_u32 v42, v42, s33, v26
	global_store_b32 v[40:41], v42, off offset:128
	global_load_b32 v36, v[36:37], off offset:192
	s_wait_loadcnt 0x0
	s_wait_xcnt 0x0
	v_mad_u32 v36, v36, s33, v31
	global_store_b32 v[40:41], v36, off offset:192
	global_load_b32 v40, v[32:33], off
	v_add_nc_u64_e32 v[36:37], s[10:11], v[38:39]
	s_delay_alu instid0(VALU_DEP_1)
	v_add_nc_u64_e32 v[36:37], v[36:37], v[6:7]
	s_wait_loadcnt 0x0
	v_mad_u32 v38, v40, s33, v30
	global_store_b32 v[36:37], v38, off
	global_load_b32 v38, v[32:33], off offset:64
	s_wait_loadcnt 0x0
	v_mad_u32 v38, v38, s33, v29
	global_store_b32 v[36:37], v38, off offset:64
	global_load_b32 v38, v[32:33], off offset:128
	s_wait_loadcnt 0x0
	v_mad_u32 v38, v38, s33, v28
	global_store_b32 v[36:37], v38, off offset:128
	global_load_b32 v32, v[32:33], off offset:192
	s_wait_loadcnt 0x0
	s_wait_xcnt 0x0
	v_mad_u32 v32, v32, s33, v27
	global_store_b32 v[36:37], v32, off offset:192
	s_cbranch_execnz .LBB475_2
	s_branch .LBB475_9
.LBB475_8:                              ;   in Loop: Header=BB475_3 Depth=1
.LBB475_9:                              ;   in Loop: Header=BB475_3 Depth=1
	s_wait_xcnt 0x0
	s_delay_alu instid0(VALU_DEP_1)
	v_add_nc_u64_e32 v[32:33], s[10:11], v[12:13]
	v_add_nc_u64_e32 v[12:13], v[12:13], v[6:7]
	s_clause 0x3
	global_store_b32 v[10:11], v24, off
	global_store_b32 v[10:11], v23, off offset:64
	global_store_b32 v[10:11], v34, off offset:128
	;; [unrolled: 1-line block ×3, first 2 shown]
	v_add_nc_u64_e32 v[36:37], s[10:11], v[32:33]
	v_add_nc_u64_e32 v[32:33], v[32:33], v[6:7]
	s_wait_xcnt 0x0
	s_delay_alu instid0(VALU_DEP_2)
	v_add_nc_u64_e32 v[10:11], v[36:37], v[6:7]
	s_clause 0xb
	global_store_b32 v[12:13], v20, off
	global_store_b32 v[12:13], v21, off offset:64
	global_store_b32 v[12:13], v22, off offset:128
	global_store_b32 v[12:13], v19, off offset:192
	global_store_b32 v[32:33], v18, off
	global_store_b32 v[32:33], v25, off offset:64
	global_store_b32 v[32:33], v26, off offset:128
	global_store_b32 v[32:33], v31, off offset:192
	;; [unrolled: 4-line block ×3, first 2 shown]
	s_branch .LBB475_2
.LBB475_10:
	s_endpgm
	.section	.rodata,"a",@progbits
	.p2align	6, 0x0
	.amdhsa_kernel _ZN12_GLOBAL__N_127rocblas_gemm_batched_kernelIiLi16ELi16ELi64ELi64ELi4ELi64ELi4ELi4ELi64ELc78ELc84EKaKiiEEvlllT_PT11_llS5_llS3_PT12_llPT13_lli
		.amdhsa_group_segment_fixed_size 2048
		.amdhsa_private_segment_fixed_size 0
		.amdhsa_kernarg_size 140
		.amdhsa_user_sgpr_count 2
		.amdhsa_user_sgpr_dispatch_ptr 0
		.amdhsa_user_sgpr_queue_ptr 0
		.amdhsa_user_sgpr_kernarg_segment_ptr 1
		.amdhsa_user_sgpr_dispatch_id 0
		.amdhsa_user_sgpr_kernarg_preload_length 0
		.amdhsa_user_sgpr_kernarg_preload_offset 0
		.amdhsa_user_sgpr_private_segment_size 0
		.amdhsa_wavefront_size32 1
		.amdhsa_uses_dynamic_stack 0
		.amdhsa_enable_private_segment 0
		.amdhsa_system_sgpr_workgroup_id_x 1
		.amdhsa_system_sgpr_workgroup_id_y 1
		.amdhsa_system_sgpr_workgroup_id_z 1
		.amdhsa_system_sgpr_workgroup_info 0
		.amdhsa_system_vgpr_workitem_id 1
		.amdhsa_next_free_vgpr 64
		.amdhsa_next_free_sgpr 38
		.amdhsa_named_barrier_count 0
		.amdhsa_reserve_vcc 1
		.amdhsa_float_round_mode_32 0
		.amdhsa_float_round_mode_16_64 0
		.amdhsa_float_denorm_mode_32 3
		.amdhsa_float_denorm_mode_16_64 3
		.amdhsa_fp16_overflow 0
		.amdhsa_memory_ordered 1
		.amdhsa_forward_progress 1
		.amdhsa_inst_pref_size 20
		.amdhsa_round_robin_scheduling 0
		.amdhsa_exception_fp_ieee_invalid_op 0
		.amdhsa_exception_fp_denorm_src 0
		.amdhsa_exception_fp_ieee_div_zero 0
		.amdhsa_exception_fp_ieee_overflow 0
		.amdhsa_exception_fp_ieee_underflow 0
		.amdhsa_exception_fp_ieee_inexact 0
		.amdhsa_exception_int_div_zero 0
	.end_amdhsa_kernel
	.section	.text._ZN12_GLOBAL__N_127rocblas_gemm_batched_kernelIiLi16ELi16ELi64ELi64ELi4ELi64ELi4ELi4ELi64ELc78ELc84EKaKiiEEvlllT_PT11_llS5_llS3_PT12_llPT13_lli,"axG",@progbits,_ZN12_GLOBAL__N_127rocblas_gemm_batched_kernelIiLi16ELi16ELi64ELi64ELi4ELi64ELi4ELi4ELi64ELc78ELc84EKaKiiEEvlllT_PT11_llS5_llS3_PT12_llPT13_lli,comdat
.Lfunc_end475:
	.size	_ZN12_GLOBAL__N_127rocblas_gemm_batched_kernelIiLi16ELi16ELi64ELi64ELi4ELi64ELi4ELi4ELi64ELc78ELc84EKaKiiEEvlllT_PT11_llS5_llS3_PT12_llPT13_lli, .Lfunc_end475-_ZN12_GLOBAL__N_127rocblas_gemm_batched_kernelIiLi16ELi16ELi64ELi64ELi4ELi64ELi4ELi4ELi64ELc78ELc84EKaKiiEEvlllT_PT11_llS5_llS3_PT12_llPT13_lli
                                        ; -- End function
	.set _ZN12_GLOBAL__N_127rocblas_gemm_batched_kernelIiLi16ELi16ELi64ELi64ELi4ELi64ELi4ELi4ELi64ELc78ELc84EKaKiiEEvlllT_PT11_llS5_llS3_PT12_llPT13_lli.num_vgpr, 64
	.set _ZN12_GLOBAL__N_127rocblas_gemm_batched_kernelIiLi16ELi16ELi64ELi64ELi4ELi64ELi4ELi4ELi64ELc78ELc84EKaKiiEEvlllT_PT11_llS5_llS3_PT12_llPT13_lli.num_agpr, 0
	.set _ZN12_GLOBAL__N_127rocblas_gemm_batched_kernelIiLi16ELi16ELi64ELi64ELi4ELi64ELi4ELi4ELi64ELc78ELc84EKaKiiEEvlllT_PT11_llS5_llS3_PT12_llPT13_lli.numbered_sgpr, 38
	.set _ZN12_GLOBAL__N_127rocblas_gemm_batched_kernelIiLi16ELi16ELi64ELi64ELi4ELi64ELi4ELi4ELi64ELc78ELc84EKaKiiEEvlllT_PT11_llS5_llS3_PT12_llPT13_lli.num_named_barrier, 0
	.set _ZN12_GLOBAL__N_127rocblas_gemm_batched_kernelIiLi16ELi16ELi64ELi64ELi4ELi64ELi4ELi4ELi64ELc78ELc84EKaKiiEEvlllT_PT11_llS5_llS3_PT12_llPT13_lli.private_seg_size, 0
	.set _ZN12_GLOBAL__N_127rocblas_gemm_batched_kernelIiLi16ELi16ELi64ELi64ELi4ELi64ELi4ELi4ELi64ELc78ELc84EKaKiiEEvlllT_PT11_llS5_llS3_PT12_llPT13_lli.uses_vcc, 1
	.set _ZN12_GLOBAL__N_127rocblas_gemm_batched_kernelIiLi16ELi16ELi64ELi64ELi4ELi64ELi4ELi4ELi64ELc78ELc84EKaKiiEEvlllT_PT11_llS5_llS3_PT12_llPT13_lli.uses_flat_scratch, 0
	.set _ZN12_GLOBAL__N_127rocblas_gemm_batched_kernelIiLi16ELi16ELi64ELi64ELi4ELi64ELi4ELi4ELi64ELc78ELc84EKaKiiEEvlllT_PT11_llS5_llS3_PT12_llPT13_lli.has_dyn_sized_stack, 0
	.set _ZN12_GLOBAL__N_127rocblas_gemm_batched_kernelIiLi16ELi16ELi64ELi64ELi4ELi64ELi4ELi4ELi64ELc78ELc84EKaKiiEEvlllT_PT11_llS5_llS3_PT12_llPT13_lli.has_recursion, 0
	.set _ZN12_GLOBAL__N_127rocblas_gemm_batched_kernelIiLi16ELi16ELi64ELi64ELi4ELi64ELi4ELi4ELi64ELc78ELc84EKaKiiEEvlllT_PT11_llS5_llS3_PT12_llPT13_lli.has_indirect_call, 0
	.section	.AMDGPU.csdata,"",@progbits
; Kernel info:
; codeLenInByte = 2524
; TotalNumSgprs: 40
; NumVgprs: 64
; ScratchSize: 0
; MemoryBound: 0
; FloatMode: 240
; IeeeMode: 1
; LDSByteSize: 2048 bytes/workgroup (compile time only)
; SGPRBlocks: 0
; VGPRBlocks: 3
; NumSGPRsForWavesPerEU: 40
; NumVGPRsForWavesPerEU: 64
; NamedBarCnt: 0
; Occupancy: 16
; WaveLimiterHint : 0
; COMPUTE_PGM_RSRC2:SCRATCH_EN: 0
; COMPUTE_PGM_RSRC2:USER_SGPR: 2
; COMPUTE_PGM_RSRC2:TRAP_HANDLER: 0
; COMPUTE_PGM_RSRC2:TGID_X_EN: 1
; COMPUTE_PGM_RSRC2:TGID_Y_EN: 1
; COMPUTE_PGM_RSRC2:TGID_Z_EN: 1
; COMPUTE_PGM_RSRC2:TIDIG_COMP_CNT: 1
	.section	.text._ZN12_GLOBAL__N_127rocblas_gemm_batched_kernelIiLi16ELi16ELi64ELi64ELi4ELi64ELi4ELi4ELi64ELc84ELc84EKaKiiEEvlllT_PT11_llS5_llS3_PT12_llPT13_lli,"axG",@progbits,_ZN12_GLOBAL__N_127rocblas_gemm_batched_kernelIiLi16ELi16ELi64ELi64ELi4ELi64ELi4ELi4ELi64ELc84ELc84EKaKiiEEvlllT_PT11_llS5_llS3_PT12_llPT13_lli,comdat
	.globl	_ZN12_GLOBAL__N_127rocblas_gemm_batched_kernelIiLi16ELi16ELi64ELi64ELi4ELi64ELi4ELi4ELi64ELc84ELc84EKaKiiEEvlllT_PT11_llS5_llS3_PT12_llPT13_lli ; -- Begin function _ZN12_GLOBAL__N_127rocblas_gemm_batched_kernelIiLi16ELi16ELi64ELi64ELi4ELi64ELi4ELi4ELi64ELc84ELc84EKaKiiEEvlllT_PT11_llS5_llS3_PT12_llPT13_lli
	.p2align	8
	.type	_ZN12_GLOBAL__N_127rocblas_gemm_batched_kernelIiLi16ELi16ELi64ELi64ELi4ELi64ELi4ELi4ELi64ELc84ELc84EKaKiiEEvlllT_PT11_llS5_llS3_PT12_llPT13_lli,@function
_ZN12_GLOBAL__N_127rocblas_gemm_batched_kernelIiLi16ELi16ELi64ELi64ELi4ELi64ELi4ELi4ELi64ELc84ELc84EKaKiiEEvlllT_PT11_llS5_llS3_PT12_llPT13_lli: ; @_ZN12_GLOBAL__N_127rocblas_gemm_batched_kernelIiLi16ELi16ELi64ELi64ELi4ELi64ELi4ELi4ELi64ELc84ELc84EKaKiiEEvlllT_PT11_llS5_llS3_PT12_llPT13_lli
; %bb.0:
	s_load_b32 s31, s[0:1], 0x88
	s_bfe_u32 s2, ttmp6, 0x40014
	s_lshr_b32 s3, ttmp7, 16
	s_add_co_i32 s2, s2, 1
	s_bfe_u32 s4, ttmp6, 0x40008
	s_mul_i32 s2, s3, s2
	s_getreg_b32 s28, hwreg(HW_REG_IB_STS2, 6, 4)
	s_add_co_i32 s4, s4, s2
	s_cmp_eq_u32 s28, 0
	s_cselect_b32 s2, s3, s4
	s_mov_b32 s3, 0
	s_wait_kmcnt 0x0
	s_cmp_ge_i32 s2, s31
	s_cbranch_scc1 .LBB476_10
; %bb.1:
	v_bfe_u32 v2, v0, 10, 10
	v_and_b32_e32 v4, 0x3ff, v0
	s_bfe_u32 s30, ttmp6, 0x4000c
	s_bfe_u32 s34, ttmp6, 0x40010
	s_clause 0x2
	s_load_b256 s[4:11], s[0:1], 0x20
	s_load_b128 s[20:23], s[0:1], 0x40
	s_load_b128 s[24:27], s[0:1], 0x78
	v_dual_lshlrev_b32 v17, 4, v2 :: v_dual_mov_b32 v3, 0
	s_and_b32 s33, ttmp7, 0xffff
	s_add_co_i32 s30, s30, 1
	s_add_co_i32 s34, s34, 1
	s_load_b256 s[12:19], s[0:1], 0x58
	s_and_b32 s29, ttmp6, 15
	s_mul_i32 s30, ttmp9, s30
	s_mul_i32 s34, s33, s34
	s_bfe_u32 s35, ttmp6, 0x40004
	v_dual_add_nc_u32 v1, v17, v4 :: v_dual_mov_b32 v7, v3
	s_add_co_i32 s29, s29, s30
	s_add_co_i32 s35, s35, s34
	s_cmp_eq_u32 s28, 0
	s_delay_alu instid0(VALU_DEP_1)
	v_dual_lshrrev_b32 v6, 6, v1 :: v_dual_bitop2_b32 v5, 63, v1 bitop3:0x40
	s_cselect_b32 s28, ttmp9, s29
	s_cselect_b32 s30, s33, s35
	s_ashr_i32 s29, s28, 31
	s_lshl_b32 s36, s30, 6
	s_lshl_b64 s[34:35], s[28:29], 6
	s_mov_b32 s37, s3
	v_dual_mov_b32 v15, v3 :: v_dual_bitop2_b32 v16, s34, v5 bitop3:0x54
	v_add_nc_u64_e32 v[8:9], s[36:37], v[2:3]
	s_clause 0x1
	s_load_b32 s33, s[0:1], 0x50
	s_load_b96 s[28:30], s[0:1], 0x10
	s_wait_kmcnt 0x0
	v_mad_nc_u64_u32 v[10:11], s6, v16, v[6:7]
	v_dual_lshrrev_b32 v14, 2, v1 :: v_dual_bitop2_b32 v2, 3, v0 bitop3:0x40
	s_add_nc_u64 s[10:11], s[10:11], s[36:37]
	v_mul_u64_e32 v[12:13], s[14:15], v[8:9]
	v_mul_u64_e32 v[0:1], s[24:25], v[8:9]
	s_delay_alu instid0(VALU_DEP_3)
	v_lshlrev_b32_e32 v7, 2, v2
	v_mad_nc_u64_u32 v[8:9], s20, v2, v[14:15]
	v_dual_lshlrev_b32 v15, 2, v5 :: v_dual_mov_b32 v5, v3
	v_add_nc_u32_e32 v17, 0x400, v17
	v_mad_u32 v11, s7, v16, v11
	v_lshl_or_b32 v7, v14, 4, v7
	s_delay_alu instid0(VALU_DEP_4) | instskip(SKIP_1) | instid1(VALU_DEP_3)
	v_lshl_or_b32 v14, v6, 8, v15
	v_lshlrev_b32_e32 v16, 2, v4
	v_add_nc_u32_e32 v15, 0x400, v7
	v_mad_u32 v9, s21, v2, v9
	v_cmp_gt_i64_e64 s0, s[28:29], 0
	v_add_nc_u64_e32 v[6:7], s[34:35], v[4:5]
	v_mad_u32 v11, s6, s35, v11
	s_lshl_b64 s[6:7], s[20:21], 2
	s_cmp_lg_u32 s33, 0
	v_cndmask_b32_e64 v18, 0, 1, s0
	s_delay_alu instid0(VALU_DEP_3)
	v_lshlrev_b64_e32 v[6:7], 2, v[6:7]
	s_cselect_b32 s1, -1, 0
	v_add_nc_u64_e32 v[2:3], s[10:11], v[8:9]
	s_lshl_b64 s[14:15], s[14:15], 4
	v_cmp_ne_u32_e64 s0, 1, v18
	s_lshl_b64 s[10:11], s[24:25], 4
	v_add_nc_u64_e32 v[4:5], s[4:5], v[10:11]
	s_lshl_b64 s[4:5], s[14:15], 2
	s_lshl_b64 s[10:11], s[10:11], 2
	v_lshl_add_u64 v[8:9], v[12:13], 2, s[12:13]
	s_branch .LBB476_3
.LBB476_2:                              ;   in Loop: Header=BB476_3 Depth=1
	s_add_co_i32 s2, s2, 0x10000
	s_delay_alu instid0(SALU_CYCLE_1)
	s_cmp_lt_i32 s2, s31
	s_cbranch_scc0 .LBB476_10
.LBB476_3:                              ; =>This Loop Header: Depth=1
                                        ;     Child Loop BB476_5 Depth 2
	s_wait_xcnt 0xa
	v_dual_mov_b32 v21, 0 :: v_dual_mov_b32 v20, 0
	s_wait_xcnt 0x7
	v_dual_mov_b32 v19, 0 :: v_dual_mov_b32 v18, 0
	s_wait_xcnt 0x3
	v_dual_mov_b32 v33, 0 :: v_dual_mov_b32 v30, 0
	v_dual_mov_b32 v24, 0 :: v_dual_mov_b32 v23, 0
	v_dual_mov_b32 v22, 0 :: v_dual_mov_b32 v26, 0
	s_wait_xcnt 0x0
	v_dual_mov_b32 v25, 0 :: v_dual_mov_b32 v32, 0
	v_dual_mov_b32 v31, 0 :: v_dual_mov_b32 v29, 0
	;; [unrolled: 1-line block ×3, first 2 shown]
	s_and_b32 vcc_lo, exec_lo, s0
	s_cbranch_vccnz .LBB476_6
; %bb.4:                                ;   in Loop: Header=BB476_3 Depth=1
	v_mad_nc_u64_u32 v[10:11], s22, s2, v[2:3]
	v_mad_nc_u64_u32 v[12:13], s8, s2, v[4:5]
	v_dual_mov_b32 v27, 0 :: v_dual_mov_b32 v28, 0
	v_dual_mov_b32 v29, 0 :: v_dual_mov_b32 v31, 0
	;; [unrolled: 1-line block ×5, first 2 shown]
	v_mad_u32 v11, s23, s2, v11
	v_mad_u32 v13, s9, s2, v13
	v_dual_mov_b32 v30, 0 :: v_dual_mov_b32 v33, 0
	v_dual_mov_b32 v18, 0 :: v_dual_mov_b32 v19, 0
	v_dual_mov_b32 v20, 0 :: v_dual_mov_b32 v21, 0
	s_mov_b64 s[12:13], 0
.LBB476_5:                              ;   Parent Loop BB476_3 Depth=1
                                        ; =>  This Inner Loop Header: Depth=2
	s_delay_alu instid0(VALU_DEP_4) | instid1(SALU_CYCLE_1)
	v_add_nc_u64_e32 v[34:35], s[12:13], v[12:13]
	s_add_nc_u64 s[12:13], s[12:13], 4
	s_delay_alu instid0(SALU_CYCLE_1)
	v_cmp_lt_i64_e64 s14, s[12:13], s[28:29]
	global_load_i8 v34, v[34:35], off
	s_and_b32 vcc_lo, exec_lo, s14
	s_wait_loadcnt 0x0
	ds_store_b32 v14, v34
	global_load_i8 v34, v[10:11], off
	s_wait_xcnt 0x0
	v_add_nc_u64_e32 v[10:11], s[6:7], v[10:11]
	s_wait_loadcnt 0x0
	ds_store_b32 v15, v34
	s_wait_dscnt 0x0
	s_barrier_signal -1
	s_barrier_wait -1
	ds_load_2addr_b32 v[46:47], v16 offset1:16
	ds_load_2addr_b32 v[48:49], v16 offset0:32 offset1:48
	ds_load_2addr_b32 v[50:51], v16 offset0:64 offset1:80
	;; [unrolled: 1-line block ×7, first 2 shown]
	ds_load_b128 v[34:37], v17 offset:512
	ds_load_b128 v[38:41], v17 offset:768
	ds_load_b128 v[42:45], v17
	s_wait_dscnt 0x2
	v_mad_u32 v31, v34, v48, v31
	s_wait_dscnt 0x1
	v_mad_u32 v30, v38, v46, v30
	v_mad_u32 v29, v38, v47, v29
	;; [unrolled: 1-line block ×7, first 2 shown]
	s_wait_dscnt 0x0
	v_mad_u32 v24, v42, v46, v24
	v_mad_u32 v23, v42, v47, v23
	v_mad_u32 v22, v42, v48, v22
	v_mad_u32 v31, v35, v52, v31
	v_mad_u32 v30, v39, v50, v30
	v_mad_u32 v29, v39, v51, v29
	v_mad_u32 v28, v39, v52, v28
	v_mad_u32 v27, v39, v53, v27
	v_mad_u32 v21, v42, v49, v21
	v_mad_u32 v32, v35, v51, v32
	v_mad_u32 v33, v35, v53, v33
	v_mad_u32 v18, v35, v50, v18
	v_mad_u32 v24, v43, v50, v24
	v_mad_u32 v23, v43, v51, v23
	v_mad_u32 v38, v36, v56, v31
	v_mad_u32 v39, v40, v54, v30
	v_mad_u32 v62, v40, v55, v29
	v_mad_u32 v63, v40, v56, v28
	ds_load_b128 v[28:31], v17 offset:256
	v_mad_u32 v22, v43, v52, v22
	v_mad_u32 v21, v43, v53, v21
	;; [unrolled: 1-line block ×6, first 2 shown]
	s_wait_dscnt 0x0
	s_barrier_signal -1
	s_barrier_wait -1
	v_mad_u32 v24, v44, v54, v24
	v_mad_u32 v23, v44, v55, v23
	;; [unrolled: 1-line block ×32, first 2 shown]
	s_cbranch_vccnz .LBB476_5
.LBB476_6:                              ;   in Loop: Header=BB476_3 Depth=1
	s_mul_u64 s[12:13], s[26:27], s[2:3]
	v_mul_lo_u32 v24, v24, s30
	s_lshl_b64 s[12:13], s[12:13], 2
	v_mul_lo_u32 v23, v23, s30
	s_add_nc_u64 s[12:13], s[18:19], s[12:13]
	v_mul_lo_u32 v34, v22, s30
	v_lshl_add_u64 v[12:13], v[0:1], 2, s[12:13]
	v_mul_lo_u32 v35, v21, s30
	v_mul_lo_u32 v20, v20, s30
	;; [unrolled: 1-line block ×13, first 2 shown]
	v_add_nc_u64_e32 v[10:11], v[12:13], v[6:7]
	v_add_nc_u64_e32 v[12:13], s[10:11], v[12:13]
	s_and_not1_b32 vcc_lo, exec_lo, s1
	s_cbranch_vccnz .LBB476_8
; %bb.7:                                ;   in Loop: Header=BB476_3 Depth=1
	s_mul_u64 s[12:13], s[16:17], s[2:3]
	s_delay_alu instid0(SALU_CYCLE_1) | instskip(NEXT) | instid1(VALU_DEP_1)
	v_lshl_add_u64 v[32:33], s[12:13], 2, v[8:9]
	v_add_nc_u64_e32 v[36:37], v[32:33], v[6:7]
	v_add_nc_u64_e32 v[32:33], s[4:5], v[32:33]
	global_load_b32 v38, v[36:37], off
	s_wait_loadcnt 0x0
	v_mad_u32 v38, v38, s33, v24
	global_store_b32 v[10:11], v38, off
	global_load_b32 v38, v[36:37], off offset:64
	s_wait_loadcnt 0x0
	v_mad_u32 v38, v38, s33, v23
	global_store_b32 v[10:11], v38, off offset:64
	global_load_b32 v38, v[36:37], off offset:128
	s_wait_loadcnt 0x0
	v_mad_u32 v38, v38, s33, v34
	global_store_b32 v[10:11], v38, off offset:128
	global_load_b32 v36, v[36:37], off offset:192
	s_wait_loadcnt 0x0
	s_wait_xcnt 0x1
	v_mad_u32 v38, v36, s33, v35
	s_wait_xcnt 0x0
	v_add_nc_u64_e32 v[36:37], v[32:33], v[6:7]
	v_add_nc_u64_e32 v[32:33], s[4:5], v[32:33]
	global_store_b32 v[10:11], v38, off offset:192
	global_load_b32 v38, v[36:37], off
	s_wait_loadcnt 0x0
	v_mad_u32 v40, v38, s33, v20
	v_add_nc_u64_e32 v[38:39], v[12:13], v[6:7]
	global_store_b32 v[38:39], v40, off
	global_load_b32 v40, v[36:37], off offset:64
	s_wait_loadcnt 0x0
	v_mad_u32 v40, v40, s33, v21
	global_store_b32 v[38:39], v40, off offset:64
	global_load_b32 v40, v[36:37], off offset:128
	s_wait_loadcnt 0x0
	v_mad_u32 v40, v40, s33, v22
	global_store_b32 v[38:39], v40, off offset:128
	global_load_b32 v36, v[36:37], off offset:192
	s_wait_loadcnt 0x0
	s_wait_xcnt 0x1
	v_mad_u32 v40, v36, s33, v19
	s_wait_xcnt 0x0
	v_add_nc_u64_e32 v[36:37], v[32:33], v[6:7]
	v_add_nc_u64_e32 v[32:33], s[4:5], v[32:33]
	s_delay_alu instid0(VALU_DEP_1)
	v_add_nc_u64_e32 v[32:33], v[32:33], v[6:7]
	global_store_b32 v[38:39], v40, off offset:192
	global_load_b32 v40, v[36:37], off
	v_add_nc_u64_e32 v[38:39], s[10:11], v[12:13]
	s_wait_loadcnt 0x0
	v_mad_u32 v42, v40, s33, v18
	s_delay_alu instid0(VALU_DEP_2)
	v_add_nc_u64_e32 v[40:41], v[38:39], v[6:7]
	global_store_b32 v[40:41], v42, off
	global_load_b32 v42, v[36:37], off offset:64
	s_wait_loadcnt 0x0
	v_mad_u32 v42, v42, s33, v25
	global_store_b32 v[40:41], v42, off offset:64
	global_load_b32 v42, v[36:37], off offset:128
	s_wait_loadcnt 0x0
	v_mad_u32 v42, v42, s33, v26
	global_store_b32 v[40:41], v42, off offset:128
	global_load_b32 v36, v[36:37], off offset:192
	s_wait_loadcnt 0x0
	s_wait_xcnt 0x0
	v_mad_u32 v36, v36, s33, v31
	global_store_b32 v[40:41], v36, off offset:192
	global_load_b32 v40, v[32:33], off
	v_add_nc_u64_e32 v[36:37], s[10:11], v[38:39]
	s_delay_alu instid0(VALU_DEP_1)
	v_add_nc_u64_e32 v[36:37], v[36:37], v[6:7]
	s_wait_loadcnt 0x0
	v_mad_u32 v38, v40, s33, v30
	global_store_b32 v[36:37], v38, off
	global_load_b32 v38, v[32:33], off offset:64
	s_wait_loadcnt 0x0
	v_mad_u32 v38, v38, s33, v29
	global_store_b32 v[36:37], v38, off offset:64
	global_load_b32 v38, v[32:33], off offset:128
	s_wait_loadcnt 0x0
	v_mad_u32 v38, v38, s33, v28
	global_store_b32 v[36:37], v38, off offset:128
	global_load_b32 v32, v[32:33], off offset:192
	s_wait_loadcnt 0x0
	s_wait_xcnt 0x0
	v_mad_u32 v32, v32, s33, v27
	global_store_b32 v[36:37], v32, off offset:192
	s_cbranch_execnz .LBB476_2
	s_branch .LBB476_9
.LBB476_8:                              ;   in Loop: Header=BB476_3 Depth=1
.LBB476_9:                              ;   in Loop: Header=BB476_3 Depth=1
	s_wait_xcnt 0x0
	s_delay_alu instid0(VALU_DEP_1)
	v_add_nc_u64_e32 v[32:33], s[10:11], v[12:13]
	v_add_nc_u64_e32 v[12:13], v[12:13], v[6:7]
	s_clause 0x3
	global_store_b32 v[10:11], v24, off
	global_store_b32 v[10:11], v23, off offset:64
	global_store_b32 v[10:11], v34, off offset:128
	;; [unrolled: 1-line block ×3, first 2 shown]
	v_add_nc_u64_e32 v[36:37], s[10:11], v[32:33]
	v_add_nc_u64_e32 v[32:33], v[32:33], v[6:7]
	s_wait_xcnt 0x0
	s_delay_alu instid0(VALU_DEP_2)
	v_add_nc_u64_e32 v[10:11], v[36:37], v[6:7]
	s_clause 0xb
	global_store_b32 v[12:13], v20, off
	global_store_b32 v[12:13], v21, off offset:64
	global_store_b32 v[12:13], v22, off offset:128
	global_store_b32 v[12:13], v19, off offset:192
	global_store_b32 v[32:33], v18, off
	global_store_b32 v[32:33], v25, off offset:64
	global_store_b32 v[32:33], v26, off offset:128
	global_store_b32 v[32:33], v31, off offset:192
	;; [unrolled: 4-line block ×3, first 2 shown]
	s_branch .LBB476_2
.LBB476_10:
	s_endpgm
	.section	.rodata,"a",@progbits
	.p2align	6, 0x0
	.amdhsa_kernel _ZN12_GLOBAL__N_127rocblas_gemm_batched_kernelIiLi16ELi16ELi64ELi64ELi4ELi64ELi4ELi4ELi64ELc84ELc84EKaKiiEEvlllT_PT11_llS5_llS3_PT12_llPT13_lli
		.amdhsa_group_segment_fixed_size 2048
		.amdhsa_private_segment_fixed_size 0
		.amdhsa_kernarg_size 140
		.amdhsa_user_sgpr_count 2
		.amdhsa_user_sgpr_dispatch_ptr 0
		.amdhsa_user_sgpr_queue_ptr 0
		.amdhsa_user_sgpr_kernarg_segment_ptr 1
		.amdhsa_user_sgpr_dispatch_id 0
		.amdhsa_user_sgpr_kernarg_preload_length 0
		.amdhsa_user_sgpr_kernarg_preload_offset 0
		.amdhsa_user_sgpr_private_segment_size 0
		.amdhsa_wavefront_size32 1
		.amdhsa_uses_dynamic_stack 0
		.amdhsa_enable_private_segment 0
		.amdhsa_system_sgpr_workgroup_id_x 1
		.amdhsa_system_sgpr_workgroup_id_y 1
		.amdhsa_system_sgpr_workgroup_id_z 1
		.amdhsa_system_sgpr_workgroup_info 0
		.amdhsa_system_vgpr_workitem_id 1
		.amdhsa_next_free_vgpr 64
		.amdhsa_next_free_sgpr 38
		.amdhsa_named_barrier_count 0
		.amdhsa_reserve_vcc 1
		.amdhsa_float_round_mode_32 0
		.amdhsa_float_round_mode_16_64 0
		.amdhsa_float_denorm_mode_32 3
		.amdhsa_float_denorm_mode_16_64 3
		.amdhsa_fp16_overflow 0
		.amdhsa_memory_ordered 1
		.amdhsa_forward_progress 1
		.amdhsa_inst_pref_size 20
		.amdhsa_round_robin_scheduling 0
		.amdhsa_exception_fp_ieee_invalid_op 0
		.amdhsa_exception_fp_denorm_src 0
		.amdhsa_exception_fp_ieee_div_zero 0
		.amdhsa_exception_fp_ieee_overflow 0
		.amdhsa_exception_fp_ieee_underflow 0
		.amdhsa_exception_fp_ieee_inexact 0
		.amdhsa_exception_int_div_zero 0
	.end_amdhsa_kernel
	.section	.text._ZN12_GLOBAL__N_127rocblas_gemm_batched_kernelIiLi16ELi16ELi64ELi64ELi4ELi64ELi4ELi4ELi64ELc84ELc84EKaKiiEEvlllT_PT11_llS5_llS3_PT12_llPT13_lli,"axG",@progbits,_ZN12_GLOBAL__N_127rocblas_gemm_batched_kernelIiLi16ELi16ELi64ELi64ELi4ELi64ELi4ELi4ELi64ELc84ELc84EKaKiiEEvlllT_PT11_llS5_llS3_PT12_llPT13_lli,comdat
.Lfunc_end476:
	.size	_ZN12_GLOBAL__N_127rocblas_gemm_batched_kernelIiLi16ELi16ELi64ELi64ELi4ELi64ELi4ELi4ELi64ELc84ELc84EKaKiiEEvlllT_PT11_llS5_llS3_PT12_llPT13_lli, .Lfunc_end476-_ZN12_GLOBAL__N_127rocblas_gemm_batched_kernelIiLi16ELi16ELi64ELi64ELi4ELi64ELi4ELi4ELi64ELc84ELc84EKaKiiEEvlllT_PT11_llS5_llS3_PT12_llPT13_lli
                                        ; -- End function
	.set _ZN12_GLOBAL__N_127rocblas_gemm_batched_kernelIiLi16ELi16ELi64ELi64ELi4ELi64ELi4ELi4ELi64ELc84ELc84EKaKiiEEvlllT_PT11_llS5_llS3_PT12_llPT13_lli.num_vgpr, 64
	.set _ZN12_GLOBAL__N_127rocblas_gemm_batched_kernelIiLi16ELi16ELi64ELi64ELi4ELi64ELi4ELi4ELi64ELc84ELc84EKaKiiEEvlllT_PT11_llS5_llS3_PT12_llPT13_lli.num_agpr, 0
	.set _ZN12_GLOBAL__N_127rocblas_gemm_batched_kernelIiLi16ELi16ELi64ELi64ELi4ELi64ELi4ELi4ELi64ELc84ELc84EKaKiiEEvlllT_PT11_llS5_llS3_PT12_llPT13_lli.numbered_sgpr, 38
	.set _ZN12_GLOBAL__N_127rocblas_gemm_batched_kernelIiLi16ELi16ELi64ELi64ELi4ELi64ELi4ELi4ELi64ELc84ELc84EKaKiiEEvlllT_PT11_llS5_llS3_PT12_llPT13_lli.num_named_barrier, 0
	.set _ZN12_GLOBAL__N_127rocblas_gemm_batched_kernelIiLi16ELi16ELi64ELi64ELi4ELi64ELi4ELi4ELi64ELc84ELc84EKaKiiEEvlllT_PT11_llS5_llS3_PT12_llPT13_lli.private_seg_size, 0
	.set _ZN12_GLOBAL__N_127rocblas_gemm_batched_kernelIiLi16ELi16ELi64ELi64ELi4ELi64ELi4ELi4ELi64ELc84ELc84EKaKiiEEvlllT_PT11_llS5_llS3_PT12_llPT13_lli.uses_vcc, 1
	.set _ZN12_GLOBAL__N_127rocblas_gemm_batched_kernelIiLi16ELi16ELi64ELi64ELi4ELi64ELi4ELi4ELi64ELc84ELc84EKaKiiEEvlllT_PT11_llS5_llS3_PT12_llPT13_lli.uses_flat_scratch, 0
	.set _ZN12_GLOBAL__N_127rocblas_gemm_batched_kernelIiLi16ELi16ELi64ELi64ELi4ELi64ELi4ELi4ELi64ELc84ELc84EKaKiiEEvlllT_PT11_llS5_llS3_PT12_llPT13_lli.has_dyn_sized_stack, 0
	.set _ZN12_GLOBAL__N_127rocblas_gemm_batched_kernelIiLi16ELi16ELi64ELi64ELi4ELi64ELi4ELi4ELi64ELc84ELc84EKaKiiEEvlllT_PT11_llS5_llS3_PT12_llPT13_lli.has_recursion, 0
	.set _ZN12_GLOBAL__N_127rocblas_gemm_batched_kernelIiLi16ELi16ELi64ELi64ELi4ELi64ELi4ELi4ELi64ELc84ELc84EKaKiiEEvlllT_PT11_llS5_llS3_PT12_llPT13_lli.has_indirect_call, 0
	.section	.AMDGPU.csdata,"",@progbits
; Kernel info:
; codeLenInByte = 2544
; TotalNumSgprs: 40
; NumVgprs: 64
; ScratchSize: 0
; MemoryBound: 0
; FloatMode: 240
; IeeeMode: 1
; LDSByteSize: 2048 bytes/workgroup (compile time only)
; SGPRBlocks: 0
; VGPRBlocks: 3
; NumSGPRsForWavesPerEU: 40
; NumVGPRsForWavesPerEU: 64
; NamedBarCnt: 0
; Occupancy: 16
; WaveLimiterHint : 0
; COMPUTE_PGM_RSRC2:SCRATCH_EN: 0
; COMPUTE_PGM_RSRC2:USER_SGPR: 2
; COMPUTE_PGM_RSRC2:TRAP_HANDLER: 0
; COMPUTE_PGM_RSRC2:TGID_X_EN: 1
; COMPUTE_PGM_RSRC2:TGID_Y_EN: 1
; COMPUTE_PGM_RSRC2:TGID_Z_EN: 1
; COMPUTE_PGM_RSRC2:TIDIG_COMP_CNT: 1
	.section	.text._ZN12_GLOBAL__N_127rocblas_gemm_batched_kernelIiLi16ELi16ELi64ELi64ELi4ELi64ELi4ELi4ELi64ELc67ELc67EKaKiiEEvlllT_PT11_llS5_llS3_PT12_llPT13_lli,"axG",@progbits,_ZN12_GLOBAL__N_127rocblas_gemm_batched_kernelIiLi16ELi16ELi64ELi64ELi4ELi64ELi4ELi4ELi64ELc67ELc67EKaKiiEEvlllT_PT11_llS5_llS3_PT12_llPT13_lli,comdat
	.globl	_ZN12_GLOBAL__N_127rocblas_gemm_batched_kernelIiLi16ELi16ELi64ELi64ELi4ELi64ELi4ELi4ELi64ELc67ELc67EKaKiiEEvlllT_PT11_llS5_llS3_PT12_llPT13_lli ; -- Begin function _ZN12_GLOBAL__N_127rocblas_gemm_batched_kernelIiLi16ELi16ELi64ELi64ELi4ELi64ELi4ELi4ELi64ELc67ELc67EKaKiiEEvlllT_PT11_llS5_llS3_PT12_llPT13_lli
	.p2align	8
	.type	_ZN12_GLOBAL__N_127rocblas_gemm_batched_kernelIiLi16ELi16ELi64ELi64ELi4ELi64ELi4ELi4ELi64ELc67ELc67EKaKiiEEvlllT_PT11_llS5_llS3_PT12_llPT13_lli,@function
_ZN12_GLOBAL__N_127rocblas_gemm_batched_kernelIiLi16ELi16ELi64ELi64ELi4ELi64ELi4ELi4ELi64ELc67ELc67EKaKiiEEvlllT_PT11_llS5_llS3_PT12_llPT13_lli: ; @_ZN12_GLOBAL__N_127rocblas_gemm_batched_kernelIiLi16ELi16ELi64ELi64ELi4ELi64ELi4ELi4ELi64ELc67ELc67EKaKiiEEvlllT_PT11_llS5_llS3_PT12_llPT13_lli
; %bb.0:
	s_load_b32 s31, s[0:1], 0x88
	s_bfe_u32 s2, ttmp6, 0x40014
	s_lshr_b32 s3, ttmp7, 16
	s_add_co_i32 s2, s2, 1
	s_bfe_u32 s4, ttmp6, 0x40008
	s_mul_i32 s2, s3, s2
	s_getreg_b32 s28, hwreg(HW_REG_IB_STS2, 6, 4)
	s_add_co_i32 s4, s4, s2
	s_cmp_eq_u32 s28, 0
	s_cselect_b32 s2, s3, s4
	s_mov_b32 s3, 0
	s_wait_kmcnt 0x0
	s_cmp_ge_i32 s2, s31
	s_cbranch_scc1 .LBB477_10
; %bb.1:
	v_bfe_u32 v2, v0, 10, 10
	v_and_b32_e32 v4, 0x3ff, v0
	s_bfe_u32 s30, ttmp6, 0x4000c
	s_bfe_u32 s34, ttmp6, 0x40010
	s_clause 0x2
	s_load_b256 s[4:11], s[0:1], 0x20
	s_load_b128 s[20:23], s[0:1], 0x40
	s_load_b128 s[24:27], s[0:1], 0x78
	v_dual_lshlrev_b32 v17, 4, v2 :: v_dual_mov_b32 v3, 0
	s_and_b32 s33, ttmp7, 0xffff
	s_add_co_i32 s30, s30, 1
	s_add_co_i32 s34, s34, 1
	s_load_b256 s[12:19], s[0:1], 0x58
	s_and_b32 s29, ttmp6, 15
	s_mul_i32 s30, ttmp9, s30
	s_mul_i32 s34, s33, s34
	s_bfe_u32 s35, ttmp6, 0x40004
	v_dual_add_nc_u32 v1, v17, v4 :: v_dual_mov_b32 v7, v3
	s_add_co_i32 s29, s29, s30
	s_add_co_i32 s35, s35, s34
	s_cmp_eq_u32 s28, 0
	s_delay_alu instid0(VALU_DEP_1)
	v_dual_lshrrev_b32 v6, 6, v1 :: v_dual_bitop2_b32 v5, 63, v1 bitop3:0x40
	s_cselect_b32 s28, ttmp9, s29
	s_cselect_b32 s30, s33, s35
	s_ashr_i32 s29, s28, 31
	s_lshl_b32 s36, s30, 6
	s_lshl_b64 s[34:35], s[28:29], 6
	s_mov_b32 s37, s3
	v_dual_mov_b32 v15, v3 :: v_dual_bitop2_b32 v16, s34, v5 bitop3:0x54
	v_add_nc_u64_e32 v[8:9], s[36:37], v[2:3]
	s_clause 0x1
	s_load_b32 s33, s[0:1], 0x50
	s_load_b96 s[28:30], s[0:1], 0x10
	s_wait_kmcnt 0x0
	v_mad_nc_u64_u32 v[10:11], s6, v16, v[6:7]
	v_dual_lshrrev_b32 v14, 2, v1 :: v_dual_bitop2_b32 v2, 3, v0 bitop3:0x40
	s_add_nc_u64 s[10:11], s[10:11], s[36:37]
	v_mul_u64_e32 v[12:13], s[14:15], v[8:9]
	v_mul_u64_e32 v[0:1], s[24:25], v[8:9]
	s_delay_alu instid0(VALU_DEP_3)
	v_lshlrev_b32_e32 v7, 2, v2
	v_mad_nc_u64_u32 v[8:9], s20, v2, v[14:15]
	v_dual_lshlrev_b32 v15, 2, v5 :: v_dual_mov_b32 v5, v3
	v_add_nc_u32_e32 v17, 0x400, v17
	v_mad_u32 v11, s7, v16, v11
	v_lshl_or_b32 v7, v14, 4, v7
	s_delay_alu instid0(VALU_DEP_4) | instskip(SKIP_1) | instid1(VALU_DEP_3)
	v_lshl_or_b32 v14, v6, 8, v15
	v_lshlrev_b32_e32 v16, 2, v4
	v_add_nc_u32_e32 v15, 0x400, v7
	v_mad_u32 v9, s21, v2, v9
	v_cmp_gt_i64_e64 s0, s[28:29], 0
	v_add_nc_u64_e32 v[6:7], s[34:35], v[4:5]
	v_mad_u32 v11, s6, s35, v11
	s_lshl_b64 s[6:7], s[20:21], 2
	s_cmp_lg_u32 s33, 0
	v_cndmask_b32_e64 v18, 0, 1, s0
	s_delay_alu instid0(VALU_DEP_3)
	v_lshlrev_b64_e32 v[6:7], 2, v[6:7]
	s_cselect_b32 s1, -1, 0
	v_add_nc_u64_e32 v[2:3], s[10:11], v[8:9]
	s_lshl_b64 s[14:15], s[14:15], 4
	v_cmp_ne_u32_e64 s0, 1, v18
	s_lshl_b64 s[10:11], s[24:25], 4
	v_add_nc_u64_e32 v[4:5], s[4:5], v[10:11]
	s_lshl_b64 s[4:5], s[14:15], 2
	s_lshl_b64 s[10:11], s[10:11], 2
	v_lshl_add_u64 v[8:9], v[12:13], 2, s[12:13]
	s_branch .LBB477_3
.LBB477_2:                              ;   in Loop: Header=BB477_3 Depth=1
	s_add_co_i32 s2, s2, 0x10000
	s_delay_alu instid0(SALU_CYCLE_1)
	s_cmp_lt_i32 s2, s31
	s_cbranch_scc0 .LBB477_10
.LBB477_3:                              ; =>This Loop Header: Depth=1
                                        ;     Child Loop BB477_5 Depth 2
	s_wait_xcnt 0xa
	v_dual_mov_b32 v21, 0 :: v_dual_mov_b32 v20, 0
	s_wait_xcnt 0x7
	v_dual_mov_b32 v19, 0 :: v_dual_mov_b32 v18, 0
	;; [unrolled: 2-line block ×3, first 2 shown]
	v_dual_mov_b32 v24, 0 :: v_dual_mov_b32 v23, 0
	v_dual_mov_b32 v22, 0 :: v_dual_mov_b32 v26, 0
	s_wait_xcnt 0x0
	v_dual_mov_b32 v25, 0 :: v_dual_mov_b32 v32, 0
	v_dual_mov_b32 v31, 0 :: v_dual_mov_b32 v29, 0
	;; [unrolled: 1-line block ×3, first 2 shown]
	s_and_b32 vcc_lo, exec_lo, s0
	s_cbranch_vccnz .LBB477_6
; %bb.4:                                ;   in Loop: Header=BB477_3 Depth=1
	v_mad_nc_u64_u32 v[10:11], s22, s2, v[2:3]
	v_mad_nc_u64_u32 v[12:13], s8, s2, v[4:5]
	v_dual_mov_b32 v27, 0 :: v_dual_mov_b32 v28, 0
	v_dual_mov_b32 v29, 0 :: v_dual_mov_b32 v31, 0
	;; [unrolled: 1-line block ×5, first 2 shown]
	v_mad_u32 v11, s23, s2, v11
	v_mad_u32 v13, s9, s2, v13
	v_dual_mov_b32 v30, 0 :: v_dual_mov_b32 v33, 0
	v_dual_mov_b32 v18, 0 :: v_dual_mov_b32 v19, 0
	;; [unrolled: 1-line block ×3, first 2 shown]
	s_mov_b64 s[12:13], 0
.LBB477_5:                              ;   Parent Loop BB477_3 Depth=1
                                        ; =>  This Inner Loop Header: Depth=2
	s_delay_alu instid0(VALU_DEP_4) | instid1(SALU_CYCLE_1)
	v_add_nc_u64_e32 v[34:35], s[12:13], v[12:13]
	s_add_nc_u64 s[12:13], s[12:13], 4
	s_delay_alu instid0(SALU_CYCLE_1)
	v_cmp_lt_i64_e64 s14, s[12:13], s[28:29]
	global_load_i8 v34, v[34:35], off
	s_and_b32 vcc_lo, exec_lo, s14
	s_wait_loadcnt 0x0
	ds_store_b32 v14, v34
	global_load_i8 v34, v[10:11], off
	s_wait_xcnt 0x0
	v_add_nc_u64_e32 v[10:11], s[6:7], v[10:11]
	s_wait_loadcnt 0x0
	ds_store_b32 v15, v34
	s_wait_dscnt 0x0
	s_barrier_signal -1
	s_barrier_wait -1
	ds_load_2addr_b32 v[46:47], v16 offset1:16
	ds_load_2addr_b32 v[48:49], v16 offset0:32 offset1:48
	ds_load_2addr_b32 v[50:51], v16 offset0:64 offset1:80
	;; [unrolled: 1-line block ×7, first 2 shown]
	ds_load_b128 v[34:37], v17 offset:512
	ds_load_b128 v[38:41], v17 offset:768
	ds_load_b128 v[42:45], v17
	s_wait_dscnt 0x2
	v_mad_u32 v31, v34, v48, v31
	s_wait_dscnt 0x1
	v_mad_u32 v30, v38, v46, v30
	v_mad_u32 v29, v38, v47, v29
	;; [unrolled: 1-line block ×7, first 2 shown]
	s_wait_dscnt 0x0
	v_mad_u32 v24, v42, v46, v24
	v_mad_u32 v23, v42, v47, v23
	;; [unrolled: 1-line block ×18, first 2 shown]
	ds_load_b128 v[28:31], v17 offset:256
	v_mad_u32 v22, v43, v52, v22
	v_mad_u32 v21, v43, v53, v21
	v_mad_u32 v32, v36, v55, v32
	v_mad_u32 v33, v36, v57, v33
	v_mad_u32 v27, v40, v57, v27
	v_mad_u32 v18, v36, v54, v18
	s_wait_dscnt 0x0
	s_barrier_signal -1
	s_barrier_wait -1
	v_mad_u32 v24, v44, v54, v24
	v_mad_u32 v23, v44, v55, v23
	;; [unrolled: 1-line block ×32, first 2 shown]
	s_cbranch_vccnz .LBB477_5
.LBB477_6:                              ;   in Loop: Header=BB477_3 Depth=1
	s_mul_u64 s[12:13], s[26:27], s[2:3]
	v_mul_lo_u32 v24, v24, s30
	s_lshl_b64 s[12:13], s[12:13], 2
	v_mul_lo_u32 v23, v23, s30
	s_add_nc_u64 s[12:13], s[18:19], s[12:13]
	v_mul_lo_u32 v34, v22, s30
	v_lshl_add_u64 v[12:13], v[0:1], 2, s[12:13]
	v_mul_lo_u32 v35, v21, s30
	v_mul_lo_u32 v20, v20, s30
	;; [unrolled: 1-line block ×13, first 2 shown]
	v_add_nc_u64_e32 v[10:11], v[12:13], v[6:7]
	v_add_nc_u64_e32 v[12:13], s[10:11], v[12:13]
	s_and_not1_b32 vcc_lo, exec_lo, s1
	s_cbranch_vccnz .LBB477_8
; %bb.7:                                ;   in Loop: Header=BB477_3 Depth=1
	s_mul_u64 s[12:13], s[16:17], s[2:3]
	s_delay_alu instid0(SALU_CYCLE_1) | instskip(NEXT) | instid1(VALU_DEP_1)
	v_lshl_add_u64 v[32:33], s[12:13], 2, v[8:9]
	v_add_nc_u64_e32 v[36:37], v[32:33], v[6:7]
	v_add_nc_u64_e32 v[32:33], s[4:5], v[32:33]
	global_load_b32 v38, v[36:37], off
	s_wait_loadcnt 0x0
	v_mad_u32 v38, v38, s33, v24
	global_store_b32 v[10:11], v38, off
	global_load_b32 v38, v[36:37], off offset:64
	s_wait_loadcnt 0x0
	v_mad_u32 v38, v38, s33, v23
	global_store_b32 v[10:11], v38, off offset:64
	global_load_b32 v38, v[36:37], off offset:128
	s_wait_loadcnt 0x0
	v_mad_u32 v38, v38, s33, v34
	global_store_b32 v[10:11], v38, off offset:128
	global_load_b32 v36, v[36:37], off offset:192
	s_wait_loadcnt 0x0
	s_wait_xcnt 0x1
	v_mad_u32 v38, v36, s33, v35
	s_wait_xcnt 0x0
	v_add_nc_u64_e32 v[36:37], v[32:33], v[6:7]
	v_add_nc_u64_e32 v[32:33], s[4:5], v[32:33]
	global_store_b32 v[10:11], v38, off offset:192
	global_load_b32 v38, v[36:37], off
	s_wait_loadcnt 0x0
	v_mad_u32 v40, v38, s33, v20
	v_add_nc_u64_e32 v[38:39], v[12:13], v[6:7]
	global_store_b32 v[38:39], v40, off
	global_load_b32 v40, v[36:37], off offset:64
	s_wait_loadcnt 0x0
	v_mad_u32 v40, v40, s33, v21
	global_store_b32 v[38:39], v40, off offset:64
	global_load_b32 v40, v[36:37], off offset:128
	s_wait_loadcnt 0x0
	v_mad_u32 v40, v40, s33, v22
	global_store_b32 v[38:39], v40, off offset:128
	global_load_b32 v36, v[36:37], off offset:192
	s_wait_loadcnt 0x0
	s_wait_xcnt 0x1
	v_mad_u32 v40, v36, s33, v19
	s_wait_xcnt 0x0
	v_add_nc_u64_e32 v[36:37], v[32:33], v[6:7]
	v_add_nc_u64_e32 v[32:33], s[4:5], v[32:33]
	s_delay_alu instid0(VALU_DEP_1)
	v_add_nc_u64_e32 v[32:33], v[32:33], v[6:7]
	global_store_b32 v[38:39], v40, off offset:192
	global_load_b32 v40, v[36:37], off
	v_add_nc_u64_e32 v[38:39], s[10:11], v[12:13]
	s_wait_loadcnt 0x0
	v_mad_u32 v42, v40, s33, v18
	s_delay_alu instid0(VALU_DEP_2)
	v_add_nc_u64_e32 v[40:41], v[38:39], v[6:7]
	global_store_b32 v[40:41], v42, off
	global_load_b32 v42, v[36:37], off offset:64
	s_wait_loadcnt 0x0
	v_mad_u32 v42, v42, s33, v25
	global_store_b32 v[40:41], v42, off offset:64
	global_load_b32 v42, v[36:37], off offset:128
	s_wait_loadcnt 0x0
	v_mad_u32 v42, v42, s33, v26
	global_store_b32 v[40:41], v42, off offset:128
	global_load_b32 v36, v[36:37], off offset:192
	s_wait_loadcnt 0x0
	s_wait_xcnt 0x0
	v_mad_u32 v36, v36, s33, v31
	global_store_b32 v[40:41], v36, off offset:192
	global_load_b32 v40, v[32:33], off
	v_add_nc_u64_e32 v[36:37], s[10:11], v[38:39]
	s_delay_alu instid0(VALU_DEP_1)
	v_add_nc_u64_e32 v[36:37], v[36:37], v[6:7]
	s_wait_loadcnt 0x0
	v_mad_u32 v38, v40, s33, v30
	global_store_b32 v[36:37], v38, off
	global_load_b32 v38, v[32:33], off offset:64
	s_wait_loadcnt 0x0
	v_mad_u32 v38, v38, s33, v29
	global_store_b32 v[36:37], v38, off offset:64
	global_load_b32 v38, v[32:33], off offset:128
	s_wait_loadcnt 0x0
	v_mad_u32 v38, v38, s33, v28
	global_store_b32 v[36:37], v38, off offset:128
	global_load_b32 v32, v[32:33], off offset:192
	s_wait_loadcnt 0x0
	s_wait_xcnt 0x0
	v_mad_u32 v32, v32, s33, v27
	global_store_b32 v[36:37], v32, off offset:192
	s_cbranch_execnz .LBB477_2
	s_branch .LBB477_9
.LBB477_8:                              ;   in Loop: Header=BB477_3 Depth=1
.LBB477_9:                              ;   in Loop: Header=BB477_3 Depth=1
	s_wait_xcnt 0x0
	s_delay_alu instid0(VALU_DEP_1)
	v_add_nc_u64_e32 v[32:33], s[10:11], v[12:13]
	v_add_nc_u64_e32 v[12:13], v[12:13], v[6:7]
	s_clause 0x3
	global_store_b32 v[10:11], v24, off
	global_store_b32 v[10:11], v23, off offset:64
	global_store_b32 v[10:11], v34, off offset:128
	;; [unrolled: 1-line block ×3, first 2 shown]
	v_add_nc_u64_e32 v[36:37], s[10:11], v[32:33]
	v_add_nc_u64_e32 v[32:33], v[32:33], v[6:7]
	s_wait_xcnt 0x0
	s_delay_alu instid0(VALU_DEP_2)
	v_add_nc_u64_e32 v[10:11], v[36:37], v[6:7]
	s_clause 0xb
	global_store_b32 v[12:13], v20, off
	global_store_b32 v[12:13], v21, off offset:64
	global_store_b32 v[12:13], v22, off offset:128
	global_store_b32 v[12:13], v19, off offset:192
	global_store_b32 v[32:33], v18, off
	global_store_b32 v[32:33], v25, off offset:64
	global_store_b32 v[32:33], v26, off offset:128
	global_store_b32 v[32:33], v31, off offset:192
	;; [unrolled: 4-line block ×3, first 2 shown]
	s_branch .LBB477_2
.LBB477_10:
	s_endpgm
	.section	.rodata,"a",@progbits
	.p2align	6, 0x0
	.amdhsa_kernel _ZN12_GLOBAL__N_127rocblas_gemm_batched_kernelIiLi16ELi16ELi64ELi64ELi4ELi64ELi4ELi4ELi64ELc67ELc67EKaKiiEEvlllT_PT11_llS5_llS3_PT12_llPT13_lli
		.amdhsa_group_segment_fixed_size 2048
		.amdhsa_private_segment_fixed_size 0
		.amdhsa_kernarg_size 140
		.amdhsa_user_sgpr_count 2
		.amdhsa_user_sgpr_dispatch_ptr 0
		.amdhsa_user_sgpr_queue_ptr 0
		.amdhsa_user_sgpr_kernarg_segment_ptr 1
		.amdhsa_user_sgpr_dispatch_id 0
		.amdhsa_user_sgpr_kernarg_preload_length 0
		.amdhsa_user_sgpr_kernarg_preload_offset 0
		.amdhsa_user_sgpr_private_segment_size 0
		.amdhsa_wavefront_size32 1
		.amdhsa_uses_dynamic_stack 0
		.amdhsa_enable_private_segment 0
		.amdhsa_system_sgpr_workgroup_id_x 1
		.amdhsa_system_sgpr_workgroup_id_y 1
		.amdhsa_system_sgpr_workgroup_id_z 1
		.amdhsa_system_sgpr_workgroup_info 0
		.amdhsa_system_vgpr_workitem_id 1
		.amdhsa_next_free_vgpr 64
		.amdhsa_next_free_sgpr 38
		.amdhsa_named_barrier_count 0
		.amdhsa_reserve_vcc 1
		.amdhsa_float_round_mode_32 0
		.amdhsa_float_round_mode_16_64 0
		.amdhsa_float_denorm_mode_32 3
		.amdhsa_float_denorm_mode_16_64 3
		.amdhsa_fp16_overflow 0
		.amdhsa_memory_ordered 1
		.amdhsa_forward_progress 1
		.amdhsa_inst_pref_size 20
		.amdhsa_round_robin_scheduling 0
		.amdhsa_exception_fp_ieee_invalid_op 0
		.amdhsa_exception_fp_denorm_src 0
		.amdhsa_exception_fp_ieee_div_zero 0
		.amdhsa_exception_fp_ieee_overflow 0
		.amdhsa_exception_fp_ieee_underflow 0
		.amdhsa_exception_fp_ieee_inexact 0
		.amdhsa_exception_int_div_zero 0
	.end_amdhsa_kernel
	.section	.text._ZN12_GLOBAL__N_127rocblas_gemm_batched_kernelIiLi16ELi16ELi64ELi64ELi4ELi64ELi4ELi4ELi64ELc67ELc67EKaKiiEEvlllT_PT11_llS5_llS3_PT12_llPT13_lli,"axG",@progbits,_ZN12_GLOBAL__N_127rocblas_gemm_batched_kernelIiLi16ELi16ELi64ELi64ELi4ELi64ELi4ELi4ELi64ELc67ELc67EKaKiiEEvlllT_PT11_llS5_llS3_PT12_llPT13_lli,comdat
.Lfunc_end477:
	.size	_ZN12_GLOBAL__N_127rocblas_gemm_batched_kernelIiLi16ELi16ELi64ELi64ELi4ELi64ELi4ELi4ELi64ELc67ELc67EKaKiiEEvlllT_PT11_llS5_llS3_PT12_llPT13_lli, .Lfunc_end477-_ZN12_GLOBAL__N_127rocblas_gemm_batched_kernelIiLi16ELi16ELi64ELi64ELi4ELi64ELi4ELi4ELi64ELc67ELc67EKaKiiEEvlllT_PT11_llS5_llS3_PT12_llPT13_lli
                                        ; -- End function
	.set _ZN12_GLOBAL__N_127rocblas_gemm_batched_kernelIiLi16ELi16ELi64ELi64ELi4ELi64ELi4ELi4ELi64ELc67ELc67EKaKiiEEvlllT_PT11_llS5_llS3_PT12_llPT13_lli.num_vgpr, 64
	.set _ZN12_GLOBAL__N_127rocblas_gemm_batched_kernelIiLi16ELi16ELi64ELi64ELi4ELi64ELi4ELi4ELi64ELc67ELc67EKaKiiEEvlllT_PT11_llS5_llS3_PT12_llPT13_lli.num_agpr, 0
	.set _ZN12_GLOBAL__N_127rocblas_gemm_batched_kernelIiLi16ELi16ELi64ELi64ELi4ELi64ELi4ELi4ELi64ELc67ELc67EKaKiiEEvlllT_PT11_llS5_llS3_PT12_llPT13_lli.numbered_sgpr, 38
	.set _ZN12_GLOBAL__N_127rocblas_gemm_batched_kernelIiLi16ELi16ELi64ELi64ELi4ELi64ELi4ELi4ELi64ELc67ELc67EKaKiiEEvlllT_PT11_llS5_llS3_PT12_llPT13_lli.num_named_barrier, 0
	.set _ZN12_GLOBAL__N_127rocblas_gemm_batched_kernelIiLi16ELi16ELi64ELi64ELi4ELi64ELi4ELi4ELi64ELc67ELc67EKaKiiEEvlllT_PT11_llS5_llS3_PT12_llPT13_lli.private_seg_size, 0
	.set _ZN12_GLOBAL__N_127rocblas_gemm_batched_kernelIiLi16ELi16ELi64ELi64ELi4ELi64ELi4ELi4ELi64ELc67ELc67EKaKiiEEvlllT_PT11_llS5_llS3_PT12_llPT13_lli.uses_vcc, 1
	.set _ZN12_GLOBAL__N_127rocblas_gemm_batched_kernelIiLi16ELi16ELi64ELi64ELi4ELi64ELi4ELi4ELi64ELc67ELc67EKaKiiEEvlllT_PT11_llS5_llS3_PT12_llPT13_lli.uses_flat_scratch, 0
	.set _ZN12_GLOBAL__N_127rocblas_gemm_batched_kernelIiLi16ELi16ELi64ELi64ELi4ELi64ELi4ELi4ELi64ELc67ELc67EKaKiiEEvlllT_PT11_llS5_llS3_PT12_llPT13_lli.has_dyn_sized_stack, 0
	.set _ZN12_GLOBAL__N_127rocblas_gemm_batched_kernelIiLi16ELi16ELi64ELi64ELi4ELi64ELi4ELi4ELi64ELc67ELc67EKaKiiEEvlllT_PT11_llS5_llS3_PT12_llPT13_lli.has_recursion, 0
	.set _ZN12_GLOBAL__N_127rocblas_gemm_batched_kernelIiLi16ELi16ELi64ELi64ELi4ELi64ELi4ELi4ELi64ELc67ELc67EKaKiiEEvlllT_PT11_llS5_llS3_PT12_llPT13_lli.has_indirect_call, 0
	.section	.AMDGPU.csdata,"",@progbits
; Kernel info:
; codeLenInByte = 2544
; TotalNumSgprs: 40
; NumVgprs: 64
; ScratchSize: 0
; MemoryBound: 0
; FloatMode: 240
; IeeeMode: 1
; LDSByteSize: 2048 bytes/workgroup (compile time only)
; SGPRBlocks: 0
; VGPRBlocks: 3
; NumSGPRsForWavesPerEU: 40
; NumVGPRsForWavesPerEU: 64
; NamedBarCnt: 0
; Occupancy: 16
; WaveLimiterHint : 0
; COMPUTE_PGM_RSRC2:SCRATCH_EN: 0
; COMPUTE_PGM_RSRC2:USER_SGPR: 2
; COMPUTE_PGM_RSRC2:TRAP_HANDLER: 0
; COMPUTE_PGM_RSRC2:TGID_X_EN: 1
; COMPUTE_PGM_RSRC2:TGID_Y_EN: 1
; COMPUTE_PGM_RSRC2:TGID_Z_EN: 1
; COMPUTE_PGM_RSRC2:TIDIG_COMP_CNT: 1
	.section	.text._ZN12_GLOBAL__N_127rocblas_gemm_batched_kernelIiLi16ELi16ELi64ELi64ELi4ELi64ELi4ELi4ELi64ELc67ELc78EKaKiiEEvlllT_PT11_llS5_llS3_PT12_llPT13_lli,"axG",@progbits,_ZN12_GLOBAL__N_127rocblas_gemm_batched_kernelIiLi16ELi16ELi64ELi64ELi4ELi64ELi4ELi4ELi64ELc67ELc78EKaKiiEEvlllT_PT11_llS5_llS3_PT12_llPT13_lli,comdat
	.globl	_ZN12_GLOBAL__N_127rocblas_gemm_batched_kernelIiLi16ELi16ELi64ELi64ELi4ELi64ELi4ELi4ELi64ELc67ELc78EKaKiiEEvlllT_PT11_llS5_llS3_PT12_llPT13_lli ; -- Begin function _ZN12_GLOBAL__N_127rocblas_gemm_batched_kernelIiLi16ELi16ELi64ELi64ELi4ELi64ELi4ELi4ELi64ELc67ELc78EKaKiiEEvlllT_PT11_llS5_llS3_PT12_llPT13_lli
	.p2align	8
	.type	_ZN12_GLOBAL__N_127rocblas_gemm_batched_kernelIiLi16ELi16ELi64ELi64ELi4ELi64ELi4ELi4ELi64ELc67ELc78EKaKiiEEvlllT_PT11_llS5_llS3_PT12_llPT13_lli,@function
_ZN12_GLOBAL__N_127rocblas_gemm_batched_kernelIiLi16ELi16ELi64ELi64ELi4ELi64ELi4ELi4ELi64ELc67ELc78EKaKiiEEvlllT_PT11_llS5_llS3_PT12_llPT13_lli: ; @_ZN12_GLOBAL__N_127rocblas_gemm_batched_kernelIiLi16ELi16ELi64ELi64ELi4ELi64ELi4ELi4ELi64ELc67ELc78EKaKiiEEvlllT_PT11_llS5_llS3_PT12_llPT13_lli
; %bb.0:
	s_load_b32 s31, s[0:1], 0x88
	s_bfe_u32 s2, ttmp6, 0x40014
	s_lshr_b32 s3, ttmp7, 16
	s_add_co_i32 s2, s2, 1
	s_bfe_u32 s4, ttmp6, 0x40008
	s_mul_i32 s2, s3, s2
	s_getreg_b32 s28, hwreg(HW_REG_IB_STS2, 6, 4)
	s_add_co_i32 s4, s4, s2
	s_cmp_eq_u32 s28, 0
	s_cselect_b32 s2, s3, s4
	s_mov_b32 s3, 0
	s_wait_kmcnt 0x0
	s_cmp_ge_i32 s2, s31
	s_cbranch_scc1 .LBB478_10
; %bb.1:
	v_bfe_u32 v2, v0, 10, 10
	v_and_b32_e32 v4, 0x3ff, v0
	s_load_b256 s[4:11], s[0:1], 0x20
	s_bfe_u32 s30, ttmp6, 0x4000c
	s_bfe_u32 s33, ttmp6, 0x40010
	v_dual_lshlrev_b32 v17, 4, v2 :: v_dual_mov_b32 v3, 0
	s_clause 0x2
	s_load_b128 s[20:23], s[0:1], 0x40
	s_load_b128 s[24:27], s[0:1], 0x78
	s_load_b256 s[12:19], s[0:1], 0x58
	s_add_co_i32 s30, s30, 1
	s_and_b32 s34, ttmp7, 0xffff
	s_add_co_i32 s33, s33, 1
	v_dual_add_nc_u32 v1, v17, v4 :: v_dual_mov_b32 v9, v3
	s_and_b32 s29, ttmp6, 15
	s_mul_i32 s30, ttmp9, s30
	s_mul_i32 s33, s34, s33
	s_bfe_u32 s35, ttmp6, 0x40004
	s_add_co_i32 s29, s29, s30
	s_add_co_i32 s35, s35, s33
	s_cmp_eq_u32 s28, 0
	v_dual_lshrrev_b32 v10, 2, v1 :: v_dual_bitop2_b32 v5, 63, v1 bitop3:0x40
	v_dual_mov_b32 v11, v3 :: v_dual_mov_b32 v7, v3
	s_cselect_b32 s30, s34, s35
	s_cselect_b32 s28, ttmp9, s29
	s_lshl_b32 s34, s30, 6
	s_mov_b32 s35, s3
	s_ashr_i32 s29, s28, 31
	v_add_nc_u64_e32 v[12:13], s[34:35], v[10:11]
	s_lshl_b64 s[36:37], s[28:29], 6
	v_dual_lshrrev_b32 v8, 6, v1 :: v_dual_bitop2_b32 v6, 3, v0 bitop3:0x40
	v_or_b32_e32 v11, s36, v5
	v_add_nc_u64_e32 v[0:1], s[34:35], v[2:3]
	s_load_b96 s[28:30], s[0:1], 0x10
	s_wait_kmcnt 0x0
	v_mad_nc_u64_u32 v[18:19], s20, v12, v[6:7]
	v_lshlrev_b32_e32 v6, 2, v6
	v_mad_nc_u64_u32 v[20:21], s6, v11, v[8:9]
	s_load_b32 s33, s[0:1], 0x50
	v_dual_lshlrev_b32 v9, 2, v5 :: v_dual_mov_b32 v5, v3
	v_mul_u64_e32 v[22:23], s[14:15], v[0:1]
	v_mul_u64_e32 v[0:1], s[24:25], v[0:1]
	v_lshl_or_b32 v6, v10, 4, v6
	v_lshlrev_b32_e32 v16, 2, v4
	v_lshl_or_b32 v14, v8, 8, v9
	v_mad_u32 v2, s21, v12, v19
	v_add_nc_u32_e32 v17, 0x400, v17
	v_mad_u32 v7, s7, v11, v21
	v_add_nc_u32_e32 v15, 0x400, v6
	s_wait_xcnt 0x0
	v_cmp_gt_i64_e64 s0, s[28:29], 0
	v_mad_u32 v19, s20, v13, v2
	s_wait_kmcnt 0x0
	s_cmp_lg_u32 s33, 0
	v_mad_u32 v21, s6, s37, v7
	v_add_nc_u64_e32 v[6:7], s[36:37], v[4:5]
	v_cndmask_b32_e64 v10, 0, 1, s0
	s_cselect_b32 s1, -1, 0
	s_lshl_b64 s[6:7], s[14:15], 4
	s_delay_alu instid0(VALU_DEP_1) | instskip(NEXT) | instid1(VALU_DEP_3)
	v_cmp_ne_u32_e64 s0, 1, v10
	v_lshlrev_b64_e32 v[6:7], 2, v[6:7]
	v_add_nc_u64_e32 v[2:3], s[10:11], v[18:19]
	s_lshl_b64 s[10:11], s[24:25], 4
	v_add_nc_u64_e32 v[4:5], s[4:5], v[20:21]
	s_lshl_b64 s[4:5], s[6:7], 2
	s_lshl_b64 s[6:7], s[10:11], 2
	v_lshl_add_u64 v[8:9], v[22:23], 2, s[12:13]
	s_branch .LBB478_3
.LBB478_2:                              ;   in Loop: Header=BB478_3 Depth=1
	s_add_co_i32 s2, s2, 0x10000
	s_delay_alu instid0(SALU_CYCLE_1)
	s_cmp_lt_i32 s2, s31
	s_cbranch_scc0 .LBB478_10
.LBB478_3:                              ; =>This Loop Header: Depth=1
                                        ;     Child Loop BB478_5 Depth 2
	s_wait_xcnt 0xa
	v_dual_mov_b32 v21, 0 :: v_dual_mov_b32 v20, 0
	s_wait_xcnt 0x7
	v_dual_mov_b32 v19, 0 :: v_dual_mov_b32 v18, 0
	;; [unrolled: 2-line block ×3, first 2 shown]
	v_dual_mov_b32 v24, 0 :: v_dual_mov_b32 v23, 0
	v_dual_mov_b32 v22, 0 :: v_dual_mov_b32 v26, 0
	s_wait_xcnt 0x0
	v_dual_mov_b32 v25, 0 :: v_dual_mov_b32 v32, 0
	v_dual_mov_b32 v31, 0 :: v_dual_mov_b32 v29, 0
	;; [unrolled: 1-line block ×3, first 2 shown]
	s_and_b32 vcc_lo, exec_lo, s0
	s_cbranch_vccnz .LBB478_6
; %bb.4:                                ;   in Loop: Header=BB478_3 Depth=1
	v_mad_nc_u64_u32 v[10:11], s22, s2, v[2:3]
	v_mad_nc_u64_u32 v[12:13], s8, s2, v[4:5]
	v_dual_mov_b32 v27, 0 :: v_dual_mov_b32 v28, 0
	v_dual_mov_b32 v29, 0 :: v_dual_mov_b32 v31, 0
	;; [unrolled: 1-line block ×5, first 2 shown]
	v_mad_u32 v11, s23, s2, v11
	v_mad_u32 v13, s9, s2, v13
	v_dual_mov_b32 v30, 0 :: v_dual_mov_b32 v33, 0
	v_dual_mov_b32 v18, 0 :: v_dual_mov_b32 v19, 0
	;; [unrolled: 1-line block ×3, first 2 shown]
	s_mov_b64 s[10:11], 0
.LBB478_5:                              ;   Parent Loop BB478_3 Depth=1
                                        ; =>  This Inner Loop Header: Depth=2
	s_delay_alu instid0(VALU_DEP_4) | instid1(SALU_CYCLE_1)
	v_add_nc_u64_e32 v[34:35], s[10:11], v[12:13]
	global_load_i8 v34, v[34:35], off
	s_wait_loadcnt 0x0
	ds_store_b32 v14, v34
	s_wait_xcnt 0x0
	v_add_nc_u64_e32 v[34:35], s[10:11], v[10:11]
	s_add_nc_u64 s[10:11], s[10:11], 4
	s_delay_alu instid0(SALU_CYCLE_1)
	v_cmp_lt_i64_e64 s12, s[10:11], s[28:29]
	global_load_i8 v34, v[34:35], off
	s_and_b32 vcc_lo, exec_lo, s12
	s_wait_loadcnt 0x0
	ds_store_b32 v15, v34
	s_wait_dscnt 0x0
	s_barrier_signal -1
	s_barrier_wait -1
	ds_load_2addr_b32 v[46:47], v16 offset1:16
	ds_load_2addr_b32 v[48:49], v16 offset0:32 offset1:48
	ds_load_2addr_b32 v[50:51], v16 offset0:64 offset1:80
	;; [unrolled: 1-line block ×7, first 2 shown]
	s_wait_xcnt 0x0
	ds_load_b128 v[34:37], v17 offset:512
	ds_load_b128 v[38:41], v17 offset:768
	ds_load_b128 v[42:45], v17
	s_wait_dscnt 0x2
	v_mad_u32 v31, v34, v48, v31
	s_wait_dscnt 0x1
	v_mad_u32 v30, v38, v46, v30
	v_mad_u32 v29, v38, v47, v29
	;; [unrolled: 1-line block ×7, first 2 shown]
	s_wait_dscnt 0x0
	v_mad_u32 v24, v42, v46, v24
	v_mad_u32 v23, v42, v47, v23
	;; [unrolled: 1-line block ×18, first 2 shown]
	ds_load_b128 v[28:31], v17 offset:256
	v_mad_u32 v22, v43, v52, v22
	v_mad_u32 v21, v43, v53, v21
	;; [unrolled: 1-line block ×6, first 2 shown]
	s_wait_dscnt 0x0
	s_barrier_signal -1
	s_barrier_wait -1
	v_mad_u32 v24, v44, v54, v24
	v_mad_u32 v23, v44, v55, v23
	;; [unrolled: 1-line block ×32, first 2 shown]
	s_cbranch_vccnz .LBB478_5
.LBB478_6:                              ;   in Loop: Header=BB478_3 Depth=1
	s_mul_u64 s[10:11], s[26:27], s[2:3]
	v_mul_lo_u32 v24, v24, s30
	s_lshl_b64 s[10:11], s[10:11], 2
	v_mul_lo_u32 v23, v23, s30
	s_add_nc_u64 s[10:11], s[18:19], s[10:11]
	v_mul_lo_u32 v34, v22, s30
	v_lshl_add_u64 v[12:13], v[0:1], 2, s[10:11]
	v_mul_lo_u32 v35, v21, s30
	v_mul_lo_u32 v20, v20, s30
	;; [unrolled: 1-line block ×13, first 2 shown]
	v_add_nc_u64_e32 v[10:11], v[12:13], v[6:7]
	v_add_nc_u64_e32 v[12:13], s[6:7], v[12:13]
	s_and_not1_b32 vcc_lo, exec_lo, s1
	s_cbranch_vccnz .LBB478_8
; %bb.7:                                ;   in Loop: Header=BB478_3 Depth=1
	s_mul_u64 s[10:11], s[16:17], s[2:3]
	s_delay_alu instid0(SALU_CYCLE_1) | instskip(NEXT) | instid1(VALU_DEP_1)
	v_lshl_add_u64 v[32:33], s[10:11], 2, v[8:9]
	v_add_nc_u64_e32 v[36:37], v[32:33], v[6:7]
	v_add_nc_u64_e32 v[32:33], s[4:5], v[32:33]
	global_load_b32 v38, v[36:37], off
	s_wait_loadcnt 0x0
	v_mad_u32 v38, v38, s33, v24
	global_store_b32 v[10:11], v38, off
	global_load_b32 v38, v[36:37], off offset:64
	s_wait_loadcnt 0x0
	v_mad_u32 v38, v38, s33, v23
	global_store_b32 v[10:11], v38, off offset:64
	global_load_b32 v38, v[36:37], off offset:128
	s_wait_loadcnt 0x0
	v_mad_u32 v38, v38, s33, v34
	global_store_b32 v[10:11], v38, off offset:128
	global_load_b32 v36, v[36:37], off offset:192
	s_wait_loadcnt 0x0
	s_wait_xcnt 0x1
	v_mad_u32 v38, v36, s33, v35
	s_wait_xcnt 0x0
	v_add_nc_u64_e32 v[36:37], v[32:33], v[6:7]
	v_add_nc_u64_e32 v[32:33], s[4:5], v[32:33]
	global_store_b32 v[10:11], v38, off offset:192
	global_load_b32 v38, v[36:37], off
	s_wait_loadcnt 0x0
	v_mad_u32 v40, v38, s33, v20
	v_add_nc_u64_e32 v[38:39], v[12:13], v[6:7]
	global_store_b32 v[38:39], v40, off
	global_load_b32 v40, v[36:37], off offset:64
	s_wait_loadcnt 0x0
	v_mad_u32 v40, v40, s33, v21
	global_store_b32 v[38:39], v40, off offset:64
	global_load_b32 v40, v[36:37], off offset:128
	s_wait_loadcnt 0x0
	v_mad_u32 v40, v40, s33, v22
	global_store_b32 v[38:39], v40, off offset:128
	global_load_b32 v36, v[36:37], off offset:192
	s_wait_loadcnt 0x0
	s_wait_xcnt 0x1
	v_mad_u32 v40, v36, s33, v19
	s_wait_xcnt 0x0
	v_add_nc_u64_e32 v[36:37], v[32:33], v[6:7]
	v_add_nc_u64_e32 v[32:33], s[4:5], v[32:33]
	s_delay_alu instid0(VALU_DEP_1)
	v_add_nc_u64_e32 v[32:33], v[32:33], v[6:7]
	global_store_b32 v[38:39], v40, off offset:192
	global_load_b32 v40, v[36:37], off
	v_add_nc_u64_e32 v[38:39], s[6:7], v[12:13]
	s_wait_loadcnt 0x0
	v_mad_u32 v42, v40, s33, v18
	s_delay_alu instid0(VALU_DEP_2)
	v_add_nc_u64_e32 v[40:41], v[38:39], v[6:7]
	global_store_b32 v[40:41], v42, off
	global_load_b32 v42, v[36:37], off offset:64
	s_wait_loadcnt 0x0
	v_mad_u32 v42, v42, s33, v25
	global_store_b32 v[40:41], v42, off offset:64
	global_load_b32 v42, v[36:37], off offset:128
	s_wait_loadcnt 0x0
	v_mad_u32 v42, v42, s33, v26
	global_store_b32 v[40:41], v42, off offset:128
	global_load_b32 v36, v[36:37], off offset:192
	s_wait_loadcnt 0x0
	s_wait_xcnt 0x0
	v_mad_u32 v36, v36, s33, v31
	global_store_b32 v[40:41], v36, off offset:192
	global_load_b32 v40, v[32:33], off
	v_add_nc_u64_e32 v[36:37], s[6:7], v[38:39]
	s_delay_alu instid0(VALU_DEP_1)
	v_add_nc_u64_e32 v[36:37], v[36:37], v[6:7]
	s_wait_loadcnt 0x0
	v_mad_u32 v38, v40, s33, v30
	global_store_b32 v[36:37], v38, off
	global_load_b32 v38, v[32:33], off offset:64
	s_wait_loadcnt 0x0
	v_mad_u32 v38, v38, s33, v29
	global_store_b32 v[36:37], v38, off offset:64
	global_load_b32 v38, v[32:33], off offset:128
	s_wait_loadcnt 0x0
	v_mad_u32 v38, v38, s33, v28
	global_store_b32 v[36:37], v38, off offset:128
	global_load_b32 v32, v[32:33], off offset:192
	s_wait_loadcnt 0x0
	s_wait_xcnt 0x0
	v_mad_u32 v32, v32, s33, v27
	global_store_b32 v[36:37], v32, off offset:192
	s_cbranch_execnz .LBB478_2
	s_branch .LBB478_9
.LBB478_8:                              ;   in Loop: Header=BB478_3 Depth=1
.LBB478_9:                              ;   in Loop: Header=BB478_3 Depth=1
	s_wait_xcnt 0x0
	s_delay_alu instid0(VALU_DEP_1)
	v_add_nc_u64_e32 v[32:33], s[6:7], v[12:13]
	v_add_nc_u64_e32 v[12:13], v[12:13], v[6:7]
	s_clause 0x3
	global_store_b32 v[10:11], v24, off
	global_store_b32 v[10:11], v23, off offset:64
	global_store_b32 v[10:11], v34, off offset:128
	;; [unrolled: 1-line block ×3, first 2 shown]
	v_add_nc_u64_e32 v[36:37], s[6:7], v[32:33]
	v_add_nc_u64_e32 v[32:33], v[32:33], v[6:7]
	s_wait_xcnt 0x0
	s_delay_alu instid0(VALU_DEP_2)
	v_add_nc_u64_e32 v[10:11], v[36:37], v[6:7]
	s_clause 0xb
	global_store_b32 v[12:13], v20, off
	global_store_b32 v[12:13], v21, off offset:64
	global_store_b32 v[12:13], v22, off offset:128
	global_store_b32 v[12:13], v19, off offset:192
	global_store_b32 v[32:33], v18, off
	global_store_b32 v[32:33], v25, off offset:64
	global_store_b32 v[32:33], v26, off offset:128
	global_store_b32 v[32:33], v31, off offset:192
	;; [unrolled: 4-line block ×3, first 2 shown]
	s_branch .LBB478_2
.LBB478_10:
	s_endpgm
	.section	.rodata,"a",@progbits
	.p2align	6, 0x0
	.amdhsa_kernel _ZN12_GLOBAL__N_127rocblas_gemm_batched_kernelIiLi16ELi16ELi64ELi64ELi4ELi64ELi4ELi4ELi64ELc67ELc78EKaKiiEEvlllT_PT11_llS5_llS3_PT12_llPT13_lli
		.amdhsa_group_segment_fixed_size 2048
		.amdhsa_private_segment_fixed_size 0
		.amdhsa_kernarg_size 140
		.amdhsa_user_sgpr_count 2
		.amdhsa_user_sgpr_dispatch_ptr 0
		.amdhsa_user_sgpr_queue_ptr 0
		.amdhsa_user_sgpr_kernarg_segment_ptr 1
		.amdhsa_user_sgpr_dispatch_id 0
		.amdhsa_user_sgpr_kernarg_preload_length 0
		.amdhsa_user_sgpr_kernarg_preload_offset 0
		.amdhsa_user_sgpr_private_segment_size 0
		.amdhsa_wavefront_size32 1
		.amdhsa_uses_dynamic_stack 0
		.amdhsa_enable_private_segment 0
		.amdhsa_system_sgpr_workgroup_id_x 1
		.amdhsa_system_sgpr_workgroup_id_y 1
		.amdhsa_system_sgpr_workgroup_id_z 1
		.amdhsa_system_sgpr_workgroup_info 0
		.amdhsa_system_vgpr_workitem_id 1
		.amdhsa_next_free_vgpr 64
		.amdhsa_next_free_sgpr 38
		.amdhsa_named_barrier_count 0
		.amdhsa_reserve_vcc 1
		.amdhsa_float_round_mode_32 0
		.amdhsa_float_round_mode_16_64 0
		.amdhsa_float_denorm_mode_32 3
		.amdhsa_float_denorm_mode_16_64 3
		.amdhsa_fp16_overflow 0
		.amdhsa_memory_ordered 1
		.amdhsa_forward_progress 1
		.amdhsa_inst_pref_size 20
		.amdhsa_round_robin_scheduling 0
		.amdhsa_exception_fp_ieee_invalid_op 0
		.amdhsa_exception_fp_denorm_src 0
		.amdhsa_exception_fp_ieee_div_zero 0
		.amdhsa_exception_fp_ieee_overflow 0
		.amdhsa_exception_fp_ieee_underflow 0
		.amdhsa_exception_fp_ieee_inexact 0
		.amdhsa_exception_int_div_zero 0
	.end_amdhsa_kernel
	.section	.text._ZN12_GLOBAL__N_127rocblas_gemm_batched_kernelIiLi16ELi16ELi64ELi64ELi4ELi64ELi4ELi4ELi64ELc67ELc78EKaKiiEEvlllT_PT11_llS5_llS3_PT12_llPT13_lli,"axG",@progbits,_ZN12_GLOBAL__N_127rocblas_gemm_batched_kernelIiLi16ELi16ELi64ELi64ELi4ELi64ELi4ELi4ELi64ELc67ELc78EKaKiiEEvlllT_PT11_llS5_llS3_PT12_llPT13_lli,comdat
.Lfunc_end478:
	.size	_ZN12_GLOBAL__N_127rocblas_gemm_batched_kernelIiLi16ELi16ELi64ELi64ELi4ELi64ELi4ELi4ELi64ELc67ELc78EKaKiiEEvlllT_PT11_llS5_llS3_PT12_llPT13_lli, .Lfunc_end478-_ZN12_GLOBAL__N_127rocblas_gemm_batched_kernelIiLi16ELi16ELi64ELi64ELi4ELi64ELi4ELi4ELi64ELc67ELc78EKaKiiEEvlllT_PT11_llS5_llS3_PT12_llPT13_lli
                                        ; -- End function
	.set _ZN12_GLOBAL__N_127rocblas_gemm_batched_kernelIiLi16ELi16ELi64ELi64ELi4ELi64ELi4ELi4ELi64ELc67ELc78EKaKiiEEvlllT_PT11_llS5_llS3_PT12_llPT13_lli.num_vgpr, 64
	.set _ZN12_GLOBAL__N_127rocblas_gemm_batched_kernelIiLi16ELi16ELi64ELi64ELi4ELi64ELi4ELi4ELi64ELc67ELc78EKaKiiEEvlllT_PT11_llS5_llS3_PT12_llPT13_lli.num_agpr, 0
	.set _ZN12_GLOBAL__N_127rocblas_gemm_batched_kernelIiLi16ELi16ELi64ELi64ELi4ELi64ELi4ELi4ELi64ELc67ELc78EKaKiiEEvlllT_PT11_llS5_llS3_PT12_llPT13_lli.numbered_sgpr, 38
	.set _ZN12_GLOBAL__N_127rocblas_gemm_batched_kernelIiLi16ELi16ELi64ELi64ELi4ELi64ELi4ELi4ELi64ELc67ELc78EKaKiiEEvlllT_PT11_llS5_llS3_PT12_llPT13_lli.num_named_barrier, 0
	.set _ZN12_GLOBAL__N_127rocblas_gemm_batched_kernelIiLi16ELi16ELi64ELi64ELi4ELi64ELi4ELi4ELi64ELc67ELc78EKaKiiEEvlllT_PT11_llS5_llS3_PT12_llPT13_lli.private_seg_size, 0
	.set _ZN12_GLOBAL__N_127rocblas_gemm_batched_kernelIiLi16ELi16ELi64ELi64ELi4ELi64ELi4ELi4ELi64ELc67ELc78EKaKiiEEvlllT_PT11_llS5_llS3_PT12_llPT13_lli.uses_vcc, 1
	.set _ZN12_GLOBAL__N_127rocblas_gemm_batched_kernelIiLi16ELi16ELi64ELi64ELi4ELi64ELi4ELi4ELi64ELc67ELc78EKaKiiEEvlllT_PT11_llS5_llS3_PT12_llPT13_lli.uses_flat_scratch, 0
	.set _ZN12_GLOBAL__N_127rocblas_gemm_batched_kernelIiLi16ELi16ELi64ELi64ELi4ELi64ELi4ELi4ELi64ELc67ELc78EKaKiiEEvlllT_PT11_llS5_llS3_PT12_llPT13_lli.has_dyn_sized_stack, 0
	.set _ZN12_GLOBAL__N_127rocblas_gemm_batched_kernelIiLi16ELi16ELi64ELi64ELi4ELi64ELi4ELi4ELi64ELc67ELc78EKaKiiEEvlllT_PT11_llS5_llS3_PT12_llPT13_lli.has_recursion, 0
	.set _ZN12_GLOBAL__N_127rocblas_gemm_batched_kernelIiLi16ELi16ELi64ELi64ELi4ELi64ELi4ELi4ELi64ELc67ELc78EKaKiiEEvlllT_PT11_llS5_llS3_PT12_llPT13_lli.has_indirect_call, 0
	.section	.AMDGPU.csdata,"",@progbits
; Kernel info:
; codeLenInByte = 2548
; TotalNumSgprs: 40
; NumVgprs: 64
; ScratchSize: 0
; MemoryBound: 0
; FloatMode: 240
; IeeeMode: 1
; LDSByteSize: 2048 bytes/workgroup (compile time only)
; SGPRBlocks: 0
; VGPRBlocks: 3
; NumSGPRsForWavesPerEU: 40
; NumVGPRsForWavesPerEU: 64
; NamedBarCnt: 0
; Occupancy: 16
; WaveLimiterHint : 0
; COMPUTE_PGM_RSRC2:SCRATCH_EN: 0
; COMPUTE_PGM_RSRC2:USER_SGPR: 2
; COMPUTE_PGM_RSRC2:TRAP_HANDLER: 0
; COMPUTE_PGM_RSRC2:TGID_X_EN: 1
; COMPUTE_PGM_RSRC2:TGID_Y_EN: 1
; COMPUTE_PGM_RSRC2:TGID_Z_EN: 1
; COMPUTE_PGM_RSRC2:TIDIG_COMP_CNT: 1
	.section	.text._ZN12_GLOBAL__N_127rocblas_gemm_batched_kernelIiLi16ELi16ELi64ELi64ELi4ELi64ELi4ELi4ELi64ELc67ELc84EKaKiiEEvlllT_PT11_llS5_llS3_PT12_llPT13_lli,"axG",@progbits,_ZN12_GLOBAL__N_127rocblas_gemm_batched_kernelIiLi16ELi16ELi64ELi64ELi4ELi64ELi4ELi4ELi64ELc67ELc84EKaKiiEEvlllT_PT11_llS5_llS3_PT12_llPT13_lli,comdat
	.globl	_ZN12_GLOBAL__N_127rocblas_gemm_batched_kernelIiLi16ELi16ELi64ELi64ELi4ELi64ELi4ELi4ELi64ELc67ELc84EKaKiiEEvlllT_PT11_llS5_llS3_PT12_llPT13_lli ; -- Begin function _ZN12_GLOBAL__N_127rocblas_gemm_batched_kernelIiLi16ELi16ELi64ELi64ELi4ELi64ELi4ELi4ELi64ELc67ELc84EKaKiiEEvlllT_PT11_llS5_llS3_PT12_llPT13_lli
	.p2align	8
	.type	_ZN12_GLOBAL__N_127rocblas_gemm_batched_kernelIiLi16ELi16ELi64ELi64ELi4ELi64ELi4ELi4ELi64ELc67ELc84EKaKiiEEvlllT_PT11_llS5_llS3_PT12_llPT13_lli,@function
_ZN12_GLOBAL__N_127rocblas_gemm_batched_kernelIiLi16ELi16ELi64ELi64ELi4ELi64ELi4ELi4ELi64ELc67ELc84EKaKiiEEvlllT_PT11_llS5_llS3_PT12_llPT13_lli: ; @_ZN12_GLOBAL__N_127rocblas_gemm_batched_kernelIiLi16ELi16ELi64ELi64ELi4ELi64ELi4ELi4ELi64ELc67ELc84EKaKiiEEvlllT_PT11_llS5_llS3_PT12_llPT13_lli
; %bb.0:
	s_load_b32 s31, s[0:1], 0x88
	s_bfe_u32 s2, ttmp6, 0x40014
	s_lshr_b32 s3, ttmp7, 16
	s_add_co_i32 s2, s2, 1
	s_bfe_u32 s4, ttmp6, 0x40008
	s_mul_i32 s2, s3, s2
	s_getreg_b32 s28, hwreg(HW_REG_IB_STS2, 6, 4)
	s_add_co_i32 s4, s4, s2
	s_cmp_eq_u32 s28, 0
	s_cselect_b32 s2, s3, s4
	s_mov_b32 s3, 0
	s_wait_kmcnt 0x0
	s_cmp_ge_i32 s2, s31
	s_cbranch_scc1 .LBB479_10
; %bb.1:
	v_bfe_u32 v2, v0, 10, 10
	v_and_b32_e32 v4, 0x3ff, v0
	s_bfe_u32 s30, ttmp6, 0x4000c
	s_bfe_u32 s34, ttmp6, 0x40010
	s_clause 0x2
	s_load_b256 s[4:11], s[0:1], 0x20
	s_load_b128 s[20:23], s[0:1], 0x40
	s_load_b128 s[24:27], s[0:1], 0x78
	v_dual_lshlrev_b32 v17, 4, v2 :: v_dual_mov_b32 v3, 0
	s_and_b32 s33, ttmp7, 0xffff
	s_add_co_i32 s30, s30, 1
	s_add_co_i32 s34, s34, 1
	s_load_b256 s[12:19], s[0:1], 0x58
	s_and_b32 s29, ttmp6, 15
	s_mul_i32 s30, ttmp9, s30
	s_mul_i32 s34, s33, s34
	s_bfe_u32 s35, ttmp6, 0x40004
	v_dual_add_nc_u32 v1, v17, v4 :: v_dual_mov_b32 v7, v3
	s_add_co_i32 s29, s29, s30
	s_add_co_i32 s35, s35, s34
	s_cmp_eq_u32 s28, 0
	s_delay_alu instid0(VALU_DEP_1)
	v_dual_lshrrev_b32 v6, 6, v1 :: v_dual_bitop2_b32 v5, 63, v1 bitop3:0x40
	s_cselect_b32 s28, ttmp9, s29
	s_cselect_b32 s30, s33, s35
	s_ashr_i32 s29, s28, 31
	s_lshl_b32 s36, s30, 6
	s_lshl_b64 s[34:35], s[28:29], 6
	s_mov_b32 s37, s3
	v_dual_mov_b32 v15, v3 :: v_dual_bitop2_b32 v16, s34, v5 bitop3:0x54
	v_add_nc_u64_e32 v[8:9], s[36:37], v[2:3]
	s_clause 0x1
	s_load_b32 s33, s[0:1], 0x50
	s_load_b96 s[28:30], s[0:1], 0x10
	s_wait_kmcnt 0x0
	v_mad_nc_u64_u32 v[10:11], s6, v16, v[6:7]
	v_dual_lshrrev_b32 v14, 2, v1 :: v_dual_bitop2_b32 v2, 3, v0 bitop3:0x40
	s_add_nc_u64 s[10:11], s[10:11], s[36:37]
	v_mul_u64_e32 v[12:13], s[14:15], v[8:9]
	v_mul_u64_e32 v[0:1], s[24:25], v[8:9]
	s_delay_alu instid0(VALU_DEP_3)
	v_lshlrev_b32_e32 v7, 2, v2
	v_mad_nc_u64_u32 v[8:9], s20, v2, v[14:15]
	v_dual_lshlrev_b32 v15, 2, v5 :: v_dual_mov_b32 v5, v3
	v_add_nc_u32_e32 v17, 0x400, v17
	v_mad_u32 v11, s7, v16, v11
	v_lshl_or_b32 v7, v14, 4, v7
	s_delay_alu instid0(VALU_DEP_4) | instskip(SKIP_1) | instid1(VALU_DEP_3)
	v_lshl_or_b32 v14, v6, 8, v15
	v_lshlrev_b32_e32 v16, 2, v4
	v_add_nc_u32_e32 v15, 0x400, v7
	v_mad_u32 v9, s21, v2, v9
	v_cmp_gt_i64_e64 s0, s[28:29], 0
	v_add_nc_u64_e32 v[6:7], s[34:35], v[4:5]
	v_mad_u32 v11, s6, s35, v11
	s_lshl_b64 s[6:7], s[20:21], 2
	s_cmp_lg_u32 s33, 0
	v_cndmask_b32_e64 v18, 0, 1, s0
	s_delay_alu instid0(VALU_DEP_3)
	v_lshlrev_b64_e32 v[6:7], 2, v[6:7]
	s_cselect_b32 s1, -1, 0
	v_add_nc_u64_e32 v[2:3], s[10:11], v[8:9]
	s_lshl_b64 s[14:15], s[14:15], 4
	v_cmp_ne_u32_e64 s0, 1, v18
	s_lshl_b64 s[10:11], s[24:25], 4
	v_add_nc_u64_e32 v[4:5], s[4:5], v[10:11]
	s_lshl_b64 s[4:5], s[14:15], 2
	s_lshl_b64 s[10:11], s[10:11], 2
	v_lshl_add_u64 v[8:9], v[12:13], 2, s[12:13]
	s_branch .LBB479_3
.LBB479_2:                              ;   in Loop: Header=BB479_3 Depth=1
	s_add_co_i32 s2, s2, 0x10000
	s_delay_alu instid0(SALU_CYCLE_1)
	s_cmp_lt_i32 s2, s31
	s_cbranch_scc0 .LBB479_10
.LBB479_3:                              ; =>This Loop Header: Depth=1
                                        ;     Child Loop BB479_5 Depth 2
	s_wait_xcnt 0xa
	v_dual_mov_b32 v21, 0 :: v_dual_mov_b32 v20, 0
	s_wait_xcnt 0x7
	v_dual_mov_b32 v19, 0 :: v_dual_mov_b32 v18, 0
	;; [unrolled: 2-line block ×3, first 2 shown]
	v_dual_mov_b32 v24, 0 :: v_dual_mov_b32 v23, 0
	v_dual_mov_b32 v22, 0 :: v_dual_mov_b32 v26, 0
	s_wait_xcnt 0x0
	v_dual_mov_b32 v25, 0 :: v_dual_mov_b32 v32, 0
	v_dual_mov_b32 v31, 0 :: v_dual_mov_b32 v29, 0
	;; [unrolled: 1-line block ×3, first 2 shown]
	s_and_b32 vcc_lo, exec_lo, s0
	s_cbranch_vccnz .LBB479_6
; %bb.4:                                ;   in Loop: Header=BB479_3 Depth=1
	v_mad_nc_u64_u32 v[10:11], s22, s2, v[2:3]
	v_mad_nc_u64_u32 v[12:13], s8, s2, v[4:5]
	v_dual_mov_b32 v27, 0 :: v_dual_mov_b32 v28, 0
	v_dual_mov_b32 v29, 0 :: v_dual_mov_b32 v31, 0
	;; [unrolled: 1-line block ×5, first 2 shown]
	v_mad_u32 v11, s23, s2, v11
	v_mad_u32 v13, s9, s2, v13
	v_dual_mov_b32 v30, 0 :: v_dual_mov_b32 v33, 0
	v_dual_mov_b32 v18, 0 :: v_dual_mov_b32 v19, 0
	;; [unrolled: 1-line block ×3, first 2 shown]
	s_mov_b64 s[12:13], 0
.LBB479_5:                              ;   Parent Loop BB479_3 Depth=1
                                        ; =>  This Inner Loop Header: Depth=2
	s_delay_alu instid0(VALU_DEP_4) | instid1(SALU_CYCLE_1)
	v_add_nc_u64_e32 v[34:35], s[12:13], v[12:13]
	s_add_nc_u64 s[12:13], s[12:13], 4
	s_delay_alu instid0(SALU_CYCLE_1)
	v_cmp_lt_i64_e64 s14, s[12:13], s[28:29]
	global_load_i8 v34, v[34:35], off
	s_and_b32 vcc_lo, exec_lo, s14
	s_wait_loadcnt 0x0
	ds_store_b32 v14, v34
	global_load_i8 v34, v[10:11], off
	s_wait_xcnt 0x0
	v_add_nc_u64_e32 v[10:11], s[6:7], v[10:11]
	s_wait_loadcnt 0x0
	ds_store_b32 v15, v34
	s_wait_dscnt 0x0
	s_barrier_signal -1
	s_barrier_wait -1
	ds_load_2addr_b32 v[46:47], v16 offset1:16
	ds_load_2addr_b32 v[48:49], v16 offset0:32 offset1:48
	ds_load_2addr_b32 v[50:51], v16 offset0:64 offset1:80
	;; [unrolled: 1-line block ×7, first 2 shown]
	ds_load_b128 v[34:37], v17 offset:512
	ds_load_b128 v[38:41], v17 offset:768
	ds_load_b128 v[42:45], v17
	s_wait_dscnt 0x2
	v_mad_u32 v31, v34, v48, v31
	s_wait_dscnt 0x1
	v_mad_u32 v30, v38, v46, v30
	v_mad_u32 v29, v38, v47, v29
	;; [unrolled: 1-line block ×7, first 2 shown]
	s_wait_dscnt 0x0
	v_mad_u32 v24, v42, v46, v24
	v_mad_u32 v23, v42, v47, v23
	;; [unrolled: 1-line block ×18, first 2 shown]
	ds_load_b128 v[28:31], v17 offset:256
	v_mad_u32 v22, v43, v52, v22
	v_mad_u32 v21, v43, v53, v21
	;; [unrolled: 1-line block ×6, first 2 shown]
	s_wait_dscnt 0x0
	s_barrier_signal -1
	s_barrier_wait -1
	v_mad_u32 v24, v44, v54, v24
	v_mad_u32 v23, v44, v55, v23
	;; [unrolled: 1-line block ×32, first 2 shown]
	s_cbranch_vccnz .LBB479_5
.LBB479_6:                              ;   in Loop: Header=BB479_3 Depth=1
	s_mul_u64 s[12:13], s[26:27], s[2:3]
	v_mul_lo_u32 v24, v24, s30
	s_lshl_b64 s[12:13], s[12:13], 2
	v_mul_lo_u32 v23, v23, s30
	s_add_nc_u64 s[12:13], s[18:19], s[12:13]
	v_mul_lo_u32 v34, v22, s30
	v_lshl_add_u64 v[12:13], v[0:1], 2, s[12:13]
	v_mul_lo_u32 v35, v21, s30
	v_mul_lo_u32 v20, v20, s30
	;; [unrolled: 1-line block ×13, first 2 shown]
	v_add_nc_u64_e32 v[10:11], v[12:13], v[6:7]
	v_add_nc_u64_e32 v[12:13], s[10:11], v[12:13]
	s_and_not1_b32 vcc_lo, exec_lo, s1
	s_cbranch_vccnz .LBB479_8
; %bb.7:                                ;   in Loop: Header=BB479_3 Depth=1
	s_mul_u64 s[12:13], s[16:17], s[2:3]
	s_delay_alu instid0(SALU_CYCLE_1) | instskip(NEXT) | instid1(VALU_DEP_1)
	v_lshl_add_u64 v[32:33], s[12:13], 2, v[8:9]
	v_add_nc_u64_e32 v[36:37], v[32:33], v[6:7]
	v_add_nc_u64_e32 v[32:33], s[4:5], v[32:33]
	global_load_b32 v38, v[36:37], off
	s_wait_loadcnt 0x0
	v_mad_u32 v38, v38, s33, v24
	global_store_b32 v[10:11], v38, off
	global_load_b32 v38, v[36:37], off offset:64
	s_wait_loadcnt 0x0
	v_mad_u32 v38, v38, s33, v23
	global_store_b32 v[10:11], v38, off offset:64
	global_load_b32 v38, v[36:37], off offset:128
	s_wait_loadcnt 0x0
	v_mad_u32 v38, v38, s33, v34
	global_store_b32 v[10:11], v38, off offset:128
	global_load_b32 v36, v[36:37], off offset:192
	s_wait_loadcnt 0x0
	s_wait_xcnt 0x1
	v_mad_u32 v38, v36, s33, v35
	s_wait_xcnt 0x0
	v_add_nc_u64_e32 v[36:37], v[32:33], v[6:7]
	v_add_nc_u64_e32 v[32:33], s[4:5], v[32:33]
	global_store_b32 v[10:11], v38, off offset:192
	global_load_b32 v38, v[36:37], off
	s_wait_loadcnt 0x0
	v_mad_u32 v40, v38, s33, v20
	v_add_nc_u64_e32 v[38:39], v[12:13], v[6:7]
	global_store_b32 v[38:39], v40, off
	global_load_b32 v40, v[36:37], off offset:64
	s_wait_loadcnt 0x0
	v_mad_u32 v40, v40, s33, v21
	global_store_b32 v[38:39], v40, off offset:64
	global_load_b32 v40, v[36:37], off offset:128
	s_wait_loadcnt 0x0
	v_mad_u32 v40, v40, s33, v22
	global_store_b32 v[38:39], v40, off offset:128
	global_load_b32 v36, v[36:37], off offset:192
	s_wait_loadcnt 0x0
	s_wait_xcnt 0x1
	v_mad_u32 v40, v36, s33, v19
	s_wait_xcnt 0x0
	v_add_nc_u64_e32 v[36:37], v[32:33], v[6:7]
	v_add_nc_u64_e32 v[32:33], s[4:5], v[32:33]
	s_delay_alu instid0(VALU_DEP_1)
	v_add_nc_u64_e32 v[32:33], v[32:33], v[6:7]
	global_store_b32 v[38:39], v40, off offset:192
	global_load_b32 v40, v[36:37], off
	v_add_nc_u64_e32 v[38:39], s[10:11], v[12:13]
	s_wait_loadcnt 0x0
	v_mad_u32 v42, v40, s33, v18
	s_delay_alu instid0(VALU_DEP_2)
	v_add_nc_u64_e32 v[40:41], v[38:39], v[6:7]
	global_store_b32 v[40:41], v42, off
	global_load_b32 v42, v[36:37], off offset:64
	s_wait_loadcnt 0x0
	v_mad_u32 v42, v42, s33, v25
	global_store_b32 v[40:41], v42, off offset:64
	global_load_b32 v42, v[36:37], off offset:128
	s_wait_loadcnt 0x0
	v_mad_u32 v42, v42, s33, v26
	global_store_b32 v[40:41], v42, off offset:128
	global_load_b32 v36, v[36:37], off offset:192
	s_wait_loadcnt 0x0
	s_wait_xcnt 0x0
	v_mad_u32 v36, v36, s33, v31
	global_store_b32 v[40:41], v36, off offset:192
	global_load_b32 v40, v[32:33], off
	v_add_nc_u64_e32 v[36:37], s[10:11], v[38:39]
	s_delay_alu instid0(VALU_DEP_1)
	v_add_nc_u64_e32 v[36:37], v[36:37], v[6:7]
	s_wait_loadcnt 0x0
	v_mad_u32 v38, v40, s33, v30
	global_store_b32 v[36:37], v38, off
	global_load_b32 v38, v[32:33], off offset:64
	s_wait_loadcnt 0x0
	v_mad_u32 v38, v38, s33, v29
	global_store_b32 v[36:37], v38, off offset:64
	global_load_b32 v38, v[32:33], off offset:128
	s_wait_loadcnt 0x0
	v_mad_u32 v38, v38, s33, v28
	global_store_b32 v[36:37], v38, off offset:128
	global_load_b32 v32, v[32:33], off offset:192
	s_wait_loadcnt 0x0
	s_wait_xcnt 0x0
	v_mad_u32 v32, v32, s33, v27
	global_store_b32 v[36:37], v32, off offset:192
	s_cbranch_execnz .LBB479_2
	s_branch .LBB479_9
.LBB479_8:                              ;   in Loop: Header=BB479_3 Depth=1
.LBB479_9:                              ;   in Loop: Header=BB479_3 Depth=1
	s_wait_xcnt 0x0
	s_delay_alu instid0(VALU_DEP_1)
	v_add_nc_u64_e32 v[32:33], s[10:11], v[12:13]
	v_add_nc_u64_e32 v[12:13], v[12:13], v[6:7]
	s_clause 0x3
	global_store_b32 v[10:11], v24, off
	global_store_b32 v[10:11], v23, off offset:64
	global_store_b32 v[10:11], v34, off offset:128
	;; [unrolled: 1-line block ×3, first 2 shown]
	v_add_nc_u64_e32 v[36:37], s[10:11], v[32:33]
	v_add_nc_u64_e32 v[32:33], v[32:33], v[6:7]
	s_wait_xcnt 0x0
	s_delay_alu instid0(VALU_DEP_2)
	v_add_nc_u64_e32 v[10:11], v[36:37], v[6:7]
	s_clause 0xb
	global_store_b32 v[12:13], v20, off
	global_store_b32 v[12:13], v21, off offset:64
	global_store_b32 v[12:13], v22, off offset:128
	global_store_b32 v[12:13], v19, off offset:192
	global_store_b32 v[32:33], v18, off
	global_store_b32 v[32:33], v25, off offset:64
	global_store_b32 v[32:33], v26, off offset:128
	global_store_b32 v[32:33], v31, off offset:192
	;; [unrolled: 4-line block ×3, first 2 shown]
	s_branch .LBB479_2
.LBB479_10:
	s_endpgm
	.section	.rodata,"a",@progbits
	.p2align	6, 0x0
	.amdhsa_kernel _ZN12_GLOBAL__N_127rocblas_gemm_batched_kernelIiLi16ELi16ELi64ELi64ELi4ELi64ELi4ELi4ELi64ELc67ELc84EKaKiiEEvlllT_PT11_llS5_llS3_PT12_llPT13_lli
		.amdhsa_group_segment_fixed_size 2048
		.amdhsa_private_segment_fixed_size 0
		.amdhsa_kernarg_size 140
		.amdhsa_user_sgpr_count 2
		.amdhsa_user_sgpr_dispatch_ptr 0
		.amdhsa_user_sgpr_queue_ptr 0
		.amdhsa_user_sgpr_kernarg_segment_ptr 1
		.amdhsa_user_sgpr_dispatch_id 0
		.amdhsa_user_sgpr_kernarg_preload_length 0
		.amdhsa_user_sgpr_kernarg_preload_offset 0
		.amdhsa_user_sgpr_private_segment_size 0
		.amdhsa_wavefront_size32 1
		.amdhsa_uses_dynamic_stack 0
		.amdhsa_enable_private_segment 0
		.amdhsa_system_sgpr_workgroup_id_x 1
		.amdhsa_system_sgpr_workgroup_id_y 1
		.amdhsa_system_sgpr_workgroup_id_z 1
		.amdhsa_system_sgpr_workgroup_info 0
		.amdhsa_system_vgpr_workitem_id 1
		.amdhsa_next_free_vgpr 64
		.amdhsa_next_free_sgpr 38
		.amdhsa_named_barrier_count 0
		.amdhsa_reserve_vcc 1
		.amdhsa_float_round_mode_32 0
		.amdhsa_float_round_mode_16_64 0
		.amdhsa_float_denorm_mode_32 3
		.amdhsa_float_denorm_mode_16_64 3
		.amdhsa_fp16_overflow 0
		.amdhsa_memory_ordered 1
		.amdhsa_forward_progress 1
		.amdhsa_inst_pref_size 20
		.amdhsa_round_robin_scheduling 0
		.amdhsa_exception_fp_ieee_invalid_op 0
		.amdhsa_exception_fp_denorm_src 0
		.amdhsa_exception_fp_ieee_div_zero 0
		.amdhsa_exception_fp_ieee_overflow 0
		.amdhsa_exception_fp_ieee_underflow 0
		.amdhsa_exception_fp_ieee_inexact 0
		.amdhsa_exception_int_div_zero 0
	.end_amdhsa_kernel
	.section	.text._ZN12_GLOBAL__N_127rocblas_gemm_batched_kernelIiLi16ELi16ELi64ELi64ELi4ELi64ELi4ELi4ELi64ELc67ELc84EKaKiiEEvlllT_PT11_llS5_llS3_PT12_llPT13_lli,"axG",@progbits,_ZN12_GLOBAL__N_127rocblas_gemm_batched_kernelIiLi16ELi16ELi64ELi64ELi4ELi64ELi4ELi4ELi64ELc67ELc84EKaKiiEEvlllT_PT11_llS5_llS3_PT12_llPT13_lli,comdat
.Lfunc_end479:
	.size	_ZN12_GLOBAL__N_127rocblas_gemm_batched_kernelIiLi16ELi16ELi64ELi64ELi4ELi64ELi4ELi4ELi64ELc67ELc84EKaKiiEEvlllT_PT11_llS5_llS3_PT12_llPT13_lli, .Lfunc_end479-_ZN12_GLOBAL__N_127rocblas_gemm_batched_kernelIiLi16ELi16ELi64ELi64ELi4ELi64ELi4ELi4ELi64ELc67ELc84EKaKiiEEvlllT_PT11_llS5_llS3_PT12_llPT13_lli
                                        ; -- End function
	.set _ZN12_GLOBAL__N_127rocblas_gemm_batched_kernelIiLi16ELi16ELi64ELi64ELi4ELi64ELi4ELi4ELi64ELc67ELc84EKaKiiEEvlllT_PT11_llS5_llS3_PT12_llPT13_lli.num_vgpr, 64
	.set _ZN12_GLOBAL__N_127rocblas_gemm_batched_kernelIiLi16ELi16ELi64ELi64ELi4ELi64ELi4ELi4ELi64ELc67ELc84EKaKiiEEvlllT_PT11_llS5_llS3_PT12_llPT13_lli.num_agpr, 0
	.set _ZN12_GLOBAL__N_127rocblas_gemm_batched_kernelIiLi16ELi16ELi64ELi64ELi4ELi64ELi4ELi4ELi64ELc67ELc84EKaKiiEEvlllT_PT11_llS5_llS3_PT12_llPT13_lli.numbered_sgpr, 38
	.set _ZN12_GLOBAL__N_127rocblas_gemm_batched_kernelIiLi16ELi16ELi64ELi64ELi4ELi64ELi4ELi4ELi64ELc67ELc84EKaKiiEEvlllT_PT11_llS5_llS3_PT12_llPT13_lli.num_named_barrier, 0
	.set _ZN12_GLOBAL__N_127rocblas_gemm_batched_kernelIiLi16ELi16ELi64ELi64ELi4ELi64ELi4ELi4ELi64ELc67ELc84EKaKiiEEvlllT_PT11_llS5_llS3_PT12_llPT13_lli.private_seg_size, 0
	.set _ZN12_GLOBAL__N_127rocblas_gemm_batched_kernelIiLi16ELi16ELi64ELi64ELi4ELi64ELi4ELi4ELi64ELc67ELc84EKaKiiEEvlllT_PT11_llS5_llS3_PT12_llPT13_lli.uses_vcc, 1
	.set _ZN12_GLOBAL__N_127rocblas_gemm_batched_kernelIiLi16ELi16ELi64ELi64ELi4ELi64ELi4ELi4ELi64ELc67ELc84EKaKiiEEvlllT_PT11_llS5_llS3_PT12_llPT13_lli.uses_flat_scratch, 0
	.set _ZN12_GLOBAL__N_127rocblas_gemm_batched_kernelIiLi16ELi16ELi64ELi64ELi4ELi64ELi4ELi4ELi64ELc67ELc84EKaKiiEEvlllT_PT11_llS5_llS3_PT12_llPT13_lli.has_dyn_sized_stack, 0
	.set _ZN12_GLOBAL__N_127rocblas_gemm_batched_kernelIiLi16ELi16ELi64ELi64ELi4ELi64ELi4ELi4ELi64ELc67ELc84EKaKiiEEvlllT_PT11_llS5_llS3_PT12_llPT13_lli.has_recursion, 0
	.set _ZN12_GLOBAL__N_127rocblas_gemm_batched_kernelIiLi16ELi16ELi64ELi64ELi4ELi64ELi4ELi4ELi64ELc67ELc84EKaKiiEEvlllT_PT11_llS5_llS3_PT12_llPT13_lli.has_indirect_call, 0
	.section	.AMDGPU.csdata,"",@progbits
; Kernel info:
; codeLenInByte = 2544
; TotalNumSgprs: 40
; NumVgprs: 64
; ScratchSize: 0
; MemoryBound: 0
; FloatMode: 240
; IeeeMode: 1
; LDSByteSize: 2048 bytes/workgroup (compile time only)
; SGPRBlocks: 0
; VGPRBlocks: 3
; NumSGPRsForWavesPerEU: 40
; NumVGPRsForWavesPerEU: 64
; NamedBarCnt: 0
; Occupancy: 16
; WaveLimiterHint : 0
; COMPUTE_PGM_RSRC2:SCRATCH_EN: 0
; COMPUTE_PGM_RSRC2:USER_SGPR: 2
; COMPUTE_PGM_RSRC2:TRAP_HANDLER: 0
; COMPUTE_PGM_RSRC2:TGID_X_EN: 1
; COMPUTE_PGM_RSRC2:TGID_Y_EN: 1
; COMPUTE_PGM_RSRC2:TGID_Z_EN: 1
; COMPUTE_PGM_RSRC2:TIDIG_COMP_CNT: 1
	.section	.text._ZN12_GLOBAL__N_127rocblas_gemm_batched_kernelIiLi16ELi16ELi64ELi64ELi4ELi64ELi4ELi4ELi64ELc78ELc67EKaKiiEEvlllT_PT11_llS5_llS3_PT12_llPT13_lli,"axG",@progbits,_ZN12_GLOBAL__N_127rocblas_gemm_batched_kernelIiLi16ELi16ELi64ELi64ELi4ELi64ELi4ELi4ELi64ELc78ELc67EKaKiiEEvlllT_PT11_llS5_llS3_PT12_llPT13_lli,comdat
	.globl	_ZN12_GLOBAL__N_127rocblas_gemm_batched_kernelIiLi16ELi16ELi64ELi64ELi4ELi64ELi4ELi4ELi64ELc78ELc67EKaKiiEEvlllT_PT11_llS5_llS3_PT12_llPT13_lli ; -- Begin function _ZN12_GLOBAL__N_127rocblas_gemm_batched_kernelIiLi16ELi16ELi64ELi64ELi4ELi64ELi4ELi4ELi64ELc78ELc67EKaKiiEEvlllT_PT11_llS5_llS3_PT12_llPT13_lli
	.p2align	8
	.type	_ZN12_GLOBAL__N_127rocblas_gemm_batched_kernelIiLi16ELi16ELi64ELi64ELi4ELi64ELi4ELi4ELi64ELc78ELc67EKaKiiEEvlllT_PT11_llS5_llS3_PT12_llPT13_lli,@function
_ZN12_GLOBAL__N_127rocblas_gemm_batched_kernelIiLi16ELi16ELi64ELi64ELi4ELi64ELi4ELi4ELi64ELc78ELc67EKaKiiEEvlllT_PT11_llS5_llS3_PT12_llPT13_lli: ; @_ZN12_GLOBAL__N_127rocblas_gemm_batched_kernelIiLi16ELi16ELi64ELi64ELi4ELi64ELi4ELi4ELi64ELc78ELc67EKaKiiEEvlllT_PT11_llS5_llS3_PT12_llPT13_lli
; %bb.0:
	s_load_b32 s31, s[0:1], 0x88
	s_bfe_u32 s2, ttmp6, 0x40014
	s_lshr_b32 s3, ttmp7, 16
	s_add_co_i32 s2, s2, 1
	s_bfe_u32 s4, ttmp6, 0x40008
	s_mul_i32 s2, s3, s2
	s_getreg_b32 s28, hwreg(HW_REG_IB_STS2, 6, 4)
	s_add_co_i32 s4, s4, s2
	s_cmp_eq_u32 s28, 0
	s_cselect_b32 s2, s3, s4
	s_mov_b32 s3, 0
	s_wait_kmcnt 0x0
	s_cmp_ge_i32 s2, s31
	s_cbranch_scc1 .LBB480_10
; %bb.1:
	s_clause 0x3
	s_load_b256 s[4:11], s[0:1], 0x20
	s_load_b128 s[20:23], s[0:1], 0x40
	s_load_b128 s[24:27], s[0:1], 0x78
	s_load_b256 s[12:19], s[0:1], 0x58
	s_bfe_u32 s29, ttmp6, 0x4000c
	s_bfe_u32 s33, ttmp6, 0x40010
	v_bfe_u32 v2, v0, 10, 10
	s_add_co_i32 s29, s29, 1
	s_and_b32 s34, ttmp7, 0xffff
	s_add_co_i32 s33, s33, 1
	s_and_b32 s30, ttmp6, 15
	s_mul_i32 s29, ttmp9, s29
	s_mul_i32 s33, s34, s33
	s_bfe_u32 s35, ttmp6, 0x40004
	v_dual_mov_b32 v3, 0 :: v_dual_lshlrev_b32 v17, 4, v2
	v_and_b32_e32 v4, 0x3ff, v0
	s_add_co_i32 s30, s30, s29
	s_add_co_i32 s35, s35, s33
	s_cmp_eq_u32 s28, 0
	s_delay_alu instid0(VALU_DEP_1)
	v_dual_mov_b32 v9, v3 :: v_dual_add_nc_u32 v1, v17, v4
	s_cselect_b32 s29, s34, s35
	s_cselect_b32 s28, ttmp9, s30
	s_lshl_b32 s34, s29, 6
	s_mov_b32 s35, s3
	v_dual_lshrrev_b32 v14, 6, v1 :: v_dual_bitop2_b32 v18, 3, v0 bitop3:0x40
	v_add_nc_u64_e32 v[6:7], s[34:35], v[2:3]
	s_ashr_i32 s29, s28, 31
	s_load_b32 s33, s[0:1], 0x50
	s_lshl_b64 s[36:37], s[28:29], 6
	s_load_b96 s[28:30], s[0:1], 0x10
	s_wait_kmcnt 0x0
	v_mad_nc_u64_u32 v[12:13], s6, v14, s[36:37]
	v_dual_lshrrev_b32 v8, 2, v1 :: v_dual_bitop2_b32 v2, 63, v1 bitop3:0x40
	v_mul_u64_e32 v[10:11], s[14:15], v[6:7]
	v_mul_u64_e32 v[0:1], s[24:25], v[6:7]
	v_dual_lshlrev_b32 v5, 2, v18 :: v_dual_lshlrev_b32 v16, 2, v4
	s_delay_alu instid0(VALU_DEP_4) | instskip(SKIP_2) | instid1(VALU_DEP_3)
	v_mad_nc_u64_u32 v[6:7], s20, v18, v[8:9]
	v_lshlrev_b32_e32 v9, 2, v2
	s_add_nc_u64 s[10:11], s[10:11], s[34:35]
	v_lshl_or_b32 v8, v8, 4, v5
	v_mad_u32 v13, s7, v14, v13
	v_mov_b32_e32 v5, v3
	v_lshl_or_b32 v14, v14, 8, v9
	s_lshl_b64 s[6:7], s[6:7], 2
	v_add_nc_u32_e32 v15, 0x400, v8
	v_add_nc_u32_e32 v17, 0x400, v17
	v_mad_u32 v7, s21, v18, v7
	v_cmp_gt_i64_e64 s0, s[28:29], 0
	s_lshl_b64 s[20:21], s[20:21], 2
	s_cmp_lg_u32 s33, 0
	v_add_nc_u64_e32 v[8:9], v[12:13], v[2:3]
	v_add_nc_u64_e32 v[12:13], s[36:37], v[4:5]
	s_cselect_b32 s1, -1, 0
	s_lshl_b64 s[14:15], s[14:15], 4
	v_cndmask_b32_e64 v18, 0, 1, s0
	v_add_nc_u64_e32 v[2:3], s[10:11], v[6:7]
	s_delay_alu instid0(VALU_DEP_4) | instskip(NEXT) | instid1(VALU_DEP_4)
	v_add_nc_u64_e32 v[4:5], s[4:5], v[8:9]
	v_lshlrev_b64_e32 v[6:7], 2, v[12:13]
	s_delay_alu instid0(VALU_DEP_4)
	v_cmp_ne_u32_e64 s0, 1, v18
	s_lshl_b64 s[10:11], s[24:25], 4
	s_lshl_b64 s[4:5], s[14:15], 2
	v_lshl_add_u64 v[8:9], v[10:11], 2, s[12:13]
	s_lshl_b64 s[10:11], s[10:11], 2
	s_branch .LBB480_3
.LBB480_2:                              ;   in Loop: Header=BB480_3 Depth=1
	s_add_co_i32 s2, s2, 0x10000
	s_delay_alu instid0(SALU_CYCLE_1)
	s_cmp_lt_i32 s2, s31
	s_cbranch_scc0 .LBB480_10
.LBB480_3:                              ; =>This Loop Header: Depth=1
                                        ;     Child Loop BB480_5 Depth 2
	s_wait_xcnt 0xa
	v_dual_mov_b32 v21, 0 :: v_dual_mov_b32 v20, 0
	s_wait_xcnt 0x7
	v_dual_mov_b32 v19, 0 :: v_dual_mov_b32 v18, 0
	s_wait_xcnt 0x3
	v_dual_mov_b32 v33, 0 :: v_dual_mov_b32 v30, 0
	v_dual_mov_b32 v24, 0 :: v_dual_mov_b32 v23, 0
	v_dual_mov_b32 v22, 0 :: v_dual_mov_b32 v26, 0
	s_wait_xcnt 0x0
	v_dual_mov_b32 v25, 0 :: v_dual_mov_b32 v32, 0
	v_dual_mov_b32 v31, 0 :: v_dual_mov_b32 v29, 0
	;; [unrolled: 1-line block ×3, first 2 shown]
	s_and_b32 vcc_lo, exec_lo, s0
	s_cbranch_vccnz .LBB480_6
; %bb.4:                                ;   in Loop: Header=BB480_3 Depth=1
	v_mad_nc_u64_u32 v[10:11], s22, s2, v[2:3]
	v_mad_nc_u64_u32 v[12:13], s8, s2, v[4:5]
	v_dual_mov_b32 v27, 0 :: v_dual_mov_b32 v28, 0
	v_dual_mov_b32 v29, 0 :: v_dual_mov_b32 v31, 0
	;; [unrolled: 1-line block ×5, first 2 shown]
	v_mad_u32 v11, s23, s2, v11
	v_mad_u32 v13, s9, s2, v13
	v_dual_mov_b32 v30, 0 :: v_dual_mov_b32 v33, 0
	v_dual_mov_b32 v18, 0 :: v_dual_mov_b32 v19, 0
	;; [unrolled: 1-line block ×3, first 2 shown]
	s_mov_b64 s[12:13], 0
.LBB480_5:                              ;   Parent Loop BB480_3 Depth=1
                                        ; =>  This Inner Loop Header: Depth=2
	global_load_i8 v34, v[12:13], off
	s_add_nc_u64 s[12:13], s[12:13], 4
	s_wait_xcnt 0x0
	v_add_nc_u64_e32 v[12:13], s[6:7], v[12:13]
	v_cmp_lt_i64_e64 s14, s[12:13], s[28:29]
	s_and_b32 vcc_lo, exec_lo, s14
	s_wait_loadcnt 0x0
	ds_store_b32 v14, v34
	global_load_i8 v34, v[10:11], off
	s_wait_xcnt 0x0
	v_add_nc_u64_e32 v[10:11], s[20:21], v[10:11]
	s_wait_loadcnt 0x0
	ds_store_b32 v15, v34
	s_wait_dscnt 0x0
	s_barrier_signal -1
	s_barrier_wait -1
	ds_load_2addr_b32 v[46:47], v16 offset1:16
	ds_load_2addr_b32 v[48:49], v16 offset0:32 offset1:48
	ds_load_2addr_b32 v[50:51], v16 offset0:64 offset1:80
	;; [unrolled: 1-line block ×7, first 2 shown]
	ds_load_b128 v[34:37], v17 offset:512
	ds_load_b128 v[38:41], v17 offset:768
	ds_load_b128 v[42:45], v17
	s_wait_dscnt 0x2
	v_mad_u32 v31, v34, v48, v31
	s_wait_dscnt 0x1
	v_mad_u32 v30, v38, v46, v30
	v_mad_u32 v29, v38, v47, v29
	;; [unrolled: 1-line block ×7, first 2 shown]
	s_wait_dscnt 0x0
	v_mad_u32 v24, v42, v46, v24
	v_mad_u32 v23, v42, v47, v23
	;; [unrolled: 1-line block ×18, first 2 shown]
	ds_load_b128 v[28:31], v17 offset:256
	v_mad_u32 v22, v43, v52, v22
	v_mad_u32 v21, v43, v53, v21
	;; [unrolled: 1-line block ×6, first 2 shown]
	s_wait_dscnt 0x0
	s_barrier_signal -1
	s_barrier_wait -1
	v_mad_u32 v24, v44, v54, v24
	v_mad_u32 v23, v44, v55, v23
	;; [unrolled: 1-line block ×32, first 2 shown]
	s_cbranch_vccnz .LBB480_5
.LBB480_6:                              ;   in Loop: Header=BB480_3 Depth=1
	s_mul_u64 s[12:13], s[26:27], s[2:3]
	v_mul_lo_u32 v24, v24, s30
	s_lshl_b64 s[12:13], s[12:13], 2
	v_mul_lo_u32 v23, v23, s30
	s_add_nc_u64 s[12:13], s[18:19], s[12:13]
	v_mul_lo_u32 v34, v22, s30
	v_lshl_add_u64 v[12:13], v[0:1], 2, s[12:13]
	v_mul_lo_u32 v35, v21, s30
	v_mul_lo_u32 v20, v20, s30
	;; [unrolled: 1-line block ×13, first 2 shown]
	v_add_nc_u64_e32 v[10:11], v[12:13], v[6:7]
	v_add_nc_u64_e32 v[12:13], s[10:11], v[12:13]
	s_and_not1_b32 vcc_lo, exec_lo, s1
	s_cbranch_vccnz .LBB480_8
; %bb.7:                                ;   in Loop: Header=BB480_3 Depth=1
	s_mul_u64 s[12:13], s[16:17], s[2:3]
	s_delay_alu instid0(SALU_CYCLE_1) | instskip(NEXT) | instid1(VALU_DEP_1)
	v_lshl_add_u64 v[32:33], s[12:13], 2, v[8:9]
	v_add_nc_u64_e32 v[36:37], v[32:33], v[6:7]
	v_add_nc_u64_e32 v[32:33], s[4:5], v[32:33]
	global_load_b32 v38, v[36:37], off
	s_wait_loadcnt 0x0
	v_mad_u32 v38, v38, s33, v24
	global_store_b32 v[10:11], v38, off
	global_load_b32 v38, v[36:37], off offset:64
	s_wait_loadcnt 0x0
	v_mad_u32 v38, v38, s33, v23
	global_store_b32 v[10:11], v38, off offset:64
	global_load_b32 v38, v[36:37], off offset:128
	s_wait_loadcnt 0x0
	v_mad_u32 v38, v38, s33, v34
	global_store_b32 v[10:11], v38, off offset:128
	global_load_b32 v36, v[36:37], off offset:192
	s_wait_loadcnt 0x0
	s_wait_xcnt 0x1
	v_mad_u32 v38, v36, s33, v35
	s_wait_xcnt 0x0
	v_add_nc_u64_e32 v[36:37], v[32:33], v[6:7]
	v_add_nc_u64_e32 v[32:33], s[4:5], v[32:33]
	global_store_b32 v[10:11], v38, off offset:192
	global_load_b32 v38, v[36:37], off
	s_wait_loadcnt 0x0
	v_mad_u32 v40, v38, s33, v20
	v_add_nc_u64_e32 v[38:39], v[12:13], v[6:7]
	global_store_b32 v[38:39], v40, off
	global_load_b32 v40, v[36:37], off offset:64
	s_wait_loadcnt 0x0
	v_mad_u32 v40, v40, s33, v21
	global_store_b32 v[38:39], v40, off offset:64
	global_load_b32 v40, v[36:37], off offset:128
	s_wait_loadcnt 0x0
	v_mad_u32 v40, v40, s33, v22
	global_store_b32 v[38:39], v40, off offset:128
	global_load_b32 v36, v[36:37], off offset:192
	s_wait_loadcnt 0x0
	s_wait_xcnt 0x1
	v_mad_u32 v40, v36, s33, v19
	s_wait_xcnt 0x0
	v_add_nc_u64_e32 v[36:37], v[32:33], v[6:7]
	v_add_nc_u64_e32 v[32:33], s[4:5], v[32:33]
	s_delay_alu instid0(VALU_DEP_1)
	v_add_nc_u64_e32 v[32:33], v[32:33], v[6:7]
	global_store_b32 v[38:39], v40, off offset:192
	global_load_b32 v40, v[36:37], off
	v_add_nc_u64_e32 v[38:39], s[10:11], v[12:13]
	s_wait_loadcnt 0x0
	v_mad_u32 v42, v40, s33, v18
	s_delay_alu instid0(VALU_DEP_2)
	v_add_nc_u64_e32 v[40:41], v[38:39], v[6:7]
	global_store_b32 v[40:41], v42, off
	global_load_b32 v42, v[36:37], off offset:64
	s_wait_loadcnt 0x0
	v_mad_u32 v42, v42, s33, v25
	global_store_b32 v[40:41], v42, off offset:64
	global_load_b32 v42, v[36:37], off offset:128
	s_wait_loadcnt 0x0
	v_mad_u32 v42, v42, s33, v26
	global_store_b32 v[40:41], v42, off offset:128
	global_load_b32 v36, v[36:37], off offset:192
	s_wait_loadcnt 0x0
	s_wait_xcnt 0x0
	v_mad_u32 v36, v36, s33, v31
	global_store_b32 v[40:41], v36, off offset:192
	global_load_b32 v40, v[32:33], off
	v_add_nc_u64_e32 v[36:37], s[10:11], v[38:39]
	s_delay_alu instid0(VALU_DEP_1)
	v_add_nc_u64_e32 v[36:37], v[36:37], v[6:7]
	s_wait_loadcnt 0x0
	v_mad_u32 v38, v40, s33, v30
	global_store_b32 v[36:37], v38, off
	global_load_b32 v38, v[32:33], off offset:64
	s_wait_loadcnt 0x0
	v_mad_u32 v38, v38, s33, v29
	global_store_b32 v[36:37], v38, off offset:64
	global_load_b32 v38, v[32:33], off offset:128
	s_wait_loadcnt 0x0
	v_mad_u32 v38, v38, s33, v28
	global_store_b32 v[36:37], v38, off offset:128
	global_load_b32 v32, v[32:33], off offset:192
	s_wait_loadcnt 0x0
	s_wait_xcnt 0x0
	v_mad_u32 v32, v32, s33, v27
	global_store_b32 v[36:37], v32, off offset:192
	s_cbranch_execnz .LBB480_2
	s_branch .LBB480_9
.LBB480_8:                              ;   in Loop: Header=BB480_3 Depth=1
.LBB480_9:                              ;   in Loop: Header=BB480_3 Depth=1
	s_wait_xcnt 0x0
	s_delay_alu instid0(VALU_DEP_1)
	v_add_nc_u64_e32 v[32:33], s[10:11], v[12:13]
	v_add_nc_u64_e32 v[12:13], v[12:13], v[6:7]
	s_clause 0x3
	global_store_b32 v[10:11], v24, off
	global_store_b32 v[10:11], v23, off offset:64
	global_store_b32 v[10:11], v34, off offset:128
	;; [unrolled: 1-line block ×3, first 2 shown]
	v_add_nc_u64_e32 v[36:37], s[10:11], v[32:33]
	v_add_nc_u64_e32 v[32:33], v[32:33], v[6:7]
	s_wait_xcnt 0x0
	s_delay_alu instid0(VALU_DEP_2)
	v_add_nc_u64_e32 v[10:11], v[36:37], v[6:7]
	s_clause 0xb
	global_store_b32 v[12:13], v20, off
	global_store_b32 v[12:13], v21, off offset:64
	global_store_b32 v[12:13], v22, off offset:128
	global_store_b32 v[12:13], v19, off offset:192
	global_store_b32 v[32:33], v18, off
	global_store_b32 v[32:33], v25, off offset:64
	global_store_b32 v[32:33], v26, off offset:128
	global_store_b32 v[32:33], v31, off offset:192
	;; [unrolled: 4-line block ×3, first 2 shown]
	s_branch .LBB480_2
.LBB480_10:
	s_endpgm
	.section	.rodata,"a",@progbits
	.p2align	6, 0x0
	.amdhsa_kernel _ZN12_GLOBAL__N_127rocblas_gemm_batched_kernelIiLi16ELi16ELi64ELi64ELi4ELi64ELi4ELi4ELi64ELc78ELc67EKaKiiEEvlllT_PT11_llS5_llS3_PT12_llPT13_lli
		.amdhsa_group_segment_fixed_size 2048
		.amdhsa_private_segment_fixed_size 0
		.amdhsa_kernarg_size 140
		.amdhsa_user_sgpr_count 2
		.amdhsa_user_sgpr_dispatch_ptr 0
		.amdhsa_user_sgpr_queue_ptr 0
		.amdhsa_user_sgpr_kernarg_segment_ptr 1
		.amdhsa_user_sgpr_dispatch_id 0
		.amdhsa_user_sgpr_kernarg_preload_length 0
		.amdhsa_user_sgpr_kernarg_preload_offset 0
		.amdhsa_user_sgpr_private_segment_size 0
		.amdhsa_wavefront_size32 1
		.amdhsa_uses_dynamic_stack 0
		.amdhsa_enable_private_segment 0
		.amdhsa_system_sgpr_workgroup_id_x 1
		.amdhsa_system_sgpr_workgroup_id_y 1
		.amdhsa_system_sgpr_workgroup_id_z 1
		.amdhsa_system_sgpr_workgroup_info 0
		.amdhsa_system_vgpr_workitem_id 1
		.amdhsa_next_free_vgpr 64
		.amdhsa_next_free_sgpr 38
		.amdhsa_named_barrier_count 0
		.amdhsa_reserve_vcc 1
		.amdhsa_float_round_mode_32 0
		.amdhsa_float_round_mode_16_64 0
		.amdhsa_float_denorm_mode_32 3
		.amdhsa_float_denorm_mode_16_64 3
		.amdhsa_fp16_overflow 0
		.amdhsa_memory_ordered 1
		.amdhsa_forward_progress 1
		.amdhsa_inst_pref_size 20
		.amdhsa_round_robin_scheduling 0
		.amdhsa_exception_fp_ieee_invalid_op 0
		.amdhsa_exception_fp_denorm_src 0
		.amdhsa_exception_fp_ieee_div_zero 0
		.amdhsa_exception_fp_ieee_overflow 0
		.amdhsa_exception_fp_ieee_underflow 0
		.amdhsa_exception_fp_ieee_inexact 0
		.amdhsa_exception_int_div_zero 0
	.end_amdhsa_kernel
	.section	.text._ZN12_GLOBAL__N_127rocblas_gemm_batched_kernelIiLi16ELi16ELi64ELi64ELi4ELi64ELi4ELi4ELi64ELc78ELc67EKaKiiEEvlllT_PT11_llS5_llS3_PT12_llPT13_lli,"axG",@progbits,_ZN12_GLOBAL__N_127rocblas_gemm_batched_kernelIiLi16ELi16ELi64ELi64ELi4ELi64ELi4ELi4ELi64ELc78ELc67EKaKiiEEvlllT_PT11_llS5_llS3_PT12_llPT13_lli,comdat
.Lfunc_end480:
	.size	_ZN12_GLOBAL__N_127rocblas_gemm_batched_kernelIiLi16ELi16ELi64ELi64ELi4ELi64ELi4ELi4ELi64ELc78ELc67EKaKiiEEvlllT_PT11_llS5_llS3_PT12_llPT13_lli, .Lfunc_end480-_ZN12_GLOBAL__N_127rocblas_gemm_batched_kernelIiLi16ELi16ELi64ELi64ELi4ELi64ELi4ELi4ELi64ELc78ELc67EKaKiiEEvlllT_PT11_llS5_llS3_PT12_llPT13_lli
                                        ; -- End function
	.set _ZN12_GLOBAL__N_127rocblas_gemm_batched_kernelIiLi16ELi16ELi64ELi64ELi4ELi64ELi4ELi4ELi64ELc78ELc67EKaKiiEEvlllT_PT11_llS5_llS3_PT12_llPT13_lli.num_vgpr, 64
	.set _ZN12_GLOBAL__N_127rocblas_gemm_batched_kernelIiLi16ELi16ELi64ELi64ELi4ELi64ELi4ELi4ELi64ELc78ELc67EKaKiiEEvlllT_PT11_llS5_llS3_PT12_llPT13_lli.num_agpr, 0
	.set _ZN12_GLOBAL__N_127rocblas_gemm_batched_kernelIiLi16ELi16ELi64ELi64ELi4ELi64ELi4ELi4ELi64ELc78ELc67EKaKiiEEvlllT_PT11_llS5_llS3_PT12_llPT13_lli.numbered_sgpr, 38
	.set _ZN12_GLOBAL__N_127rocblas_gemm_batched_kernelIiLi16ELi16ELi64ELi64ELi4ELi64ELi4ELi4ELi64ELc78ELc67EKaKiiEEvlllT_PT11_llS5_llS3_PT12_llPT13_lli.num_named_barrier, 0
	.set _ZN12_GLOBAL__N_127rocblas_gemm_batched_kernelIiLi16ELi16ELi64ELi64ELi4ELi64ELi4ELi4ELi64ELc78ELc67EKaKiiEEvlllT_PT11_llS5_llS3_PT12_llPT13_lli.private_seg_size, 0
	.set _ZN12_GLOBAL__N_127rocblas_gemm_batched_kernelIiLi16ELi16ELi64ELi64ELi4ELi64ELi4ELi4ELi64ELc78ELc67EKaKiiEEvlllT_PT11_llS5_llS3_PT12_llPT13_lli.uses_vcc, 1
	.set _ZN12_GLOBAL__N_127rocblas_gemm_batched_kernelIiLi16ELi16ELi64ELi64ELi4ELi64ELi4ELi4ELi64ELc78ELc67EKaKiiEEvlllT_PT11_llS5_llS3_PT12_llPT13_lli.uses_flat_scratch, 0
	.set _ZN12_GLOBAL__N_127rocblas_gemm_batched_kernelIiLi16ELi16ELi64ELi64ELi4ELi64ELi4ELi4ELi64ELc78ELc67EKaKiiEEvlllT_PT11_llS5_llS3_PT12_llPT13_lli.has_dyn_sized_stack, 0
	.set _ZN12_GLOBAL__N_127rocblas_gemm_batched_kernelIiLi16ELi16ELi64ELi64ELi4ELi64ELi4ELi4ELi64ELc78ELc67EKaKiiEEvlllT_PT11_llS5_llS3_PT12_llPT13_lli.has_recursion, 0
	.set _ZN12_GLOBAL__N_127rocblas_gemm_batched_kernelIiLi16ELi16ELi64ELi64ELi4ELi64ELi4ELi4ELi64ELc78ELc67EKaKiiEEvlllT_PT11_llS5_llS3_PT12_llPT13_lli.has_indirect_call, 0
	.section	.AMDGPU.csdata,"",@progbits
; Kernel info:
; codeLenInByte = 2524
; TotalNumSgprs: 40
; NumVgprs: 64
; ScratchSize: 0
; MemoryBound: 0
; FloatMode: 240
; IeeeMode: 1
; LDSByteSize: 2048 bytes/workgroup (compile time only)
; SGPRBlocks: 0
; VGPRBlocks: 3
; NumSGPRsForWavesPerEU: 40
; NumVGPRsForWavesPerEU: 64
; NamedBarCnt: 0
; Occupancy: 16
; WaveLimiterHint : 0
; COMPUTE_PGM_RSRC2:SCRATCH_EN: 0
; COMPUTE_PGM_RSRC2:USER_SGPR: 2
; COMPUTE_PGM_RSRC2:TRAP_HANDLER: 0
; COMPUTE_PGM_RSRC2:TGID_X_EN: 1
; COMPUTE_PGM_RSRC2:TGID_Y_EN: 1
; COMPUTE_PGM_RSRC2:TGID_Z_EN: 1
; COMPUTE_PGM_RSRC2:TIDIG_COMP_CNT: 1
	.section	.text._ZN12_GLOBAL__N_127rocblas_gemm_batched_kernelIiLi16ELi16ELi64ELi64ELi4ELi64ELi4ELi4ELi64ELc84ELc67EKaKiiEEvlllT_PT11_llS5_llS3_PT12_llPT13_lli,"axG",@progbits,_ZN12_GLOBAL__N_127rocblas_gemm_batched_kernelIiLi16ELi16ELi64ELi64ELi4ELi64ELi4ELi4ELi64ELc84ELc67EKaKiiEEvlllT_PT11_llS5_llS3_PT12_llPT13_lli,comdat
	.globl	_ZN12_GLOBAL__N_127rocblas_gemm_batched_kernelIiLi16ELi16ELi64ELi64ELi4ELi64ELi4ELi4ELi64ELc84ELc67EKaKiiEEvlllT_PT11_llS5_llS3_PT12_llPT13_lli ; -- Begin function _ZN12_GLOBAL__N_127rocblas_gemm_batched_kernelIiLi16ELi16ELi64ELi64ELi4ELi64ELi4ELi4ELi64ELc84ELc67EKaKiiEEvlllT_PT11_llS5_llS3_PT12_llPT13_lli
	.p2align	8
	.type	_ZN12_GLOBAL__N_127rocblas_gemm_batched_kernelIiLi16ELi16ELi64ELi64ELi4ELi64ELi4ELi4ELi64ELc84ELc67EKaKiiEEvlllT_PT11_llS5_llS3_PT12_llPT13_lli,@function
_ZN12_GLOBAL__N_127rocblas_gemm_batched_kernelIiLi16ELi16ELi64ELi64ELi4ELi64ELi4ELi4ELi64ELc84ELc67EKaKiiEEvlllT_PT11_llS5_llS3_PT12_llPT13_lli: ; @_ZN12_GLOBAL__N_127rocblas_gemm_batched_kernelIiLi16ELi16ELi64ELi64ELi4ELi64ELi4ELi4ELi64ELc84ELc67EKaKiiEEvlllT_PT11_llS5_llS3_PT12_llPT13_lli
; %bb.0:
	s_load_b32 s31, s[0:1], 0x88
	s_bfe_u32 s2, ttmp6, 0x40014
	s_lshr_b32 s3, ttmp7, 16
	s_add_co_i32 s2, s2, 1
	s_bfe_u32 s4, ttmp6, 0x40008
	s_mul_i32 s2, s3, s2
	s_getreg_b32 s28, hwreg(HW_REG_IB_STS2, 6, 4)
	s_add_co_i32 s4, s4, s2
	s_cmp_eq_u32 s28, 0
	s_cselect_b32 s2, s3, s4
	s_mov_b32 s3, 0
	s_wait_kmcnt 0x0
	s_cmp_ge_i32 s2, s31
	s_cbranch_scc1 .LBB481_10
; %bb.1:
	v_bfe_u32 v2, v0, 10, 10
	v_and_b32_e32 v4, 0x3ff, v0
	s_bfe_u32 s30, ttmp6, 0x4000c
	s_bfe_u32 s34, ttmp6, 0x40010
	s_clause 0x2
	s_load_b256 s[4:11], s[0:1], 0x20
	s_load_b128 s[20:23], s[0:1], 0x40
	s_load_b128 s[24:27], s[0:1], 0x78
	v_dual_lshlrev_b32 v17, 4, v2 :: v_dual_mov_b32 v3, 0
	s_and_b32 s33, ttmp7, 0xffff
	s_add_co_i32 s30, s30, 1
	s_add_co_i32 s34, s34, 1
	s_load_b256 s[12:19], s[0:1], 0x58
	s_and_b32 s29, ttmp6, 15
	s_mul_i32 s30, ttmp9, s30
	s_mul_i32 s34, s33, s34
	s_bfe_u32 s35, ttmp6, 0x40004
	v_dual_add_nc_u32 v1, v17, v4 :: v_dual_mov_b32 v7, v3
	s_add_co_i32 s29, s29, s30
	s_add_co_i32 s35, s35, s34
	s_cmp_eq_u32 s28, 0
	s_delay_alu instid0(VALU_DEP_1)
	v_dual_lshrrev_b32 v6, 6, v1 :: v_dual_bitop2_b32 v5, 63, v1 bitop3:0x40
	s_cselect_b32 s28, ttmp9, s29
	s_cselect_b32 s30, s33, s35
	s_ashr_i32 s29, s28, 31
	s_lshl_b32 s36, s30, 6
	s_lshl_b64 s[34:35], s[28:29], 6
	s_mov_b32 s37, s3
	v_dual_mov_b32 v15, v3 :: v_dual_bitop2_b32 v16, s34, v5 bitop3:0x54
	v_add_nc_u64_e32 v[8:9], s[36:37], v[2:3]
	s_clause 0x1
	s_load_b32 s33, s[0:1], 0x50
	s_load_b96 s[28:30], s[0:1], 0x10
	s_wait_kmcnt 0x0
	v_mad_nc_u64_u32 v[10:11], s6, v16, v[6:7]
	v_dual_lshrrev_b32 v14, 2, v1 :: v_dual_bitop2_b32 v2, 3, v0 bitop3:0x40
	s_add_nc_u64 s[10:11], s[10:11], s[36:37]
	v_mul_u64_e32 v[12:13], s[14:15], v[8:9]
	v_mul_u64_e32 v[0:1], s[24:25], v[8:9]
	s_delay_alu instid0(VALU_DEP_3)
	v_lshlrev_b32_e32 v7, 2, v2
	v_mad_nc_u64_u32 v[8:9], s20, v2, v[14:15]
	v_dual_lshlrev_b32 v15, 2, v5 :: v_dual_mov_b32 v5, v3
	v_add_nc_u32_e32 v17, 0x400, v17
	v_mad_u32 v11, s7, v16, v11
	v_lshl_or_b32 v7, v14, 4, v7
	s_delay_alu instid0(VALU_DEP_4) | instskip(SKIP_1) | instid1(VALU_DEP_3)
	v_lshl_or_b32 v14, v6, 8, v15
	v_lshlrev_b32_e32 v16, 2, v4
	v_add_nc_u32_e32 v15, 0x400, v7
	v_mad_u32 v9, s21, v2, v9
	v_cmp_gt_i64_e64 s0, s[28:29], 0
	v_add_nc_u64_e32 v[6:7], s[34:35], v[4:5]
	v_mad_u32 v11, s6, s35, v11
	s_lshl_b64 s[6:7], s[20:21], 2
	s_cmp_lg_u32 s33, 0
	v_cndmask_b32_e64 v18, 0, 1, s0
	s_delay_alu instid0(VALU_DEP_3)
	v_lshlrev_b64_e32 v[6:7], 2, v[6:7]
	s_cselect_b32 s1, -1, 0
	v_add_nc_u64_e32 v[2:3], s[10:11], v[8:9]
	s_lshl_b64 s[14:15], s[14:15], 4
	v_cmp_ne_u32_e64 s0, 1, v18
	s_lshl_b64 s[10:11], s[24:25], 4
	v_add_nc_u64_e32 v[4:5], s[4:5], v[10:11]
	s_lshl_b64 s[4:5], s[14:15], 2
	s_lshl_b64 s[10:11], s[10:11], 2
	v_lshl_add_u64 v[8:9], v[12:13], 2, s[12:13]
	s_branch .LBB481_3
.LBB481_2:                              ;   in Loop: Header=BB481_3 Depth=1
	s_add_co_i32 s2, s2, 0x10000
	s_delay_alu instid0(SALU_CYCLE_1)
	s_cmp_lt_i32 s2, s31
	s_cbranch_scc0 .LBB481_10
.LBB481_3:                              ; =>This Loop Header: Depth=1
                                        ;     Child Loop BB481_5 Depth 2
	s_wait_xcnt 0xa
	v_dual_mov_b32 v21, 0 :: v_dual_mov_b32 v20, 0
	s_wait_xcnt 0x7
	v_dual_mov_b32 v19, 0 :: v_dual_mov_b32 v18, 0
	;; [unrolled: 2-line block ×3, first 2 shown]
	v_dual_mov_b32 v24, 0 :: v_dual_mov_b32 v23, 0
	v_dual_mov_b32 v22, 0 :: v_dual_mov_b32 v26, 0
	s_wait_xcnt 0x0
	v_dual_mov_b32 v25, 0 :: v_dual_mov_b32 v32, 0
	v_dual_mov_b32 v31, 0 :: v_dual_mov_b32 v29, 0
	;; [unrolled: 1-line block ×3, first 2 shown]
	s_and_b32 vcc_lo, exec_lo, s0
	s_cbranch_vccnz .LBB481_6
; %bb.4:                                ;   in Loop: Header=BB481_3 Depth=1
	v_mad_nc_u64_u32 v[10:11], s22, s2, v[2:3]
	v_mad_nc_u64_u32 v[12:13], s8, s2, v[4:5]
	v_dual_mov_b32 v27, 0 :: v_dual_mov_b32 v28, 0
	v_dual_mov_b32 v29, 0 :: v_dual_mov_b32 v31, 0
	;; [unrolled: 1-line block ×5, first 2 shown]
	v_mad_u32 v11, s23, s2, v11
	v_mad_u32 v13, s9, s2, v13
	v_dual_mov_b32 v30, 0 :: v_dual_mov_b32 v33, 0
	v_dual_mov_b32 v18, 0 :: v_dual_mov_b32 v19, 0
	;; [unrolled: 1-line block ×3, first 2 shown]
	s_mov_b64 s[12:13], 0
.LBB481_5:                              ;   Parent Loop BB481_3 Depth=1
                                        ; =>  This Inner Loop Header: Depth=2
	s_delay_alu instid0(VALU_DEP_4) | instid1(SALU_CYCLE_1)
	v_add_nc_u64_e32 v[34:35], s[12:13], v[12:13]
	s_add_nc_u64 s[12:13], s[12:13], 4
	s_delay_alu instid0(SALU_CYCLE_1)
	v_cmp_lt_i64_e64 s14, s[12:13], s[28:29]
	global_load_i8 v34, v[34:35], off
	s_and_b32 vcc_lo, exec_lo, s14
	s_wait_loadcnt 0x0
	ds_store_b32 v14, v34
	global_load_i8 v34, v[10:11], off
	s_wait_xcnt 0x0
	v_add_nc_u64_e32 v[10:11], s[6:7], v[10:11]
	s_wait_loadcnt 0x0
	ds_store_b32 v15, v34
	s_wait_dscnt 0x0
	s_barrier_signal -1
	s_barrier_wait -1
	ds_load_2addr_b32 v[46:47], v16 offset1:16
	ds_load_2addr_b32 v[48:49], v16 offset0:32 offset1:48
	ds_load_2addr_b32 v[50:51], v16 offset0:64 offset1:80
	;; [unrolled: 1-line block ×7, first 2 shown]
	ds_load_b128 v[34:37], v17 offset:512
	ds_load_b128 v[38:41], v17 offset:768
	ds_load_b128 v[42:45], v17
	s_wait_dscnt 0x2
	v_mad_u32 v31, v34, v48, v31
	s_wait_dscnt 0x1
	v_mad_u32 v30, v38, v46, v30
	v_mad_u32 v29, v38, v47, v29
	;; [unrolled: 1-line block ×7, first 2 shown]
	s_wait_dscnt 0x0
	v_mad_u32 v24, v42, v46, v24
	v_mad_u32 v23, v42, v47, v23
	;; [unrolled: 1-line block ×18, first 2 shown]
	ds_load_b128 v[28:31], v17 offset:256
	v_mad_u32 v22, v43, v52, v22
	v_mad_u32 v21, v43, v53, v21
	;; [unrolled: 1-line block ×6, first 2 shown]
	s_wait_dscnt 0x0
	s_barrier_signal -1
	s_barrier_wait -1
	v_mad_u32 v24, v44, v54, v24
	v_mad_u32 v23, v44, v55, v23
	;; [unrolled: 1-line block ×32, first 2 shown]
	s_cbranch_vccnz .LBB481_5
.LBB481_6:                              ;   in Loop: Header=BB481_3 Depth=1
	s_mul_u64 s[12:13], s[26:27], s[2:3]
	v_mul_lo_u32 v24, v24, s30
	s_lshl_b64 s[12:13], s[12:13], 2
	v_mul_lo_u32 v23, v23, s30
	s_add_nc_u64 s[12:13], s[18:19], s[12:13]
	v_mul_lo_u32 v34, v22, s30
	v_lshl_add_u64 v[12:13], v[0:1], 2, s[12:13]
	v_mul_lo_u32 v35, v21, s30
	v_mul_lo_u32 v20, v20, s30
	;; [unrolled: 1-line block ×13, first 2 shown]
	v_add_nc_u64_e32 v[10:11], v[12:13], v[6:7]
	v_add_nc_u64_e32 v[12:13], s[10:11], v[12:13]
	s_and_not1_b32 vcc_lo, exec_lo, s1
	s_cbranch_vccnz .LBB481_8
; %bb.7:                                ;   in Loop: Header=BB481_3 Depth=1
	s_mul_u64 s[12:13], s[16:17], s[2:3]
	s_delay_alu instid0(SALU_CYCLE_1) | instskip(NEXT) | instid1(VALU_DEP_1)
	v_lshl_add_u64 v[32:33], s[12:13], 2, v[8:9]
	v_add_nc_u64_e32 v[36:37], v[32:33], v[6:7]
	v_add_nc_u64_e32 v[32:33], s[4:5], v[32:33]
	global_load_b32 v38, v[36:37], off
	s_wait_loadcnt 0x0
	v_mad_u32 v38, v38, s33, v24
	global_store_b32 v[10:11], v38, off
	global_load_b32 v38, v[36:37], off offset:64
	s_wait_loadcnt 0x0
	v_mad_u32 v38, v38, s33, v23
	global_store_b32 v[10:11], v38, off offset:64
	global_load_b32 v38, v[36:37], off offset:128
	s_wait_loadcnt 0x0
	v_mad_u32 v38, v38, s33, v34
	global_store_b32 v[10:11], v38, off offset:128
	global_load_b32 v36, v[36:37], off offset:192
	s_wait_loadcnt 0x0
	s_wait_xcnt 0x1
	v_mad_u32 v38, v36, s33, v35
	s_wait_xcnt 0x0
	v_add_nc_u64_e32 v[36:37], v[32:33], v[6:7]
	v_add_nc_u64_e32 v[32:33], s[4:5], v[32:33]
	global_store_b32 v[10:11], v38, off offset:192
	global_load_b32 v38, v[36:37], off
	s_wait_loadcnt 0x0
	v_mad_u32 v40, v38, s33, v20
	v_add_nc_u64_e32 v[38:39], v[12:13], v[6:7]
	global_store_b32 v[38:39], v40, off
	global_load_b32 v40, v[36:37], off offset:64
	s_wait_loadcnt 0x0
	v_mad_u32 v40, v40, s33, v21
	global_store_b32 v[38:39], v40, off offset:64
	global_load_b32 v40, v[36:37], off offset:128
	s_wait_loadcnt 0x0
	v_mad_u32 v40, v40, s33, v22
	global_store_b32 v[38:39], v40, off offset:128
	global_load_b32 v36, v[36:37], off offset:192
	s_wait_loadcnt 0x0
	s_wait_xcnt 0x1
	v_mad_u32 v40, v36, s33, v19
	s_wait_xcnt 0x0
	v_add_nc_u64_e32 v[36:37], v[32:33], v[6:7]
	v_add_nc_u64_e32 v[32:33], s[4:5], v[32:33]
	s_delay_alu instid0(VALU_DEP_1)
	v_add_nc_u64_e32 v[32:33], v[32:33], v[6:7]
	global_store_b32 v[38:39], v40, off offset:192
	global_load_b32 v40, v[36:37], off
	v_add_nc_u64_e32 v[38:39], s[10:11], v[12:13]
	s_wait_loadcnt 0x0
	v_mad_u32 v42, v40, s33, v18
	s_delay_alu instid0(VALU_DEP_2)
	v_add_nc_u64_e32 v[40:41], v[38:39], v[6:7]
	global_store_b32 v[40:41], v42, off
	global_load_b32 v42, v[36:37], off offset:64
	s_wait_loadcnt 0x0
	v_mad_u32 v42, v42, s33, v25
	global_store_b32 v[40:41], v42, off offset:64
	global_load_b32 v42, v[36:37], off offset:128
	s_wait_loadcnt 0x0
	v_mad_u32 v42, v42, s33, v26
	global_store_b32 v[40:41], v42, off offset:128
	global_load_b32 v36, v[36:37], off offset:192
	s_wait_loadcnt 0x0
	s_wait_xcnt 0x0
	v_mad_u32 v36, v36, s33, v31
	global_store_b32 v[40:41], v36, off offset:192
	global_load_b32 v40, v[32:33], off
	v_add_nc_u64_e32 v[36:37], s[10:11], v[38:39]
	s_delay_alu instid0(VALU_DEP_1)
	v_add_nc_u64_e32 v[36:37], v[36:37], v[6:7]
	s_wait_loadcnt 0x0
	v_mad_u32 v38, v40, s33, v30
	global_store_b32 v[36:37], v38, off
	global_load_b32 v38, v[32:33], off offset:64
	s_wait_loadcnt 0x0
	v_mad_u32 v38, v38, s33, v29
	global_store_b32 v[36:37], v38, off offset:64
	global_load_b32 v38, v[32:33], off offset:128
	s_wait_loadcnt 0x0
	v_mad_u32 v38, v38, s33, v28
	global_store_b32 v[36:37], v38, off offset:128
	global_load_b32 v32, v[32:33], off offset:192
	s_wait_loadcnt 0x0
	s_wait_xcnt 0x0
	v_mad_u32 v32, v32, s33, v27
	global_store_b32 v[36:37], v32, off offset:192
	s_cbranch_execnz .LBB481_2
	s_branch .LBB481_9
.LBB481_8:                              ;   in Loop: Header=BB481_3 Depth=1
.LBB481_9:                              ;   in Loop: Header=BB481_3 Depth=1
	s_wait_xcnt 0x0
	s_delay_alu instid0(VALU_DEP_1)
	v_add_nc_u64_e32 v[32:33], s[10:11], v[12:13]
	v_add_nc_u64_e32 v[12:13], v[12:13], v[6:7]
	s_clause 0x3
	global_store_b32 v[10:11], v24, off
	global_store_b32 v[10:11], v23, off offset:64
	global_store_b32 v[10:11], v34, off offset:128
	;; [unrolled: 1-line block ×3, first 2 shown]
	v_add_nc_u64_e32 v[36:37], s[10:11], v[32:33]
	v_add_nc_u64_e32 v[32:33], v[32:33], v[6:7]
	s_wait_xcnt 0x0
	s_delay_alu instid0(VALU_DEP_2)
	v_add_nc_u64_e32 v[10:11], v[36:37], v[6:7]
	s_clause 0xb
	global_store_b32 v[12:13], v20, off
	global_store_b32 v[12:13], v21, off offset:64
	global_store_b32 v[12:13], v22, off offset:128
	global_store_b32 v[12:13], v19, off offset:192
	global_store_b32 v[32:33], v18, off
	global_store_b32 v[32:33], v25, off offset:64
	global_store_b32 v[32:33], v26, off offset:128
	global_store_b32 v[32:33], v31, off offset:192
	;; [unrolled: 4-line block ×3, first 2 shown]
	s_branch .LBB481_2
.LBB481_10:
	s_endpgm
	.section	.rodata,"a",@progbits
	.p2align	6, 0x0
	.amdhsa_kernel _ZN12_GLOBAL__N_127rocblas_gemm_batched_kernelIiLi16ELi16ELi64ELi64ELi4ELi64ELi4ELi4ELi64ELc84ELc67EKaKiiEEvlllT_PT11_llS5_llS3_PT12_llPT13_lli
		.amdhsa_group_segment_fixed_size 2048
		.amdhsa_private_segment_fixed_size 0
		.amdhsa_kernarg_size 140
		.amdhsa_user_sgpr_count 2
		.amdhsa_user_sgpr_dispatch_ptr 0
		.amdhsa_user_sgpr_queue_ptr 0
		.amdhsa_user_sgpr_kernarg_segment_ptr 1
		.amdhsa_user_sgpr_dispatch_id 0
		.amdhsa_user_sgpr_kernarg_preload_length 0
		.amdhsa_user_sgpr_kernarg_preload_offset 0
		.amdhsa_user_sgpr_private_segment_size 0
		.amdhsa_wavefront_size32 1
		.amdhsa_uses_dynamic_stack 0
		.amdhsa_enable_private_segment 0
		.amdhsa_system_sgpr_workgroup_id_x 1
		.amdhsa_system_sgpr_workgroup_id_y 1
		.amdhsa_system_sgpr_workgroup_id_z 1
		.amdhsa_system_sgpr_workgroup_info 0
		.amdhsa_system_vgpr_workitem_id 1
		.amdhsa_next_free_vgpr 64
		.amdhsa_next_free_sgpr 38
		.amdhsa_named_barrier_count 0
		.amdhsa_reserve_vcc 1
		.amdhsa_float_round_mode_32 0
		.amdhsa_float_round_mode_16_64 0
		.amdhsa_float_denorm_mode_32 3
		.amdhsa_float_denorm_mode_16_64 3
		.amdhsa_fp16_overflow 0
		.amdhsa_memory_ordered 1
		.amdhsa_forward_progress 1
		.amdhsa_inst_pref_size 20
		.amdhsa_round_robin_scheduling 0
		.amdhsa_exception_fp_ieee_invalid_op 0
		.amdhsa_exception_fp_denorm_src 0
		.amdhsa_exception_fp_ieee_div_zero 0
		.amdhsa_exception_fp_ieee_overflow 0
		.amdhsa_exception_fp_ieee_underflow 0
		.amdhsa_exception_fp_ieee_inexact 0
		.amdhsa_exception_int_div_zero 0
	.end_amdhsa_kernel
	.section	.text._ZN12_GLOBAL__N_127rocblas_gemm_batched_kernelIiLi16ELi16ELi64ELi64ELi4ELi64ELi4ELi4ELi64ELc84ELc67EKaKiiEEvlllT_PT11_llS5_llS3_PT12_llPT13_lli,"axG",@progbits,_ZN12_GLOBAL__N_127rocblas_gemm_batched_kernelIiLi16ELi16ELi64ELi64ELi4ELi64ELi4ELi4ELi64ELc84ELc67EKaKiiEEvlllT_PT11_llS5_llS3_PT12_llPT13_lli,comdat
.Lfunc_end481:
	.size	_ZN12_GLOBAL__N_127rocblas_gemm_batched_kernelIiLi16ELi16ELi64ELi64ELi4ELi64ELi4ELi4ELi64ELc84ELc67EKaKiiEEvlllT_PT11_llS5_llS3_PT12_llPT13_lli, .Lfunc_end481-_ZN12_GLOBAL__N_127rocblas_gemm_batched_kernelIiLi16ELi16ELi64ELi64ELi4ELi64ELi4ELi4ELi64ELc84ELc67EKaKiiEEvlllT_PT11_llS5_llS3_PT12_llPT13_lli
                                        ; -- End function
	.set _ZN12_GLOBAL__N_127rocblas_gemm_batched_kernelIiLi16ELi16ELi64ELi64ELi4ELi64ELi4ELi4ELi64ELc84ELc67EKaKiiEEvlllT_PT11_llS5_llS3_PT12_llPT13_lli.num_vgpr, 64
	.set _ZN12_GLOBAL__N_127rocblas_gemm_batched_kernelIiLi16ELi16ELi64ELi64ELi4ELi64ELi4ELi4ELi64ELc84ELc67EKaKiiEEvlllT_PT11_llS5_llS3_PT12_llPT13_lli.num_agpr, 0
	.set _ZN12_GLOBAL__N_127rocblas_gemm_batched_kernelIiLi16ELi16ELi64ELi64ELi4ELi64ELi4ELi4ELi64ELc84ELc67EKaKiiEEvlllT_PT11_llS5_llS3_PT12_llPT13_lli.numbered_sgpr, 38
	.set _ZN12_GLOBAL__N_127rocblas_gemm_batched_kernelIiLi16ELi16ELi64ELi64ELi4ELi64ELi4ELi4ELi64ELc84ELc67EKaKiiEEvlllT_PT11_llS5_llS3_PT12_llPT13_lli.num_named_barrier, 0
	.set _ZN12_GLOBAL__N_127rocblas_gemm_batched_kernelIiLi16ELi16ELi64ELi64ELi4ELi64ELi4ELi4ELi64ELc84ELc67EKaKiiEEvlllT_PT11_llS5_llS3_PT12_llPT13_lli.private_seg_size, 0
	.set _ZN12_GLOBAL__N_127rocblas_gemm_batched_kernelIiLi16ELi16ELi64ELi64ELi4ELi64ELi4ELi4ELi64ELc84ELc67EKaKiiEEvlllT_PT11_llS5_llS3_PT12_llPT13_lli.uses_vcc, 1
	.set _ZN12_GLOBAL__N_127rocblas_gemm_batched_kernelIiLi16ELi16ELi64ELi64ELi4ELi64ELi4ELi4ELi64ELc84ELc67EKaKiiEEvlllT_PT11_llS5_llS3_PT12_llPT13_lli.uses_flat_scratch, 0
	.set _ZN12_GLOBAL__N_127rocblas_gemm_batched_kernelIiLi16ELi16ELi64ELi64ELi4ELi64ELi4ELi4ELi64ELc84ELc67EKaKiiEEvlllT_PT11_llS5_llS3_PT12_llPT13_lli.has_dyn_sized_stack, 0
	.set _ZN12_GLOBAL__N_127rocblas_gemm_batched_kernelIiLi16ELi16ELi64ELi64ELi4ELi64ELi4ELi4ELi64ELc84ELc67EKaKiiEEvlllT_PT11_llS5_llS3_PT12_llPT13_lli.has_recursion, 0
	.set _ZN12_GLOBAL__N_127rocblas_gemm_batched_kernelIiLi16ELi16ELi64ELi64ELi4ELi64ELi4ELi4ELi64ELc84ELc67EKaKiiEEvlllT_PT11_llS5_llS3_PT12_llPT13_lli.has_indirect_call, 0
	.section	.AMDGPU.csdata,"",@progbits
; Kernel info:
; codeLenInByte = 2544
; TotalNumSgprs: 40
; NumVgprs: 64
; ScratchSize: 0
; MemoryBound: 0
; FloatMode: 240
; IeeeMode: 1
; LDSByteSize: 2048 bytes/workgroup (compile time only)
; SGPRBlocks: 0
; VGPRBlocks: 3
; NumSGPRsForWavesPerEU: 40
; NumVGPRsForWavesPerEU: 64
; NamedBarCnt: 0
; Occupancy: 16
; WaveLimiterHint : 0
; COMPUTE_PGM_RSRC2:SCRATCH_EN: 0
; COMPUTE_PGM_RSRC2:USER_SGPR: 2
; COMPUTE_PGM_RSRC2:TRAP_HANDLER: 0
; COMPUTE_PGM_RSRC2:TGID_X_EN: 1
; COMPUTE_PGM_RSRC2:TGID_Y_EN: 1
; COMPUTE_PGM_RSRC2:TGID_Z_EN: 1
; COMPUTE_PGM_RSRC2:TIDIG_COMP_CNT: 1
	.section	.text._ZN12_GLOBAL__N_127rocblas_gemm_batched_kernelIiLi16ELi16ELi32ELi32ELi8ELi32ELi8ELi8ELi32ELc78ELc78EKaKiiEEvlllT_PT11_llS5_llS3_PT12_llPT13_lli,"axG",@progbits,_ZN12_GLOBAL__N_127rocblas_gemm_batched_kernelIiLi16ELi16ELi32ELi32ELi8ELi32ELi8ELi8ELi32ELc78ELc78EKaKiiEEvlllT_PT11_llS5_llS3_PT12_llPT13_lli,comdat
	.globl	_ZN12_GLOBAL__N_127rocblas_gemm_batched_kernelIiLi16ELi16ELi32ELi32ELi8ELi32ELi8ELi8ELi32ELc78ELc78EKaKiiEEvlllT_PT11_llS5_llS3_PT12_llPT13_lli ; -- Begin function _ZN12_GLOBAL__N_127rocblas_gemm_batched_kernelIiLi16ELi16ELi32ELi32ELi8ELi32ELi8ELi8ELi32ELc78ELc78EKaKiiEEvlllT_PT11_llS5_llS3_PT12_llPT13_lli
	.p2align	8
	.type	_ZN12_GLOBAL__N_127rocblas_gemm_batched_kernelIiLi16ELi16ELi32ELi32ELi8ELi32ELi8ELi8ELi32ELc78ELc78EKaKiiEEvlllT_PT11_llS5_llS3_PT12_llPT13_lli,@function
_ZN12_GLOBAL__N_127rocblas_gemm_batched_kernelIiLi16ELi16ELi32ELi32ELi8ELi32ELi8ELi8ELi32ELc78ELc78EKaKiiEEvlllT_PT11_llS5_llS3_PT12_llPT13_lli: ; @_ZN12_GLOBAL__N_127rocblas_gemm_batched_kernelIiLi16ELi16ELi32ELi32ELi8ELi32ELi8ELi8ELi32ELc78ELc78EKaKiiEEvlllT_PT11_llS5_llS3_PT12_llPT13_lli
; %bb.0:
	s_load_b32 s31, s[0:1], 0x88
	s_bfe_u32 s2, ttmp6, 0x40014
	s_lshr_b32 s3, ttmp7, 16
	s_add_co_i32 s2, s2, 1
	s_bfe_u32 s4, ttmp6, 0x40008
	s_mul_i32 s2, s3, s2
	s_getreg_b32 s28, hwreg(HW_REG_IB_STS2, 6, 4)
	s_add_co_i32 s4, s4, s2
	s_cmp_eq_u32 s28, 0
	s_cselect_b32 s2, s3, s4
	s_mov_b32 s3, 0
	s_wait_kmcnt 0x0
	s_cmp_ge_i32 s2, s31
	s_cbranch_scc1 .LBB482_10
; %bb.1:
	v_bfe_u32 v2, v0, 10, 10
	v_and_b32_e32 v4, 0x3ff, v0
	s_bfe_u32 s30, ttmp6, 0x4000c
	s_bfe_u32 s33, ttmp6, 0x40010
	s_clause 0x2
	s_load_b256 s[4:11], s[0:1], 0x20
	s_load_b128 s[20:23], s[0:1], 0x40
	s_load_b128 s[24:27], s[0:1], 0x78
	s_add_co_i32 s30, s30, 1
	s_and_b32 s34, ttmp7, 0xffff
	s_add_co_i32 s33, s33, 1
	v_lshl_add_u32 v5, v2, 4, v4
	s_load_b256 s[12:19], s[0:1], 0x58
	v_mov_b32_e32 v3, 0
	s_and_b32 s29, ttmp6, 15
	s_mul_i32 s30, ttmp9, s30
	s_mul_i32 s33, s34, s33
	s_bfe_u32 s35, ttmp6, 0x40004
	s_add_co_i32 s29, s29, s30
	s_add_co_i32 s35, s35, s33
	s_cmp_eq_u32 s28, 0
	v_dual_mov_b32 v7, v3 :: v_dual_lshrrev_b32 v6, 3, v5
	v_and_b32_e32 v10, 7, v0
	s_cselect_b32 s30, s34, s35
	s_cselect_b32 s28, ttmp9, s29
	s_lshl_b32 s34, s30, 5
	s_mov_b32 s35, s3
	v_mov_b32_e32 v11, v3
	v_add_nc_u64_e32 v[8:9], s[34:35], v[6:7]
	v_add_nc_u64_e32 v[0:1], s[34:35], v[2:3]
	v_lshrrev_b32_e32 v7, 5, v5
	s_ashr_i32 s29, s28, 31
	s_load_b32 s33, s[0:1], 0x50
	s_lshl_b64 s[34:35], s[28:29], 5
	s_load_b96 s[28:30], s[0:1], 0x10
	s_wait_kmcnt 0x0
	v_mad_nc_u64_u32 v[12:13], s20, v8, v[10:11]
	v_mul_u64_e32 v[18:19], s[14:15], v[0:1]
	v_mad_nc_u64_u32 v[20:21], s6, v7, s[34:35]
	v_mul_u64_e32 v[0:1], s[24:25], v[0:1]
	v_dual_lshlrev_b32 v5, 2, v10 :: v_dual_bitop2_b32 v22, 31, v5 bitop3:0x40
	v_dual_mov_b32 v23, v3 :: v_dual_lshlrev_b32 v16, 2, v4
	v_lshl_add_u32 v17, v2, 5, 0x400
	s_delay_alu instid0(VALU_DEP_3) | instskip(NEXT) | instid1(VALU_DEP_4)
	v_lshlrev_b32_e32 v10, 2, v22
	v_lshl_or_b32 v6, v6, 5, v5
	v_mad_u32 v8, s21, v8, v13
	v_mov_b32_e32 v5, v3
	v_mad_u32 v21, s7, v7, v21
	v_lshl_or_b32 v14, v7, 7, v10
	v_add_nc_u32_e32 v15, 0x400, v6
	s_lshl_b64 s[6:7], s[6:7], 3
	s_cmp_lg_u32 s33, 0
	v_cmp_gt_i64_e64 s0, s[28:29], 0
	s_cselect_b32 s1, -1, 0
	v_mad_u32 v13, s20, v9, v8
	v_add_nc_u64_e32 v[8:9], s[34:35], v[4:5]
	v_add_nc_u64_e32 v[6:7], v[20:21], v[22:23]
	v_cndmask_b32_e64 v10, 0, 1, s0
	s_delay_alu instid0(VALU_DEP_2) | instskip(NEXT) | instid1(VALU_DEP_4)
	v_add_nc_u64_e32 v[4:5], s[4:5], v[6:7]
	v_lshlrev_b64_e32 v[6:7], 2, v[8:9]
	v_add_nc_u64_e32 v[2:3], s[10:11], v[12:13]
	v_lshl_add_u64 v[8:9], v[18:19], 2, s[12:13]
	v_cmp_ne_u32_e64 s0, 1, v10
	s_lshl_b64 s[4:5], s[14:15], 4
	s_lshl_b64 s[10:11], s[24:25], 4
	s_branch .LBB482_3
.LBB482_2:                              ;   in Loop: Header=BB482_3 Depth=1
	s_add_co_i32 s2, s2, 0x10000
	s_delay_alu instid0(SALU_CYCLE_1)
	s_cmp_lt_i32 s2, s31
	s_cbranch_scc0 .LBB482_10
.LBB482_3:                              ; =>This Loop Header: Depth=1
                                        ;     Child Loop BB482_5 Depth 2
	s_wait_xcnt 0x1
	v_dual_mov_b32 v20, 0 :: v_dual_mov_b32 v19, 0
	s_wait_xcnt 0x0
	v_dual_mov_b32 v21, 0 :: v_dual_mov_b32 v18, 0
	s_and_b32 vcc_lo, exec_lo, s0
	s_cbranch_vccnz .LBB482_6
; %bb.4:                                ;   in Loop: Header=BB482_3 Depth=1
	v_mad_nc_u64_u32 v[10:11], s22, s2, v[2:3]
	v_mad_nc_u64_u32 v[12:13], s8, s2, v[4:5]
	v_dual_mov_b32 v18, 0 :: v_dual_mov_b32 v21, 0
	v_dual_mov_b32 v19, 0 :: v_dual_mov_b32 v20, 0
	s_mov_b64 s[12:13], 0
	s_delay_alu instid0(VALU_DEP_4) | instskip(NEXT) | instid1(VALU_DEP_4)
	v_mad_u32 v11, s23, s2, v11
	v_mad_u32 v13, s9, s2, v13
.LBB482_5:                              ;   Parent Loop BB482_3 Depth=1
                                        ; =>  This Inner Loop Header: Depth=2
	s_delay_alu instid0(VALU_DEP_2)
	v_add_nc_u64_e32 v[22:23], s[12:13], v[10:11]
	s_add_nc_u64 s[12:13], s[12:13], 8
	global_load_i8 v24, v[12:13], off
	global_load_i8 v25, v[22:23], off
	v_cmp_lt_i64_e64 s14, s[12:13], s[28:29]
	s_wait_xcnt 0x1
	v_add_nc_u64_e32 v[12:13], s[6:7], v[12:13]
	s_wait_loadcnt 0x1
	ds_store_b32 v14, v24
	s_wait_loadcnt 0x0
	ds_store_b32 v15, v25
	s_wait_dscnt 0x0
	s_barrier_signal -1
	s_barrier_wait -1
	ds_load_2addr_b32 v[38:39], v16 offset1:16
	s_wait_xcnt 0x0
	ds_load_b128 v[22:25], v17
	ds_load_b128 v[26:29], v17 offset:512
	ds_load_2addr_b32 v[40:41], v16 offset0:32 offset1:48
	ds_load_b128 v[30:33], v17 offset:16
	ds_load_b128 v[34:37], v17 offset:528
	s_and_b32 vcc_lo, exec_lo, s14
	s_wait_dscnt 0x4
	v_mad_u32 v21, v22, v38, v21
	s_wait_dscnt 0x3
	v_mad_u32 v38, v26, v38, v19
	v_mad_u32 v20, v22, v39, v20
	v_mad_u32 v22, v26, v39, v18
	ds_load_2addr_b32 v[18:19], v16 offset0:64 offset1:80
	s_wait_dscnt 0x3
	v_mad_u32 v26, v23, v40, v21
	v_mad_u32 v38, v27, v40, v38
	v_mad_u32 v23, v23, v41, v20
	v_mad_u32 v22, v27, v41, v22
	ds_load_2addr_b32 v[20:21], v16 offset0:96 offset1:112
	s_wait_dscnt 0x1
	v_mad_u32 v26, v24, v18, v26
	;; [unrolled: 6-line block ×5, first 2 shown]
	v_mad_u32 v20, v35, v20, v25
	v_mad_u32 v25, v31, v21, v23
	;; [unrolled: 1-line block ×3, first 2 shown]
	ds_load_2addr_b32 v[22:23], v16 offset0:224 offset1:240
	s_wait_dscnt 0x0
	s_barrier_signal -1
	s_barrier_wait -1
	v_mad_u32 v24, v32, v18, v24
	v_mad_u32 v18, v36, v18, v20
	;; [unrolled: 1-line block ×4, first 2 shown]
	s_delay_alu instid0(VALU_DEP_4) | instskip(NEXT) | instid1(VALU_DEP_4)
	v_mad_u32 v21, v33, v22, v24
	v_mad_u32 v19, v37, v22, v18
	s_delay_alu instid0(VALU_DEP_4) | instskip(NEXT) | instid1(VALU_DEP_4)
	v_mad_u32 v20, v33, v23, v20
	v_mad_u32 v18, v37, v23, v25
	s_cbranch_vccnz .LBB482_5
.LBB482_6:                              ;   in Loop: Header=BB482_3 Depth=1
	s_mul_u64 s[12:13], s[26:27], s[2:3]
	s_delay_alu instid0(VALU_DEP_1) | instskip(SKIP_1) | instid1(VALU_DEP_3)
	v_mul_lo_u32 v21, v21, s30
	s_lshl_b64 s[12:13], s[12:13], 2
	v_mul_lo_u32 v20, v20, s30
	s_add_nc_u64 s[12:13], s[18:19], s[12:13]
	v_mul_lo_u32 v19, v19, s30
	v_lshl_add_u64 v[12:13], v[0:1], 2, s[12:13]
	v_mul_lo_u32 v18, v18, s30
	s_and_not1_b32 vcc_lo, exec_lo, s1
	s_delay_alu instid0(VALU_DEP_2)
	v_add_nc_u64_e32 v[10:11], v[12:13], v[6:7]
	v_lshl_add_u64 v[12:13], s[10:11], 2, v[12:13]
	s_cbranch_vccnz .LBB482_8
; %bb.7:                                ;   in Loop: Header=BB482_3 Depth=1
	s_mul_u64 s[12:13], s[16:17], s[2:3]
	s_delay_alu instid0(SALU_CYCLE_1) | instskip(NEXT) | instid1(VALU_DEP_1)
	v_lshl_add_u64 v[22:23], s[12:13], 2, v[8:9]
	v_add_nc_u64_e32 v[24:25], v[22:23], v[6:7]
	v_lshl_add_u64 v[22:23], s[4:5], 2, v[22:23]
	s_delay_alu instid0(VALU_DEP_1)
	v_add_nc_u64_e32 v[22:23], v[22:23], v[6:7]
	global_load_b32 v26, v[24:25], off
	s_wait_loadcnt 0x0
	v_mad_u32 v26, v26, s33, v21
	global_store_b32 v[10:11], v26, off
	global_load_b32 v24, v[24:25], off offset:64
	s_wait_loadcnt 0x0
	s_wait_xcnt 0x0
	v_mad_u32 v24, v24, s33, v20
	global_store_b32 v[10:11], v24, off offset:64
	global_load_b32 v24, v[22:23], off
	s_wait_loadcnt 0x0
	v_mad_u32 v26, v24, s33, v19
	v_add_nc_u64_e32 v[24:25], v[12:13], v[6:7]
	global_store_b32 v[24:25], v26, off
	global_load_b32 v22, v[22:23], off offset:64
	s_wait_loadcnt 0x0
	s_wait_xcnt 0x0
	v_mad_u32 v22, v22, s33, v18
	global_store_b32 v[24:25], v22, off offset:64
	s_cbranch_execnz .LBB482_2
	s_branch .LBB482_9
.LBB482_8:                              ;   in Loop: Header=BB482_3 Depth=1
.LBB482_9:                              ;   in Loop: Header=BB482_3 Depth=1
	s_delay_alu instid0(VALU_DEP_1)
	v_add_nc_u64_e32 v[12:13], v[12:13], v[6:7]
	s_clause 0x3
	global_store_b32 v[10:11], v21, off
	global_store_b32 v[10:11], v20, off offset:64
	global_store_b32 v[12:13], v19, off
	global_store_b32 v[12:13], v18, off offset:64
	s_branch .LBB482_2
.LBB482_10:
	s_endpgm
	.section	.rodata,"a",@progbits
	.p2align	6, 0x0
	.amdhsa_kernel _ZN12_GLOBAL__N_127rocblas_gemm_batched_kernelIiLi16ELi16ELi32ELi32ELi8ELi32ELi8ELi8ELi32ELc78ELc78EKaKiiEEvlllT_PT11_llS5_llS3_PT12_llPT13_lli
		.amdhsa_group_segment_fixed_size 2048
		.amdhsa_private_segment_fixed_size 0
		.amdhsa_kernarg_size 140
		.amdhsa_user_sgpr_count 2
		.amdhsa_user_sgpr_dispatch_ptr 0
		.amdhsa_user_sgpr_queue_ptr 0
		.amdhsa_user_sgpr_kernarg_segment_ptr 1
		.amdhsa_user_sgpr_dispatch_id 0
		.amdhsa_user_sgpr_kernarg_preload_length 0
		.amdhsa_user_sgpr_kernarg_preload_offset 0
		.amdhsa_user_sgpr_private_segment_size 0
		.amdhsa_wavefront_size32 1
		.amdhsa_uses_dynamic_stack 0
		.amdhsa_enable_private_segment 0
		.amdhsa_system_sgpr_workgroup_id_x 1
		.amdhsa_system_sgpr_workgroup_id_y 1
		.amdhsa_system_sgpr_workgroup_id_z 1
		.amdhsa_system_sgpr_workgroup_info 0
		.amdhsa_system_vgpr_workitem_id 1
		.amdhsa_next_free_vgpr 42
		.amdhsa_next_free_sgpr 36
		.amdhsa_named_barrier_count 0
		.amdhsa_reserve_vcc 1
		.amdhsa_float_round_mode_32 0
		.amdhsa_float_round_mode_16_64 0
		.amdhsa_float_denorm_mode_32 3
		.amdhsa_float_denorm_mode_16_64 3
		.amdhsa_fp16_overflow 0
		.amdhsa_memory_ordered 1
		.amdhsa_forward_progress 1
		.amdhsa_inst_pref_size 12
		.amdhsa_round_robin_scheduling 0
		.amdhsa_exception_fp_ieee_invalid_op 0
		.amdhsa_exception_fp_denorm_src 0
		.amdhsa_exception_fp_ieee_div_zero 0
		.amdhsa_exception_fp_ieee_overflow 0
		.amdhsa_exception_fp_ieee_underflow 0
		.amdhsa_exception_fp_ieee_inexact 0
		.amdhsa_exception_int_div_zero 0
	.end_amdhsa_kernel
	.section	.text._ZN12_GLOBAL__N_127rocblas_gemm_batched_kernelIiLi16ELi16ELi32ELi32ELi8ELi32ELi8ELi8ELi32ELc78ELc78EKaKiiEEvlllT_PT11_llS5_llS3_PT12_llPT13_lli,"axG",@progbits,_ZN12_GLOBAL__N_127rocblas_gemm_batched_kernelIiLi16ELi16ELi32ELi32ELi8ELi32ELi8ELi8ELi32ELc78ELc78EKaKiiEEvlllT_PT11_llS5_llS3_PT12_llPT13_lli,comdat
.Lfunc_end482:
	.size	_ZN12_GLOBAL__N_127rocblas_gemm_batched_kernelIiLi16ELi16ELi32ELi32ELi8ELi32ELi8ELi8ELi32ELc78ELc78EKaKiiEEvlllT_PT11_llS5_llS3_PT12_llPT13_lli, .Lfunc_end482-_ZN12_GLOBAL__N_127rocblas_gemm_batched_kernelIiLi16ELi16ELi32ELi32ELi8ELi32ELi8ELi8ELi32ELc78ELc78EKaKiiEEvlllT_PT11_llS5_llS3_PT12_llPT13_lli
                                        ; -- End function
	.set _ZN12_GLOBAL__N_127rocblas_gemm_batched_kernelIiLi16ELi16ELi32ELi32ELi8ELi32ELi8ELi8ELi32ELc78ELc78EKaKiiEEvlllT_PT11_llS5_llS3_PT12_llPT13_lli.num_vgpr, 42
	.set _ZN12_GLOBAL__N_127rocblas_gemm_batched_kernelIiLi16ELi16ELi32ELi32ELi8ELi32ELi8ELi8ELi32ELc78ELc78EKaKiiEEvlllT_PT11_llS5_llS3_PT12_llPT13_lli.num_agpr, 0
	.set _ZN12_GLOBAL__N_127rocblas_gemm_batched_kernelIiLi16ELi16ELi32ELi32ELi8ELi32ELi8ELi8ELi32ELc78ELc78EKaKiiEEvlllT_PT11_llS5_llS3_PT12_llPT13_lli.numbered_sgpr, 36
	.set _ZN12_GLOBAL__N_127rocblas_gemm_batched_kernelIiLi16ELi16ELi32ELi32ELi8ELi32ELi8ELi8ELi32ELc78ELc78EKaKiiEEvlllT_PT11_llS5_llS3_PT12_llPT13_lli.num_named_barrier, 0
	.set _ZN12_GLOBAL__N_127rocblas_gemm_batched_kernelIiLi16ELi16ELi32ELi32ELi8ELi32ELi8ELi8ELi32ELc78ELc78EKaKiiEEvlllT_PT11_llS5_llS3_PT12_llPT13_lli.private_seg_size, 0
	.set _ZN12_GLOBAL__N_127rocblas_gemm_batched_kernelIiLi16ELi16ELi32ELi32ELi8ELi32ELi8ELi8ELi32ELc78ELc78EKaKiiEEvlllT_PT11_llS5_llS3_PT12_llPT13_lli.uses_vcc, 1
	.set _ZN12_GLOBAL__N_127rocblas_gemm_batched_kernelIiLi16ELi16ELi32ELi32ELi8ELi32ELi8ELi8ELi32ELc78ELc78EKaKiiEEvlllT_PT11_llS5_llS3_PT12_llPT13_lli.uses_flat_scratch, 0
	.set _ZN12_GLOBAL__N_127rocblas_gemm_batched_kernelIiLi16ELi16ELi32ELi32ELi8ELi32ELi8ELi8ELi32ELc78ELc78EKaKiiEEvlllT_PT11_llS5_llS3_PT12_llPT13_lli.has_dyn_sized_stack, 0
	.set _ZN12_GLOBAL__N_127rocblas_gemm_batched_kernelIiLi16ELi16ELi32ELi32ELi8ELi32ELi8ELi8ELi32ELc78ELc78EKaKiiEEvlllT_PT11_llS5_llS3_PT12_llPT13_lli.has_recursion, 0
	.set _ZN12_GLOBAL__N_127rocblas_gemm_batched_kernelIiLi16ELi16ELi32ELi32ELi8ELi32ELi8ELi8ELi32ELc78ELc78EKaKiiEEvlllT_PT11_llS5_llS3_PT12_llPT13_lli.has_indirect_call, 0
	.section	.AMDGPU.csdata,"",@progbits
; Kernel info:
; codeLenInByte = 1420
; TotalNumSgprs: 38
; NumVgprs: 42
; ScratchSize: 0
; MemoryBound: 0
; FloatMode: 240
; IeeeMode: 1
; LDSByteSize: 2048 bytes/workgroup (compile time only)
; SGPRBlocks: 0
; VGPRBlocks: 2
; NumSGPRsForWavesPerEU: 38
; NumVGPRsForWavesPerEU: 42
; NamedBarCnt: 0
; Occupancy: 16
; WaveLimiterHint : 0
; COMPUTE_PGM_RSRC2:SCRATCH_EN: 0
; COMPUTE_PGM_RSRC2:USER_SGPR: 2
; COMPUTE_PGM_RSRC2:TRAP_HANDLER: 0
; COMPUTE_PGM_RSRC2:TGID_X_EN: 1
; COMPUTE_PGM_RSRC2:TGID_Y_EN: 1
; COMPUTE_PGM_RSRC2:TGID_Z_EN: 1
; COMPUTE_PGM_RSRC2:TIDIG_COMP_CNT: 1
	.section	.text._ZN12_GLOBAL__N_127rocblas_gemm_batched_kernelIiLi16ELi16ELi32ELi32ELi8ELi32ELi8ELi8ELi32ELc84ELc78EKaKiiEEvlllT_PT11_llS5_llS3_PT12_llPT13_lli,"axG",@progbits,_ZN12_GLOBAL__N_127rocblas_gemm_batched_kernelIiLi16ELi16ELi32ELi32ELi8ELi32ELi8ELi8ELi32ELc84ELc78EKaKiiEEvlllT_PT11_llS5_llS3_PT12_llPT13_lli,comdat
	.globl	_ZN12_GLOBAL__N_127rocblas_gemm_batched_kernelIiLi16ELi16ELi32ELi32ELi8ELi32ELi8ELi8ELi32ELc84ELc78EKaKiiEEvlllT_PT11_llS5_llS3_PT12_llPT13_lli ; -- Begin function _ZN12_GLOBAL__N_127rocblas_gemm_batched_kernelIiLi16ELi16ELi32ELi32ELi8ELi32ELi8ELi8ELi32ELc84ELc78EKaKiiEEvlllT_PT11_llS5_llS3_PT12_llPT13_lli
	.p2align	8
	.type	_ZN12_GLOBAL__N_127rocblas_gemm_batched_kernelIiLi16ELi16ELi32ELi32ELi8ELi32ELi8ELi8ELi32ELc84ELc78EKaKiiEEvlllT_PT11_llS5_llS3_PT12_llPT13_lli,@function
_ZN12_GLOBAL__N_127rocblas_gemm_batched_kernelIiLi16ELi16ELi32ELi32ELi8ELi32ELi8ELi8ELi32ELc84ELc78EKaKiiEEvlllT_PT11_llS5_llS3_PT12_llPT13_lli: ; @_ZN12_GLOBAL__N_127rocblas_gemm_batched_kernelIiLi16ELi16ELi32ELi32ELi8ELi32ELi8ELi8ELi32ELc84ELc78EKaKiiEEvlllT_PT11_llS5_llS3_PT12_llPT13_lli
; %bb.0:
	s_load_b32 s31, s[0:1], 0x88
	s_bfe_u32 s2, ttmp6, 0x40014
	s_lshr_b32 s3, ttmp7, 16
	s_add_co_i32 s2, s2, 1
	s_bfe_u32 s4, ttmp6, 0x40008
	s_mul_i32 s2, s3, s2
	s_getreg_b32 s28, hwreg(HW_REG_IB_STS2, 6, 4)
	s_add_co_i32 s4, s4, s2
	s_cmp_eq_u32 s28, 0
	s_cselect_b32 s2, s3, s4
	s_mov_b32 s3, 0
	s_wait_kmcnt 0x0
	s_cmp_ge_i32 s2, s31
	s_cbranch_scc1 .LBB483_10
; %bb.1:
	v_bfe_u32 v2, v0, 10, 10
	v_and_b32_e32 v4, 0x3ff, v0
	s_load_b256 s[4:11], s[0:1], 0x20
	s_bfe_u32 s29, ttmp6, 0x4000c
	s_bfe_u32 s33, ttmp6, 0x40010
	s_clause 0x2
	s_load_b128 s[20:23], s[0:1], 0x40
	s_load_b128 s[24:27], s[0:1], 0x78
	s_load_b256 s[12:19], s[0:1], 0x58
	s_add_co_i32 s29, s29, 1
	s_and_b32 s34, ttmp7, 0xffff
	s_add_co_i32 s33, s33, 1
	v_lshl_add_u32 v1, v2, 4, v4
	v_mov_b32_e32 v3, 0
	s_and_b32 s30, ttmp6, 15
	s_mul_i32 s29, ttmp9, s29
	s_mul_i32 s33, s34, s33
	s_bfe_u32 s35, ttmp6, 0x40004
	s_add_co_i32 s30, s30, s29
	s_add_co_i32 s35, s35, s33
	s_cmp_eq_u32 s28, 0
	v_and_b32_e32 v14, 31, v1
	v_dual_lshrrev_b32 v10, 3, v1 :: v_dual_bitop2_b32 v8, 7, v0 bitop3:0x40
	v_dual_mov_b32 v11, v3 :: v_dual_mov_b32 v9, v3
	s_cselect_b32 s29, s34, s35
	s_cselect_b32 s28, ttmp9, s30
	s_lshl_b32 s34, s29, 5
	s_mov_b32 s35, s3
	s_ashr_i32 s29, s28, 31
	v_add_nc_u64_e32 v[12:13], s[34:35], v[10:11]
	s_lshl_b64 s[36:37], s[28:29], 5
	v_dual_mov_b32 v7, v3 :: v_dual_lshrrev_b32 v6, 5, v1
	v_or_b32_e32 v5, s36, v14
	v_add_nc_u64_e32 v[0:1], s[34:35], v[2:3]
	s_load_b96 s[28:30], s[0:1], 0x10
	s_wait_kmcnt 0x0
	v_mad_nc_u64_u32 v[18:19], s20, v12, v[8:9]
	v_lshlrev_b32_e32 v8, 2, v8
	v_mad_nc_u64_u32 v[20:21], s6, v5, v[6:7]
	s_load_b32 s33, s[0:1], 0x50
	v_lshlrev_b32_e32 v16, 2, v4
	v_mul_u64_e32 v[22:23], s[14:15], v[0:1]
	v_mul_u64_e32 v[0:1], s[24:25], v[0:1]
	v_lshl_or_b32 v8, v10, 5, v8
	v_lshl_add_u32 v17, v2, 5, 0x400
	v_mad_u32 v7, s21, v12, v19
	s_delay_alu instid0(VALU_DEP_3) | instskip(SKIP_4) | instid1(VALU_DEP_2)
	v_add_nc_u32_e32 v15, 0x400, v8
	v_mad_u32 v9, s7, v5, v21
	v_dual_mov_b32 v5, v3 :: v_dual_lshlrev_b32 v3, 2, v14
	s_wait_xcnt 0x0
	v_cmp_gt_i64_e64 s0, s[28:29], 0
	v_lshl_or_b32 v14, v6, 7, v3
	v_mad_u32 v19, s20, v13, v7
	v_add_nc_u64_e32 v[6:7], s[36:37], v[4:5]
	v_mad_u32 v21, s6, s37, v9
	s_wait_kmcnt 0x0
	s_cmp_lg_u32 s33, 0
	v_cndmask_b32_e64 v10, 0, 1, s0
	s_cselect_b32 s1, -1, 0
	s_lshl_b64 s[6:7], s[24:25], 4
	v_lshlrev_b64_e32 v[6:7], 2, v[6:7]
	s_delay_alu instid0(VALU_DEP_2)
	v_cmp_ne_u32_e64 s0, 1, v10
	v_add_nc_u64_e32 v[2:3], s[10:11], v[18:19]
	v_add_nc_u64_e32 v[4:5], s[4:5], v[20:21]
	s_lshl_b64 s[4:5], s[14:15], 4
	v_lshl_add_u64 v[8:9], v[22:23], 2, s[12:13]
	s_branch .LBB483_3
.LBB483_2:                              ;   in Loop: Header=BB483_3 Depth=1
	s_add_co_i32 s2, s2, 0x10000
	s_delay_alu instid0(SALU_CYCLE_1)
	s_cmp_lt_i32 s2, s31
	s_cbranch_scc0 .LBB483_10
.LBB483_3:                              ; =>This Loop Header: Depth=1
                                        ;     Child Loop BB483_5 Depth 2
	s_wait_xcnt 0x1
	v_dual_mov_b32 v20, 0 :: v_dual_mov_b32 v19, 0
	s_wait_xcnt 0x0
	v_dual_mov_b32 v21, 0 :: v_dual_mov_b32 v18, 0
	s_and_b32 vcc_lo, exec_lo, s0
	s_cbranch_vccnz .LBB483_6
; %bb.4:                                ;   in Loop: Header=BB483_3 Depth=1
	v_mad_nc_u64_u32 v[10:11], s22, s2, v[2:3]
	v_mad_nc_u64_u32 v[12:13], s8, s2, v[4:5]
	v_dual_mov_b32 v18, 0 :: v_dual_mov_b32 v21, 0
	v_dual_mov_b32 v19, 0 :: v_dual_mov_b32 v20, 0
	s_mov_b64 s[10:11], 0
	s_delay_alu instid0(VALU_DEP_4) | instskip(NEXT) | instid1(VALU_DEP_4)
	v_mad_u32 v11, s23, s2, v11
	v_mad_u32 v13, s9, s2, v13
.LBB483_5:                              ;   Parent Loop BB483_3 Depth=1
                                        ; =>  This Inner Loop Header: Depth=2
	s_delay_alu instid0(VALU_DEP_1) | instskip(NEXT) | instid1(VALU_DEP_3)
	v_add_nc_u64_e32 v[22:23], s[10:11], v[12:13]
	v_add_nc_u64_e32 v[24:25], s[10:11], v[10:11]
	s_add_nc_u64 s[10:11], s[10:11], 8
	global_load_i8 v26, v[22:23], off
	global_load_i8 v27, v[24:25], off
	v_cmp_lt_i64_e64 s12, s[10:11], s[28:29]
	s_wait_loadcnt 0x1
	ds_store_b32 v14, v26
	s_wait_loadcnt 0x0
	ds_store_b32 v15, v27
	s_wait_dscnt 0x0
	s_barrier_signal -1
	s_barrier_wait -1
	ds_load_2addr_b32 v[38:39], v16 offset1:16
	s_wait_xcnt 0x0
	ds_load_b128 v[22:25], v17
	ds_load_b128 v[26:29], v17 offset:512
	ds_load_2addr_b32 v[40:41], v16 offset0:32 offset1:48
	ds_load_b128 v[30:33], v17 offset:16
	ds_load_b128 v[34:37], v17 offset:528
	s_and_b32 vcc_lo, exec_lo, s12
	s_wait_dscnt 0x4
	v_mad_u32 v21, v22, v38, v21
	s_wait_dscnt 0x3
	v_mad_u32 v38, v26, v38, v19
	v_mad_u32 v20, v22, v39, v20
	v_mad_u32 v22, v26, v39, v18
	ds_load_2addr_b32 v[18:19], v16 offset0:64 offset1:80
	s_wait_dscnt 0x3
	v_mad_u32 v26, v23, v40, v21
	v_mad_u32 v38, v27, v40, v38
	v_mad_u32 v23, v23, v41, v20
	v_mad_u32 v22, v27, v41, v22
	ds_load_2addr_b32 v[20:21], v16 offset0:96 offset1:112
	s_wait_dscnt 0x1
	v_mad_u32 v26, v24, v18, v26
	;; [unrolled: 6-line block ×5, first 2 shown]
	v_mad_u32 v20, v35, v20, v25
	v_mad_u32 v25, v31, v21, v23
	;; [unrolled: 1-line block ×3, first 2 shown]
	ds_load_2addr_b32 v[22:23], v16 offset0:224 offset1:240
	s_wait_dscnt 0x0
	s_barrier_signal -1
	s_barrier_wait -1
	v_mad_u32 v24, v32, v18, v24
	v_mad_u32 v18, v36, v18, v20
	;; [unrolled: 1-line block ×4, first 2 shown]
	s_delay_alu instid0(VALU_DEP_4) | instskip(NEXT) | instid1(VALU_DEP_4)
	v_mad_u32 v21, v33, v22, v24
	v_mad_u32 v19, v37, v22, v18
	s_delay_alu instid0(VALU_DEP_4) | instskip(NEXT) | instid1(VALU_DEP_4)
	v_mad_u32 v20, v33, v23, v20
	v_mad_u32 v18, v37, v23, v25
	s_cbranch_vccnz .LBB483_5
.LBB483_6:                              ;   in Loop: Header=BB483_3 Depth=1
	s_mul_u64 s[10:11], s[26:27], s[2:3]
	s_delay_alu instid0(VALU_DEP_1) | instskip(SKIP_1) | instid1(VALU_DEP_3)
	v_mul_lo_u32 v21, v21, s30
	s_lshl_b64 s[10:11], s[10:11], 2
	v_mul_lo_u32 v20, v20, s30
	s_add_nc_u64 s[10:11], s[18:19], s[10:11]
	v_mul_lo_u32 v19, v19, s30
	v_lshl_add_u64 v[12:13], v[0:1], 2, s[10:11]
	v_mul_lo_u32 v18, v18, s30
	s_and_not1_b32 vcc_lo, exec_lo, s1
	s_delay_alu instid0(VALU_DEP_2)
	v_add_nc_u64_e32 v[10:11], v[12:13], v[6:7]
	v_lshl_add_u64 v[12:13], s[6:7], 2, v[12:13]
	s_cbranch_vccnz .LBB483_8
; %bb.7:                                ;   in Loop: Header=BB483_3 Depth=1
	s_mul_u64 s[10:11], s[16:17], s[2:3]
	s_delay_alu instid0(SALU_CYCLE_1) | instskip(NEXT) | instid1(VALU_DEP_1)
	v_lshl_add_u64 v[22:23], s[10:11], 2, v[8:9]
	v_add_nc_u64_e32 v[24:25], v[22:23], v[6:7]
	v_lshl_add_u64 v[22:23], s[4:5], 2, v[22:23]
	s_delay_alu instid0(VALU_DEP_1)
	v_add_nc_u64_e32 v[22:23], v[22:23], v[6:7]
	global_load_b32 v26, v[24:25], off
	s_wait_loadcnt 0x0
	v_mad_u32 v26, v26, s33, v21
	global_store_b32 v[10:11], v26, off
	global_load_b32 v24, v[24:25], off offset:64
	s_wait_loadcnt 0x0
	s_wait_xcnt 0x0
	v_mad_u32 v24, v24, s33, v20
	global_store_b32 v[10:11], v24, off offset:64
	global_load_b32 v24, v[22:23], off
	s_wait_loadcnt 0x0
	v_mad_u32 v26, v24, s33, v19
	v_add_nc_u64_e32 v[24:25], v[12:13], v[6:7]
	global_store_b32 v[24:25], v26, off
	global_load_b32 v22, v[22:23], off offset:64
	s_wait_loadcnt 0x0
	s_wait_xcnt 0x0
	v_mad_u32 v22, v22, s33, v18
	global_store_b32 v[24:25], v22, off offset:64
	s_cbranch_execnz .LBB483_2
	s_branch .LBB483_9
.LBB483_8:                              ;   in Loop: Header=BB483_3 Depth=1
.LBB483_9:                              ;   in Loop: Header=BB483_3 Depth=1
	s_delay_alu instid0(VALU_DEP_1)
	v_add_nc_u64_e32 v[12:13], v[12:13], v[6:7]
	s_clause 0x3
	global_store_b32 v[10:11], v21, off
	global_store_b32 v[10:11], v20, off offset:64
	global_store_b32 v[12:13], v19, off
	global_store_b32 v[12:13], v18, off offset:64
	s_branch .LBB483_2
.LBB483_10:
	s_endpgm
	.section	.rodata,"a",@progbits
	.p2align	6, 0x0
	.amdhsa_kernel _ZN12_GLOBAL__N_127rocblas_gemm_batched_kernelIiLi16ELi16ELi32ELi32ELi8ELi32ELi8ELi8ELi32ELc84ELc78EKaKiiEEvlllT_PT11_llS5_llS3_PT12_llPT13_lli
		.amdhsa_group_segment_fixed_size 2048
		.amdhsa_private_segment_fixed_size 0
		.amdhsa_kernarg_size 140
		.amdhsa_user_sgpr_count 2
		.amdhsa_user_sgpr_dispatch_ptr 0
		.amdhsa_user_sgpr_queue_ptr 0
		.amdhsa_user_sgpr_kernarg_segment_ptr 1
		.amdhsa_user_sgpr_dispatch_id 0
		.amdhsa_user_sgpr_kernarg_preload_length 0
		.amdhsa_user_sgpr_kernarg_preload_offset 0
		.amdhsa_user_sgpr_private_segment_size 0
		.amdhsa_wavefront_size32 1
		.amdhsa_uses_dynamic_stack 0
		.amdhsa_enable_private_segment 0
		.amdhsa_system_sgpr_workgroup_id_x 1
		.amdhsa_system_sgpr_workgroup_id_y 1
		.amdhsa_system_sgpr_workgroup_id_z 1
		.amdhsa_system_sgpr_workgroup_info 0
		.amdhsa_system_vgpr_workitem_id 1
		.amdhsa_next_free_vgpr 42
		.amdhsa_next_free_sgpr 38
		.amdhsa_named_barrier_count 0
		.amdhsa_reserve_vcc 1
		.amdhsa_float_round_mode_32 0
		.amdhsa_float_round_mode_16_64 0
		.amdhsa_float_denorm_mode_32 3
		.amdhsa_float_denorm_mode_16_64 3
		.amdhsa_fp16_overflow 0
		.amdhsa_memory_ordered 1
		.amdhsa_forward_progress 1
		.amdhsa_inst_pref_size 12
		.amdhsa_round_robin_scheduling 0
		.amdhsa_exception_fp_ieee_invalid_op 0
		.amdhsa_exception_fp_denorm_src 0
		.amdhsa_exception_fp_ieee_div_zero 0
		.amdhsa_exception_fp_ieee_overflow 0
		.amdhsa_exception_fp_ieee_underflow 0
		.amdhsa_exception_fp_ieee_inexact 0
		.amdhsa_exception_int_div_zero 0
	.end_amdhsa_kernel
	.section	.text._ZN12_GLOBAL__N_127rocblas_gemm_batched_kernelIiLi16ELi16ELi32ELi32ELi8ELi32ELi8ELi8ELi32ELc84ELc78EKaKiiEEvlllT_PT11_llS5_llS3_PT12_llPT13_lli,"axG",@progbits,_ZN12_GLOBAL__N_127rocblas_gemm_batched_kernelIiLi16ELi16ELi32ELi32ELi8ELi32ELi8ELi8ELi32ELc84ELc78EKaKiiEEvlllT_PT11_llS5_llS3_PT12_llPT13_lli,comdat
.Lfunc_end483:
	.size	_ZN12_GLOBAL__N_127rocblas_gemm_batched_kernelIiLi16ELi16ELi32ELi32ELi8ELi32ELi8ELi8ELi32ELc84ELc78EKaKiiEEvlllT_PT11_llS5_llS3_PT12_llPT13_lli, .Lfunc_end483-_ZN12_GLOBAL__N_127rocblas_gemm_batched_kernelIiLi16ELi16ELi32ELi32ELi8ELi32ELi8ELi8ELi32ELc84ELc78EKaKiiEEvlllT_PT11_llS5_llS3_PT12_llPT13_lli
                                        ; -- End function
	.set _ZN12_GLOBAL__N_127rocblas_gemm_batched_kernelIiLi16ELi16ELi32ELi32ELi8ELi32ELi8ELi8ELi32ELc84ELc78EKaKiiEEvlllT_PT11_llS5_llS3_PT12_llPT13_lli.num_vgpr, 42
	.set _ZN12_GLOBAL__N_127rocblas_gemm_batched_kernelIiLi16ELi16ELi32ELi32ELi8ELi32ELi8ELi8ELi32ELc84ELc78EKaKiiEEvlllT_PT11_llS5_llS3_PT12_llPT13_lli.num_agpr, 0
	.set _ZN12_GLOBAL__N_127rocblas_gemm_batched_kernelIiLi16ELi16ELi32ELi32ELi8ELi32ELi8ELi8ELi32ELc84ELc78EKaKiiEEvlllT_PT11_llS5_llS3_PT12_llPT13_lli.numbered_sgpr, 38
	.set _ZN12_GLOBAL__N_127rocblas_gemm_batched_kernelIiLi16ELi16ELi32ELi32ELi8ELi32ELi8ELi8ELi32ELc84ELc78EKaKiiEEvlllT_PT11_llS5_llS3_PT12_llPT13_lli.num_named_barrier, 0
	.set _ZN12_GLOBAL__N_127rocblas_gemm_batched_kernelIiLi16ELi16ELi32ELi32ELi8ELi32ELi8ELi8ELi32ELc84ELc78EKaKiiEEvlllT_PT11_llS5_llS3_PT12_llPT13_lli.private_seg_size, 0
	.set _ZN12_GLOBAL__N_127rocblas_gemm_batched_kernelIiLi16ELi16ELi32ELi32ELi8ELi32ELi8ELi8ELi32ELc84ELc78EKaKiiEEvlllT_PT11_llS5_llS3_PT12_llPT13_lli.uses_vcc, 1
	.set _ZN12_GLOBAL__N_127rocblas_gemm_batched_kernelIiLi16ELi16ELi32ELi32ELi8ELi32ELi8ELi8ELi32ELc84ELc78EKaKiiEEvlllT_PT11_llS5_llS3_PT12_llPT13_lli.uses_flat_scratch, 0
	.set _ZN12_GLOBAL__N_127rocblas_gemm_batched_kernelIiLi16ELi16ELi32ELi32ELi8ELi32ELi8ELi8ELi32ELc84ELc78EKaKiiEEvlllT_PT11_llS5_llS3_PT12_llPT13_lli.has_dyn_sized_stack, 0
	.set _ZN12_GLOBAL__N_127rocblas_gemm_batched_kernelIiLi16ELi16ELi32ELi32ELi8ELi32ELi8ELi8ELi32ELc84ELc78EKaKiiEEvlllT_PT11_llS5_llS3_PT12_llPT13_lli.has_recursion, 0
	.set _ZN12_GLOBAL__N_127rocblas_gemm_batched_kernelIiLi16ELi16ELi32ELi32ELi8ELi32ELi8ELi8ELi32ELc84ELc78EKaKiiEEvlllT_PT11_llS5_llS3_PT12_llPT13_lli.has_indirect_call, 0
	.section	.AMDGPU.csdata,"",@progbits
; Kernel info:
; codeLenInByte = 1436
; TotalNumSgprs: 40
; NumVgprs: 42
; ScratchSize: 0
; MemoryBound: 0
; FloatMode: 240
; IeeeMode: 1
; LDSByteSize: 2048 bytes/workgroup (compile time only)
; SGPRBlocks: 0
; VGPRBlocks: 2
; NumSGPRsForWavesPerEU: 40
; NumVGPRsForWavesPerEU: 42
; NamedBarCnt: 0
; Occupancy: 16
; WaveLimiterHint : 0
; COMPUTE_PGM_RSRC2:SCRATCH_EN: 0
; COMPUTE_PGM_RSRC2:USER_SGPR: 2
; COMPUTE_PGM_RSRC2:TRAP_HANDLER: 0
; COMPUTE_PGM_RSRC2:TGID_X_EN: 1
; COMPUTE_PGM_RSRC2:TGID_Y_EN: 1
; COMPUTE_PGM_RSRC2:TGID_Z_EN: 1
; COMPUTE_PGM_RSRC2:TIDIG_COMP_CNT: 1
	.section	.text._ZN12_GLOBAL__N_127rocblas_gemm_batched_kernelIiLi16ELi16ELi32ELi32ELi8ELi32ELi8ELi8ELi32ELc78ELc84EKaKiiEEvlllT_PT11_llS5_llS3_PT12_llPT13_lli,"axG",@progbits,_ZN12_GLOBAL__N_127rocblas_gemm_batched_kernelIiLi16ELi16ELi32ELi32ELi8ELi32ELi8ELi8ELi32ELc78ELc84EKaKiiEEvlllT_PT11_llS5_llS3_PT12_llPT13_lli,comdat
	.globl	_ZN12_GLOBAL__N_127rocblas_gemm_batched_kernelIiLi16ELi16ELi32ELi32ELi8ELi32ELi8ELi8ELi32ELc78ELc84EKaKiiEEvlllT_PT11_llS5_llS3_PT12_llPT13_lli ; -- Begin function _ZN12_GLOBAL__N_127rocblas_gemm_batched_kernelIiLi16ELi16ELi32ELi32ELi8ELi32ELi8ELi8ELi32ELc78ELc84EKaKiiEEvlllT_PT11_llS5_llS3_PT12_llPT13_lli
	.p2align	8
	.type	_ZN12_GLOBAL__N_127rocblas_gemm_batched_kernelIiLi16ELi16ELi32ELi32ELi8ELi32ELi8ELi8ELi32ELc78ELc84EKaKiiEEvlllT_PT11_llS5_llS3_PT12_llPT13_lli,@function
_ZN12_GLOBAL__N_127rocblas_gemm_batched_kernelIiLi16ELi16ELi32ELi32ELi8ELi32ELi8ELi8ELi32ELc78ELc84EKaKiiEEvlllT_PT11_llS5_llS3_PT12_llPT13_lli: ; @_ZN12_GLOBAL__N_127rocblas_gemm_batched_kernelIiLi16ELi16ELi32ELi32ELi8ELi32ELi8ELi8ELi32ELc78ELc84EKaKiiEEvlllT_PT11_llS5_llS3_PT12_llPT13_lli
; %bb.0:
	s_load_b32 s31, s[0:1], 0x88
	s_bfe_u32 s2, ttmp6, 0x40014
	s_lshr_b32 s3, ttmp7, 16
	s_add_co_i32 s2, s2, 1
	s_bfe_u32 s4, ttmp6, 0x40008
	s_mul_i32 s2, s3, s2
	s_getreg_b32 s28, hwreg(HW_REG_IB_STS2, 6, 4)
	s_add_co_i32 s4, s4, s2
	s_cmp_eq_u32 s28, 0
	s_cselect_b32 s2, s3, s4
	s_mov_b32 s3, 0
	s_wait_kmcnt 0x0
	s_cmp_ge_i32 s2, s31
	s_cbranch_scc1 .LBB484_10
; %bb.1:
	s_clause 0x3
	s_load_b256 s[4:11], s[0:1], 0x20
	s_load_b128 s[20:23], s[0:1], 0x40
	s_load_b128 s[24:27], s[0:1], 0x78
	s_load_b256 s[12:19], s[0:1], 0x58
	s_bfe_u32 s29, ttmp6, 0x4000c
	s_bfe_u32 s33, ttmp6, 0x40010
	s_add_co_i32 s29, s29, 1
	s_and_b32 s34, ttmp7, 0xffff
	s_add_co_i32 s33, s33, 1
	v_bfe_u32 v2, v0, 10, 10
	v_and_b32_e32 v4, 0x3ff, v0
	s_and_b32 s30, ttmp6, 15
	s_mul_i32 s29, ttmp9, s29
	s_mul_i32 s33, s34, s33
	s_bfe_u32 s35, ttmp6, 0x40004
	s_add_co_i32 s30, s30, s29
	s_add_co_i32 s35, s35, s33
	s_cmp_eq_u32 s28, 0
	v_lshl_add_u32 v1, v2, 4, v4
	v_mov_b32_e32 v3, 0
	s_cselect_b32 s28, s34, s35
	s_cselect_b32 s34, ttmp9, s30
	s_lshl_b32 s36, s28, 5
	s_mov_b32 s37, s3
	v_lshrrev_b32_e32 v14, 5, v1
	v_add_nc_u64_e32 v[6:7], s[36:37], v[2:3]
	s_ashr_i32 s35, s34, 31
	s_load_b96 s[28:30], s[0:1], 0x10
	s_lshl_b64 s[34:35], s[34:35], 5
	v_dual_lshrrev_b32 v8, 3, v1 :: v_dual_bitop2_b32 v16, 7, v0 bitop3:0x40
	s_wait_kmcnt 0x0
	v_mad_nc_u64_u32 v[12:13], s6, v14, s[34:35]
	v_mul_u64_e32 v[10:11], s[14:15], v[6:7]
	v_dual_mov_b32 v9, v3 :: v_dual_bitop2_b32 v18, 31, v1 bitop3:0x40
	v_mul_u64_e32 v[0:1], s[24:25], v[6:7]
	s_load_b32 s1, s[0:1], 0x50
	v_lshlrev_b32_e32 v5, 2, v16
	s_delay_alu instid0(VALU_DEP_3)
	v_mad_nc_u64_u32 v[6:7], s20, v16, v[8:9]
	v_dual_lshlrev_b32 v9, 2, v18 :: v_dual_mov_b32 v19, v3
	s_add_nc_u64 s[10:11], s[10:11], s[36:37]
	v_mad_u32 v13, s7, v14, v13
	v_lshl_or_b32 v8, v8, 5, v5
	v_mov_b32_e32 v5, v3
	v_lshl_or_b32 v14, v14, 7, v9
	v_lshl_add_u32 v17, v2, 5, 0x400
	s_wait_xcnt 0x0
	v_cmp_gt_i64_e64 s0, s[28:29], 0
	v_add_nc_u32_e32 v15, 0x400, v8
	v_mad_u32 v7, s21, v16, v7
	v_lshlrev_b32_e32 v16, 2, v4
	s_lshl_b64 s[6:7], s[6:7], 3
	s_lshl_b64 s[20:21], s[20:21], 3
	v_add_nc_u64_e32 v[8:9], v[12:13], v[18:19]
	v_add_nc_u64_e32 v[12:13], s[34:35], v[4:5]
	v_cndmask_b32_e64 v18, 0, 1, s0
	s_wait_kmcnt 0x0
	s_cmp_lg_u32 s1, 0
	s_cselect_b32 s33, -1, 0
	v_add_nc_u64_e32 v[2:3], s[10:11], v[6:7]
	v_add_nc_u64_e32 v[4:5], s[4:5], v[8:9]
	v_lshlrev_b64_e32 v[6:7], 2, v[12:13]
	v_cmp_ne_u32_e64 s0, 1, v18
	v_lshl_add_u64 v[8:9], v[10:11], 2, s[12:13]
	s_lshl_b64 s[4:5], s[14:15], 4
	s_lshl_b64 s[10:11], s[24:25], 4
	s_branch .LBB484_3
.LBB484_2:                              ;   in Loop: Header=BB484_3 Depth=1
	s_add_co_i32 s2, s2, 0x10000
	s_delay_alu instid0(SALU_CYCLE_1)
	s_cmp_lt_i32 s2, s31
	s_cbranch_scc0 .LBB484_10
.LBB484_3:                              ; =>This Loop Header: Depth=1
                                        ;     Child Loop BB484_5 Depth 2
	s_wait_xcnt 0x1
	v_dual_mov_b32 v20, 0 :: v_dual_mov_b32 v19, 0
	s_wait_xcnt 0x0
	v_dual_mov_b32 v21, 0 :: v_dual_mov_b32 v18, 0
	s_and_b32 vcc_lo, exec_lo, s0
	s_cbranch_vccnz .LBB484_6
; %bb.4:                                ;   in Loop: Header=BB484_3 Depth=1
	v_mad_nc_u64_u32 v[10:11], s22, s2, v[2:3]
	v_mad_nc_u64_u32 v[12:13], s8, s2, v[4:5]
	v_dual_mov_b32 v18, 0 :: v_dual_mov_b32 v21, 0
	v_dual_mov_b32 v19, 0 :: v_dual_mov_b32 v20, 0
	s_mov_b64 s[12:13], 0
	s_delay_alu instid0(VALU_DEP_4) | instskip(NEXT) | instid1(VALU_DEP_4)
	v_mad_u32 v11, s23, s2, v11
	v_mad_u32 v13, s9, s2, v13
.LBB484_5:                              ;   Parent Loop BB484_3 Depth=1
                                        ; =>  This Inner Loop Header: Depth=2
	global_load_i8 v22, v[12:13], off
	global_load_i8 v23, v[10:11], off
	s_add_nc_u64 s[12:13], s[12:13], 8
	s_wait_xcnt 0x0
	v_add_nc_u64_e32 v[10:11], s[20:21], v[10:11]
	v_cmp_lt_i64_e64 s14, s[12:13], s[28:29]
	v_add_nc_u64_e32 v[12:13], s[6:7], v[12:13]
	s_wait_loadcnt 0x1
	ds_store_b32 v14, v22
	s_wait_loadcnt 0x0
	ds_store_b32 v15, v23
	s_wait_dscnt 0x0
	s_barrier_signal -1
	s_barrier_wait -1
	ds_load_2addr_b32 v[38:39], v16 offset1:16
	ds_load_b128 v[22:25], v17
	ds_load_b128 v[26:29], v17 offset:512
	ds_load_2addr_b32 v[40:41], v16 offset0:32 offset1:48
	ds_load_b128 v[30:33], v17 offset:16
	ds_load_b128 v[34:37], v17 offset:528
	s_and_b32 vcc_lo, exec_lo, s14
	s_wait_dscnt 0x4
	v_mad_u32 v21, v22, v38, v21
	s_wait_dscnt 0x3
	v_mad_u32 v38, v26, v38, v19
	v_mad_u32 v20, v22, v39, v20
	v_mad_u32 v22, v26, v39, v18
	ds_load_2addr_b32 v[18:19], v16 offset0:64 offset1:80
	s_wait_dscnt 0x3
	v_mad_u32 v26, v23, v40, v21
	v_mad_u32 v38, v27, v40, v38
	v_mad_u32 v23, v23, v41, v20
	v_mad_u32 v22, v27, v41, v22
	ds_load_2addr_b32 v[20:21], v16 offset0:96 offset1:112
	s_wait_dscnt 0x1
	v_mad_u32 v26, v24, v18, v26
	;; [unrolled: 6-line block ×5, first 2 shown]
	v_mad_u32 v20, v35, v20, v25
	v_mad_u32 v25, v31, v21, v23
	;; [unrolled: 1-line block ×3, first 2 shown]
	ds_load_2addr_b32 v[22:23], v16 offset0:224 offset1:240
	s_wait_dscnt 0x0
	s_barrier_signal -1
	s_barrier_wait -1
	v_mad_u32 v24, v32, v18, v24
	v_mad_u32 v18, v36, v18, v20
	;; [unrolled: 1-line block ×4, first 2 shown]
	s_delay_alu instid0(VALU_DEP_4) | instskip(NEXT) | instid1(VALU_DEP_4)
	v_mad_u32 v21, v33, v22, v24
	v_mad_u32 v19, v37, v22, v18
	s_delay_alu instid0(VALU_DEP_4) | instskip(NEXT) | instid1(VALU_DEP_4)
	v_mad_u32 v20, v33, v23, v20
	v_mad_u32 v18, v37, v23, v25
	s_cbranch_vccnz .LBB484_5
.LBB484_6:                              ;   in Loop: Header=BB484_3 Depth=1
	s_mul_u64 s[12:13], s[26:27], s[2:3]
	s_delay_alu instid0(VALU_DEP_1) | instskip(SKIP_1) | instid1(VALU_DEP_3)
	v_mul_lo_u32 v21, v21, s30
	s_lshl_b64 s[12:13], s[12:13], 2
	v_mul_lo_u32 v20, v20, s30
	s_add_nc_u64 s[12:13], s[18:19], s[12:13]
	v_mul_lo_u32 v19, v19, s30
	v_lshl_add_u64 v[12:13], v[0:1], 2, s[12:13]
	v_mul_lo_u32 v18, v18, s30
	s_and_not1_b32 vcc_lo, exec_lo, s33
	s_delay_alu instid0(VALU_DEP_2)
	v_add_nc_u64_e32 v[10:11], v[12:13], v[6:7]
	v_lshl_add_u64 v[12:13], s[10:11], 2, v[12:13]
	s_cbranch_vccnz .LBB484_8
; %bb.7:                                ;   in Loop: Header=BB484_3 Depth=1
	s_mul_u64 s[12:13], s[16:17], s[2:3]
	s_delay_alu instid0(SALU_CYCLE_1) | instskip(NEXT) | instid1(VALU_DEP_1)
	v_lshl_add_u64 v[22:23], s[12:13], 2, v[8:9]
	v_add_nc_u64_e32 v[24:25], v[22:23], v[6:7]
	v_lshl_add_u64 v[22:23], s[4:5], 2, v[22:23]
	s_delay_alu instid0(VALU_DEP_1)
	v_add_nc_u64_e32 v[22:23], v[22:23], v[6:7]
	global_load_b32 v26, v[24:25], off
	s_wait_loadcnt 0x0
	v_mad_u32 v26, v26, s1, v21
	global_store_b32 v[10:11], v26, off
	global_load_b32 v24, v[24:25], off offset:64
	s_wait_loadcnt 0x0
	s_wait_xcnt 0x0
	v_mad_u32 v24, v24, s1, v20
	global_store_b32 v[10:11], v24, off offset:64
	global_load_b32 v24, v[22:23], off
	s_wait_loadcnt 0x0
	v_mad_u32 v26, v24, s1, v19
	v_add_nc_u64_e32 v[24:25], v[12:13], v[6:7]
	global_store_b32 v[24:25], v26, off
	global_load_b32 v22, v[22:23], off offset:64
	s_wait_loadcnt 0x0
	s_wait_xcnt 0x0
	v_mad_u32 v22, v22, s1, v18
	global_store_b32 v[24:25], v22, off offset:64
	s_cbranch_execnz .LBB484_2
	s_branch .LBB484_9
.LBB484_8:                              ;   in Loop: Header=BB484_3 Depth=1
.LBB484_9:                              ;   in Loop: Header=BB484_3 Depth=1
	s_delay_alu instid0(VALU_DEP_1)
	v_add_nc_u64_e32 v[12:13], v[12:13], v[6:7]
	s_clause 0x3
	global_store_b32 v[10:11], v21, off
	global_store_b32 v[10:11], v20, off offset:64
	global_store_b32 v[12:13], v19, off
	global_store_b32 v[12:13], v18, off offset:64
	s_branch .LBB484_2
.LBB484_10:
	s_endpgm
	.section	.rodata,"a",@progbits
	.p2align	6, 0x0
	.amdhsa_kernel _ZN12_GLOBAL__N_127rocblas_gemm_batched_kernelIiLi16ELi16ELi32ELi32ELi8ELi32ELi8ELi8ELi32ELc78ELc84EKaKiiEEvlllT_PT11_llS5_llS3_PT12_llPT13_lli
		.amdhsa_group_segment_fixed_size 2048
		.amdhsa_private_segment_fixed_size 0
		.amdhsa_kernarg_size 140
		.amdhsa_user_sgpr_count 2
		.amdhsa_user_sgpr_dispatch_ptr 0
		.amdhsa_user_sgpr_queue_ptr 0
		.amdhsa_user_sgpr_kernarg_segment_ptr 1
		.amdhsa_user_sgpr_dispatch_id 0
		.amdhsa_user_sgpr_kernarg_preload_length 0
		.amdhsa_user_sgpr_kernarg_preload_offset 0
		.amdhsa_user_sgpr_private_segment_size 0
		.amdhsa_wavefront_size32 1
		.amdhsa_uses_dynamic_stack 0
		.amdhsa_enable_private_segment 0
		.amdhsa_system_sgpr_workgroup_id_x 1
		.amdhsa_system_sgpr_workgroup_id_y 1
		.amdhsa_system_sgpr_workgroup_id_z 1
		.amdhsa_system_sgpr_workgroup_info 0
		.amdhsa_system_vgpr_workitem_id 1
		.amdhsa_next_free_vgpr 42
		.amdhsa_next_free_sgpr 38
		.amdhsa_named_barrier_count 0
		.amdhsa_reserve_vcc 1
		.amdhsa_float_round_mode_32 0
		.amdhsa_float_round_mode_16_64 0
		.amdhsa_float_denorm_mode_32 3
		.amdhsa_float_denorm_mode_16_64 3
		.amdhsa_fp16_overflow 0
		.amdhsa_memory_ordered 1
		.amdhsa_forward_progress 1
		.amdhsa_inst_pref_size 12
		.amdhsa_round_robin_scheduling 0
		.amdhsa_exception_fp_ieee_invalid_op 0
		.amdhsa_exception_fp_denorm_src 0
		.amdhsa_exception_fp_ieee_div_zero 0
		.amdhsa_exception_fp_ieee_overflow 0
		.amdhsa_exception_fp_ieee_underflow 0
		.amdhsa_exception_fp_ieee_inexact 0
		.amdhsa_exception_int_div_zero 0
	.end_amdhsa_kernel
	.section	.text._ZN12_GLOBAL__N_127rocblas_gemm_batched_kernelIiLi16ELi16ELi32ELi32ELi8ELi32ELi8ELi8ELi32ELc78ELc84EKaKiiEEvlllT_PT11_llS5_llS3_PT12_llPT13_lli,"axG",@progbits,_ZN12_GLOBAL__N_127rocblas_gemm_batched_kernelIiLi16ELi16ELi32ELi32ELi8ELi32ELi8ELi8ELi32ELc78ELc84EKaKiiEEvlllT_PT11_llS5_llS3_PT12_llPT13_lli,comdat
.Lfunc_end484:
	.size	_ZN12_GLOBAL__N_127rocblas_gemm_batched_kernelIiLi16ELi16ELi32ELi32ELi8ELi32ELi8ELi8ELi32ELc78ELc84EKaKiiEEvlllT_PT11_llS5_llS3_PT12_llPT13_lli, .Lfunc_end484-_ZN12_GLOBAL__N_127rocblas_gemm_batched_kernelIiLi16ELi16ELi32ELi32ELi8ELi32ELi8ELi8ELi32ELc78ELc84EKaKiiEEvlllT_PT11_llS5_llS3_PT12_llPT13_lli
                                        ; -- End function
	.set _ZN12_GLOBAL__N_127rocblas_gemm_batched_kernelIiLi16ELi16ELi32ELi32ELi8ELi32ELi8ELi8ELi32ELc78ELc84EKaKiiEEvlllT_PT11_llS5_llS3_PT12_llPT13_lli.num_vgpr, 42
	.set _ZN12_GLOBAL__N_127rocblas_gemm_batched_kernelIiLi16ELi16ELi32ELi32ELi8ELi32ELi8ELi8ELi32ELc78ELc84EKaKiiEEvlllT_PT11_llS5_llS3_PT12_llPT13_lli.num_agpr, 0
	.set _ZN12_GLOBAL__N_127rocblas_gemm_batched_kernelIiLi16ELi16ELi32ELi32ELi8ELi32ELi8ELi8ELi32ELc78ELc84EKaKiiEEvlllT_PT11_llS5_llS3_PT12_llPT13_lli.numbered_sgpr, 38
	.set _ZN12_GLOBAL__N_127rocblas_gemm_batched_kernelIiLi16ELi16ELi32ELi32ELi8ELi32ELi8ELi8ELi32ELc78ELc84EKaKiiEEvlllT_PT11_llS5_llS3_PT12_llPT13_lli.num_named_barrier, 0
	.set _ZN12_GLOBAL__N_127rocblas_gemm_batched_kernelIiLi16ELi16ELi32ELi32ELi8ELi32ELi8ELi8ELi32ELc78ELc84EKaKiiEEvlllT_PT11_llS5_llS3_PT12_llPT13_lli.private_seg_size, 0
	.set _ZN12_GLOBAL__N_127rocblas_gemm_batched_kernelIiLi16ELi16ELi32ELi32ELi8ELi32ELi8ELi8ELi32ELc78ELc84EKaKiiEEvlllT_PT11_llS5_llS3_PT12_llPT13_lli.uses_vcc, 1
	.set _ZN12_GLOBAL__N_127rocblas_gemm_batched_kernelIiLi16ELi16ELi32ELi32ELi8ELi32ELi8ELi8ELi32ELc78ELc84EKaKiiEEvlllT_PT11_llS5_llS3_PT12_llPT13_lli.uses_flat_scratch, 0
	.set _ZN12_GLOBAL__N_127rocblas_gemm_batched_kernelIiLi16ELi16ELi32ELi32ELi8ELi32ELi8ELi8ELi32ELc78ELc84EKaKiiEEvlllT_PT11_llS5_llS3_PT12_llPT13_lli.has_dyn_sized_stack, 0
	.set _ZN12_GLOBAL__N_127rocblas_gemm_batched_kernelIiLi16ELi16ELi32ELi32ELi8ELi32ELi8ELi8ELi32ELc78ELc84EKaKiiEEvlllT_PT11_llS5_llS3_PT12_llPT13_lli.has_recursion, 0
	.set _ZN12_GLOBAL__N_127rocblas_gemm_batched_kernelIiLi16ELi16ELi32ELi32ELi8ELi32ELi8ELi8ELi32ELc78ELc84EKaKiiEEvlllT_PT11_llS5_llS3_PT12_llPT13_lli.has_indirect_call, 0
	.section	.AMDGPU.csdata,"",@progbits
; Kernel info:
; codeLenInByte = 1416
; TotalNumSgprs: 40
; NumVgprs: 42
; ScratchSize: 0
; MemoryBound: 0
; FloatMode: 240
; IeeeMode: 1
; LDSByteSize: 2048 bytes/workgroup (compile time only)
; SGPRBlocks: 0
; VGPRBlocks: 2
; NumSGPRsForWavesPerEU: 40
; NumVGPRsForWavesPerEU: 42
; NamedBarCnt: 0
; Occupancy: 16
; WaveLimiterHint : 0
; COMPUTE_PGM_RSRC2:SCRATCH_EN: 0
; COMPUTE_PGM_RSRC2:USER_SGPR: 2
; COMPUTE_PGM_RSRC2:TRAP_HANDLER: 0
; COMPUTE_PGM_RSRC2:TGID_X_EN: 1
; COMPUTE_PGM_RSRC2:TGID_Y_EN: 1
; COMPUTE_PGM_RSRC2:TGID_Z_EN: 1
; COMPUTE_PGM_RSRC2:TIDIG_COMP_CNT: 1
	.section	.text._ZN12_GLOBAL__N_127rocblas_gemm_batched_kernelIiLi16ELi16ELi32ELi32ELi8ELi32ELi8ELi8ELi32ELc84ELc84EKaKiiEEvlllT_PT11_llS5_llS3_PT12_llPT13_lli,"axG",@progbits,_ZN12_GLOBAL__N_127rocblas_gemm_batched_kernelIiLi16ELi16ELi32ELi32ELi8ELi32ELi8ELi8ELi32ELc84ELc84EKaKiiEEvlllT_PT11_llS5_llS3_PT12_llPT13_lli,comdat
	.globl	_ZN12_GLOBAL__N_127rocblas_gemm_batched_kernelIiLi16ELi16ELi32ELi32ELi8ELi32ELi8ELi8ELi32ELc84ELc84EKaKiiEEvlllT_PT11_llS5_llS3_PT12_llPT13_lli ; -- Begin function _ZN12_GLOBAL__N_127rocblas_gemm_batched_kernelIiLi16ELi16ELi32ELi32ELi8ELi32ELi8ELi8ELi32ELc84ELc84EKaKiiEEvlllT_PT11_llS5_llS3_PT12_llPT13_lli
	.p2align	8
	.type	_ZN12_GLOBAL__N_127rocblas_gemm_batched_kernelIiLi16ELi16ELi32ELi32ELi8ELi32ELi8ELi8ELi32ELc84ELc84EKaKiiEEvlllT_PT11_llS5_llS3_PT12_llPT13_lli,@function
_ZN12_GLOBAL__N_127rocblas_gemm_batched_kernelIiLi16ELi16ELi32ELi32ELi8ELi32ELi8ELi8ELi32ELc84ELc84EKaKiiEEvlllT_PT11_llS5_llS3_PT12_llPT13_lli: ; @_ZN12_GLOBAL__N_127rocblas_gemm_batched_kernelIiLi16ELi16ELi32ELi32ELi8ELi32ELi8ELi8ELi32ELc84ELc84EKaKiiEEvlllT_PT11_llS5_llS3_PT12_llPT13_lli
; %bb.0:
	s_load_b32 s31, s[0:1], 0x88
	s_bfe_u32 s2, ttmp6, 0x40014
	s_lshr_b32 s3, ttmp7, 16
	s_add_co_i32 s2, s2, 1
	s_bfe_u32 s4, ttmp6, 0x40008
	s_mul_i32 s2, s3, s2
	s_getreg_b32 s28, hwreg(HW_REG_IB_STS2, 6, 4)
	s_add_co_i32 s4, s4, s2
	s_cmp_eq_u32 s28, 0
	s_cselect_b32 s2, s3, s4
	s_mov_b32 s3, 0
	s_wait_kmcnt 0x0
	s_cmp_ge_i32 s2, s31
	s_cbranch_scc1 .LBB485_10
; %bb.1:
	v_bfe_u32 v2, v0, 10, 10
	v_and_b32_e32 v4, 0x3ff, v0
	s_bfe_u32 s30, ttmp6, 0x4000c
	s_bfe_u32 s33, ttmp6, 0x40010
	s_clause 0x2
	s_load_b256 s[4:11], s[0:1], 0x20
	s_load_b128 s[20:23], s[0:1], 0x40
	s_load_b128 s[24:27], s[0:1], 0x78
	s_add_co_i32 s30, s30, 1
	s_and_b32 s34, ttmp7, 0xffff
	s_add_co_i32 s33, s33, 1
	s_load_b256 s[12:19], s[0:1], 0x58
	s_and_b32 s29, ttmp6, 15
	s_mul_i32 s30, ttmp9, s30
	s_mul_i32 s33, s34, s33
	s_bfe_u32 s35, ttmp6, 0x40004
	v_lshl_add_u32 v1, v2, 4, v4
	s_add_co_i32 s29, s29, s30
	s_add_co_i32 s35, s35, s33
	s_cmp_eq_u32 s28, 0
	s_delay_alu instid0(VALU_DEP_1)
	v_dual_mov_b32 v3, 0 :: v_dual_bitop2_b32 v5, 31, v1 bitop3:0x40
	s_cselect_b32 s28, ttmp9, s29
	s_cselect_b32 s30, s34, s35
	s_ashr_i32 s29, s28, 31
	s_lshl_b32 s36, s30, 5
	s_lshl_b64 s[34:35], s[28:29], 5
	s_mov_b32 s37, s3
	v_dual_mov_b32 v7, v3 :: v_dual_lshrrev_b32 v6, 5, v1
	v_dual_mov_b32 v15, v3 :: v_dual_bitop2_b32 v16, s34, v5 bitop3:0x54
	v_add_nc_u64_e32 v[8:9], s[36:37], v[2:3]
	s_clause 0x1
	s_load_b96 s[28:30], s[0:1], 0x10
	s_load_b32 s33, s[0:1], 0x50
	v_lshrrev_b32_e32 v14, 3, v1
	s_wait_kmcnt 0x0
	v_mad_nc_u64_u32 v[10:11], s6, v16, v[6:7]
	v_and_b32_e32 v7, 7, v0
	s_add_nc_u64 s[0:1], s[10:11], s[36:37]
	v_lshl_add_u32 v17, v2, 5, 0x400
	v_mul_u64_e32 v[12:13], s[14:15], v[8:9]
	v_mul_u64_e32 v[0:1], s[24:25], v[8:9]
	v_mad_nc_u64_u32 v[8:9], s20, v7, v[14:15]
	v_lshlrev_b32_e32 v15, 2, v7
	v_mad_u32 v11, s7, v16, v11
	v_dual_mov_b32 v5, v3 :: v_dual_lshlrev_b32 v16, 2, v5
	s_delay_alu instid0(VALU_DEP_3) | instskip(SKIP_2) | instid1(VALU_DEP_4)
	v_lshl_or_b32 v15, v14, 5, v15
	v_mad_u32 v9, s21, v7, v9
	v_cmp_gt_i64_e64 s10, s[28:29], 0
	v_lshl_or_b32 v14, v6, 7, v16
	v_lshlrev_b32_e32 v16, 2, v4
	v_add_nc_u64_e32 v[6:7], s[34:35], v[4:5]
	v_mad_u32 v11, s6, s35, v11
	v_add_nc_u32_e32 v15, 0x400, v15
	s_lshl_b64 s[6:7], s[20:21], 3
	v_cndmask_b32_e64 v18, 0, 1, s10
	s_cmp_lg_u32 s33, 0
	v_add_nc_u64_e32 v[2:3], s[0:1], v[8:9]
	v_lshlrev_b64_e32 v[6:7], 2, v[6:7]
	s_delay_alu instid0(VALU_DEP_3)
	v_cmp_ne_u32_e64 s0, 1, v18
	s_cselect_b32 s1, -1, 0
	s_lshl_b64 s[10:11], s[24:25], 4
	v_add_nc_u64_e32 v[4:5], s[4:5], v[10:11]
	s_lshl_b64 s[4:5], s[14:15], 4
	v_lshl_add_u64 v[8:9], v[12:13], 2, s[12:13]
	s_branch .LBB485_3
.LBB485_2:                              ;   in Loop: Header=BB485_3 Depth=1
	s_add_co_i32 s2, s2, 0x10000
	s_delay_alu instid0(SALU_CYCLE_1)
	s_cmp_lt_i32 s2, s31
	s_cbranch_scc0 .LBB485_10
.LBB485_3:                              ; =>This Loop Header: Depth=1
                                        ;     Child Loop BB485_5 Depth 2
	s_wait_xcnt 0x1
	v_dual_mov_b32 v20, 0 :: v_dual_mov_b32 v19, 0
	s_wait_xcnt 0x0
	v_dual_mov_b32 v21, 0 :: v_dual_mov_b32 v18, 0
	s_and_b32 vcc_lo, exec_lo, s0
	s_cbranch_vccnz .LBB485_6
; %bb.4:                                ;   in Loop: Header=BB485_3 Depth=1
	v_mad_nc_u64_u32 v[10:11], s22, s2, v[2:3]
	v_mad_nc_u64_u32 v[12:13], s8, s2, v[4:5]
	v_dual_mov_b32 v18, 0 :: v_dual_mov_b32 v21, 0
	v_dual_mov_b32 v19, 0 :: v_dual_mov_b32 v20, 0
	s_mov_b64 s[12:13], 0
	s_delay_alu instid0(VALU_DEP_4) | instskip(NEXT) | instid1(VALU_DEP_4)
	v_mad_u32 v11, s23, s2, v11
	v_mad_u32 v13, s9, s2, v13
.LBB485_5:                              ;   Parent Loop BB485_3 Depth=1
                                        ; =>  This Inner Loop Header: Depth=2
	s_delay_alu instid0(VALU_DEP_1)
	v_add_nc_u64_e32 v[22:23], s[12:13], v[12:13]
	s_add_nc_u64 s[12:13], s[12:13], 8
	global_load_i8 v24, v[10:11], off
	global_load_i8 v25, v[22:23], off
	v_cmp_lt_i64_e64 s14, s[12:13], s[28:29]
	s_wait_xcnt 0x1
	v_add_nc_u64_e32 v[10:11], s[6:7], v[10:11]
	s_wait_loadcnt 0x0
	ds_store_b32 v14, v25
	ds_store_b32 v15, v24
	s_wait_dscnt 0x0
	s_barrier_signal -1
	s_barrier_wait -1
	ds_load_2addr_b32 v[38:39], v16 offset1:16
	s_wait_xcnt 0x0
	ds_load_b128 v[22:25], v17
	ds_load_b128 v[26:29], v17 offset:512
	ds_load_2addr_b32 v[40:41], v16 offset0:32 offset1:48
	ds_load_b128 v[30:33], v17 offset:16
	ds_load_b128 v[34:37], v17 offset:528
	s_and_b32 vcc_lo, exec_lo, s14
	s_wait_dscnt 0x4
	v_mad_u32 v21, v22, v38, v21
	s_wait_dscnt 0x3
	v_mad_u32 v38, v26, v38, v19
	v_mad_u32 v20, v22, v39, v20
	v_mad_u32 v22, v26, v39, v18
	ds_load_2addr_b32 v[18:19], v16 offset0:64 offset1:80
	s_wait_dscnt 0x3
	v_mad_u32 v26, v23, v40, v21
	v_mad_u32 v38, v27, v40, v38
	v_mad_u32 v23, v23, v41, v20
	v_mad_u32 v22, v27, v41, v22
	ds_load_2addr_b32 v[20:21], v16 offset0:96 offset1:112
	s_wait_dscnt 0x1
	v_mad_u32 v26, v24, v18, v26
	;; [unrolled: 6-line block ×5, first 2 shown]
	v_mad_u32 v20, v35, v20, v25
	v_mad_u32 v25, v31, v21, v23
	;; [unrolled: 1-line block ×3, first 2 shown]
	ds_load_2addr_b32 v[22:23], v16 offset0:224 offset1:240
	s_wait_dscnt 0x0
	s_barrier_signal -1
	s_barrier_wait -1
	v_mad_u32 v24, v32, v18, v24
	v_mad_u32 v18, v36, v18, v20
	;; [unrolled: 1-line block ×4, first 2 shown]
	s_delay_alu instid0(VALU_DEP_4) | instskip(NEXT) | instid1(VALU_DEP_4)
	v_mad_u32 v21, v33, v22, v24
	v_mad_u32 v19, v37, v22, v18
	s_delay_alu instid0(VALU_DEP_4) | instskip(NEXT) | instid1(VALU_DEP_4)
	v_mad_u32 v20, v33, v23, v20
	v_mad_u32 v18, v37, v23, v25
	s_cbranch_vccnz .LBB485_5
.LBB485_6:                              ;   in Loop: Header=BB485_3 Depth=1
	s_mul_u64 s[12:13], s[26:27], s[2:3]
	s_delay_alu instid0(VALU_DEP_1) | instskip(SKIP_1) | instid1(VALU_DEP_3)
	v_mul_lo_u32 v21, v21, s30
	s_lshl_b64 s[12:13], s[12:13], 2
	v_mul_lo_u32 v20, v20, s30
	s_add_nc_u64 s[12:13], s[18:19], s[12:13]
	v_mul_lo_u32 v19, v19, s30
	v_lshl_add_u64 v[12:13], v[0:1], 2, s[12:13]
	v_mul_lo_u32 v18, v18, s30
	s_and_not1_b32 vcc_lo, exec_lo, s1
	s_delay_alu instid0(VALU_DEP_2)
	v_add_nc_u64_e32 v[10:11], v[12:13], v[6:7]
	v_lshl_add_u64 v[12:13], s[10:11], 2, v[12:13]
	s_cbranch_vccnz .LBB485_8
; %bb.7:                                ;   in Loop: Header=BB485_3 Depth=1
	s_mul_u64 s[12:13], s[16:17], s[2:3]
	s_delay_alu instid0(SALU_CYCLE_1) | instskip(NEXT) | instid1(VALU_DEP_1)
	v_lshl_add_u64 v[22:23], s[12:13], 2, v[8:9]
	v_add_nc_u64_e32 v[24:25], v[22:23], v[6:7]
	v_lshl_add_u64 v[22:23], s[4:5], 2, v[22:23]
	s_delay_alu instid0(VALU_DEP_1)
	v_add_nc_u64_e32 v[22:23], v[22:23], v[6:7]
	global_load_b32 v26, v[24:25], off
	s_wait_loadcnt 0x0
	v_mad_u32 v26, v26, s33, v21
	global_store_b32 v[10:11], v26, off
	global_load_b32 v24, v[24:25], off offset:64
	s_wait_loadcnt 0x0
	s_wait_xcnt 0x0
	v_mad_u32 v24, v24, s33, v20
	global_store_b32 v[10:11], v24, off offset:64
	global_load_b32 v24, v[22:23], off
	s_wait_loadcnt 0x0
	v_mad_u32 v26, v24, s33, v19
	v_add_nc_u64_e32 v[24:25], v[12:13], v[6:7]
	global_store_b32 v[24:25], v26, off
	global_load_b32 v22, v[22:23], off offset:64
	s_wait_loadcnt 0x0
	s_wait_xcnt 0x0
	v_mad_u32 v22, v22, s33, v18
	global_store_b32 v[24:25], v22, off offset:64
	s_cbranch_execnz .LBB485_2
	s_branch .LBB485_9
.LBB485_8:                              ;   in Loop: Header=BB485_3 Depth=1
.LBB485_9:                              ;   in Loop: Header=BB485_3 Depth=1
	s_delay_alu instid0(VALU_DEP_1)
	v_add_nc_u64_e32 v[12:13], v[12:13], v[6:7]
	s_clause 0x3
	global_store_b32 v[10:11], v21, off
	global_store_b32 v[10:11], v20, off offset:64
	global_store_b32 v[12:13], v19, off
	global_store_b32 v[12:13], v18, off offset:64
	s_branch .LBB485_2
.LBB485_10:
	s_endpgm
	.section	.rodata,"a",@progbits
	.p2align	6, 0x0
	.amdhsa_kernel _ZN12_GLOBAL__N_127rocblas_gemm_batched_kernelIiLi16ELi16ELi32ELi32ELi8ELi32ELi8ELi8ELi32ELc84ELc84EKaKiiEEvlllT_PT11_llS5_llS3_PT12_llPT13_lli
		.amdhsa_group_segment_fixed_size 2048
		.amdhsa_private_segment_fixed_size 0
		.amdhsa_kernarg_size 140
		.amdhsa_user_sgpr_count 2
		.amdhsa_user_sgpr_dispatch_ptr 0
		.amdhsa_user_sgpr_queue_ptr 0
		.amdhsa_user_sgpr_kernarg_segment_ptr 1
		.amdhsa_user_sgpr_dispatch_id 0
		.amdhsa_user_sgpr_kernarg_preload_length 0
		.amdhsa_user_sgpr_kernarg_preload_offset 0
		.amdhsa_user_sgpr_private_segment_size 0
		.amdhsa_wavefront_size32 1
		.amdhsa_uses_dynamic_stack 0
		.amdhsa_enable_private_segment 0
		.amdhsa_system_sgpr_workgroup_id_x 1
		.amdhsa_system_sgpr_workgroup_id_y 1
		.amdhsa_system_sgpr_workgroup_id_z 1
		.amdhsa_system_sgpr_workgroup_info 0
		.amdhsa_system_vgpr_workitem_id 1
		.amdhsa_next_free_vgpr 42
		.amdhsa_next_free_sgpr 38
		.amdhsa_named_barrier_count 0
		.amdhsa_reserve_vcc 1
		.amdhsa_float_round_mode_32 0
		.amdhsa_float_round_mode_16_64 0
		.amdhsa_float_denorm_mode_32 3
		.amdhsa_float_denorm_mode_16_64 3
		.amdhsa_fp16_overflow 0
		.amdhsa_memory_ordered 1
		.amdhsa_forward_progress 1
		.amdhsa_inst_pref_size 12
		.amdhsa_round_robin_scheduling 0
		.amdhsa_exception_fp_ieee_invalid_op 0
		.amdhsa_exception_fp_denorm_src 0
		.amdhsa_exception_fp_ieee_div_zero 0
		.amdhsa_exception_fp_ieee_overflow 0
		.amdhsa_exception_fp_ieee_underflow 0
		.amdhsa_exception_fp_ieee_inexact 0
		.amdhsa_exception_int_div_zero 0
	.end_amdhsa_kernel
	.section	.text._ZN12_GLOBAL__N_127rocblas_gemm_batched_kernelIiLi16ELi16ELi32ELi32ELi8ELi32ELi8ELi8ELi32ELc84ELc84EKaKiiEEvlllT_PT11_llS5_llS3_PT12_llPT13_lli,"axG",@progbits,_ZN12_GLOBAL__N_127rocblas_gemm_batched_kernelIiLi16ELi16ELi32ELi32ELi8ELi32ELi8ELi8ELi32ELc84ELc84EKaKiiEEvlllT_PT11_llS5_llS3_PT12_llPT13_lli,comdat
.Lfunc_end485:
	.size	_ZN12_GLOBAL__N_127rocblas_gemm_batched_kernelIiLi16ELi16ELi32ELi32ELi8ELi32ELi8ELi8ELi32ELc84ELc84EKaKiiEEvlllT_PT11_llS5_llS3_PT12_llPT13_lli, .Lfunc_end485-_ZN12_GLOBAL__N_127rocblas_gemm_batched_kernelIiLi16ELi16ELi32ELi32ELi8ELi32ELi8ELi8ELi32ELc84ELc84EKaKiiEEvlllT_PT11_llS5_llS3_PT12_llPT13_lli
                                        ; -- End function
	.set _ZN12_GLOBAL__N_127rocblas_gemm_batched_kernelIiLi16ELi16ELi32ELi32ELi8ELi32ELi8ELi8ELi32ELc84ELc84EKaKiiEEvlllT_PT11_llS5_llS3_PT12_llPT13_lli.num_vgpr, 42
	.set _ZN12_GLOBAL__N_127rocblas_gemm_batched_kernelIiLi16ELi16ELi32ELi32ELi8ELi32ELi8ELi8ELi32ELc84ELc84EKaKiiEEvlllT_PT11_llS5_llS3_PT12_llPT13_lli.num_agpr, 0
	.set _ZN12_GLOBAL__N_127rocblas_gemm_batched_kernelIiLi16ELi16ELi32ELi32ELi8ELi32ELi8ELi8ELi32ELc84ELc84EKaKiiEEvlllT_PT11_llS5_llS3_PT12_llPT13_lli.numbered_sgpr, 38
	.set _ZN12_GLOBAL__N_127rocblas_gemm_batched_kernelIiLi16ELi16ELi32ELi32ELi8ELi32ELi8ELi8ELi32ELc84ELc84EKaKiiEEvlllT_PT11_llS5_llS3_PT12_llPT13_lli.num_named_barrier, 0
	.set _ZN12_GLOBAL__N_127rocblas_gemm_batched_kernelIiLi16ELi16ELi32ELi32ELi8ELi32ELi8ELi8ELi32ELc84ELc84EKaKiiEEvlllT_PT11_llS5_llS3_PT12_llPT13_lli.private_seg_size, 0
	.set _ZN12_GLOBAL__N_127rocblas_gemm_batched_kernelIiLi16ELi16ELi32ELi32ELi8ELi32ELi8ELi8ELi32ELc84ELc84EKaKiiEEvlllT_PT11_llS5_llS3_PT12_llPT13_lli.uses_vcc, 1
	.set _ZN12_GLOBAL__N_127rocblas_gemm_batched_kernelIiLi16ELi16ELi32ELi32ELi8ELi32ELi8ELi8ELi32ELc84ELc84EKaKiiEEvlllT_PT11_llS5_llS3_PT12_llPT13_lli.uses_flat_scratch, 0
	.set _ZN12_GLOBAL__N_127rocblas_gemm_batched_kernelIiLi16ELi16ELi32ELi32ELi8ELi32ELi8ELi8ELi32ELc84ELc84EKaKiiEEvlllT_PT11_llS5_llS3_PT12_llPT13_lli.has_dyn_sized_stack, 0
	.set _ZN12_GLOBAL__N_127rocblas_gemm_batched_kernelIiLi16ELi16ELi32ELi32ELi8ELi32ELi8ELi8ELi32ELc84ELc84EKaKiiEEvlllT_PT11_llS5_llS3_PT12_llPT13_lli.has_recursion, 0
	.set _ZN12_GLOBAL__N_127rocblas_gemm_batched_kernelIiLi16ELi16ELi32ELi32ELi8ELi32ELi8ELi8ELi32ELc84ELc84EKaKiiEEvlllT_PT11_llS5_llS3_PT12_llPT13_lli.has_indirect_call, 0
	.section	.AMDGPU.csdata,"",@progbits
; Kernel info:
; codeLenInByte = 1424
; TotalNumSgprs: 40
; NumVgprs: 42
; ScratchSize: 0
; MemoryBound: 0
; FloatMode: 240
; IeeeMode: 1
; LDSByteSize: 2048 bytes/workgroup (compile time only)
; SGPRBlocks: 0
; VGPRBlocks: 2
; NumSGPRsForWavesPerEU: 40
; NumVGPRsForWavesPerEU: 42
; NamedBarCnt: 0
; Occupancy: 16
; WaveLimiterHint : 0
; COMPUTE_PGM_RSRC2:SCRATCH_EN: 0
; COMPUTE_PGM_RSRC2:USER_SGPR: 2
; COMPUTE_PGM_RSRC2:TRAP_HANDLER: 0
; COMPUTE_PGM_RSRC2:TGID_X_EN: 1
; COMPUTE_PGM_RSRC2:TGID_Y_EN: 1
; COMPUTE_PGM_RSRC2:TGID_Z_EN: 1
; COMPUTE_PGM_RSRC2:TIDIG_COMP_CNT: 1
	.section	.text._ZN12_GLOBAL__N_127rocblas_gemm_batched_kernelIiLi16ELi16ELi32ELi32ELi8ELi32ELi8ELi8ELi32ELc67ELc67EKaKiiEEvlllT_PT11_llS5_llS3_PT12_llPT13_lli,"axG",@progbits,_ZN12_GLOBAL__N_127rocblas_gemm_batched_kernelIiLi16ELi16ELi32ELi32ELi8ELi32ELi8ELi8ELi32ELc67ELc67EKaKiiEEvlllT_PT11_llS5_llS3_PT12_llPT13_lli,comdat
	.globl	_ZN12_GLOBAL__N_127rocblas_gemm_batched_kernelIiLi16ELi16ELi32ELi32ELi8ELi32ELi8ELi8ELi32ELc67ELc67EKaKiiEEvlllT_PT11_llS5_llS3_PT12_llPT13_lli ; -- Begin function _ZN12_GLOBAL__N_127rocblas_gemm_batched_kernelIiLi16ELi16ELi32ELi32ELi8ELi32ELi8ELi8ELi32ELc67ELc67EKaKiiEEvlllT_PT11_llS5_llS3_PT12_llPT13_lli
	.p2align	8
	.type	_ZN12_GLOBAL__N_127rocblas_gemm_batched_kernelIiLi16ELi16ELi32ELi32ELi8ELi32ELi8ELi8ELi32ELc67ELc67EKaKiiEEvlllT_PT11_llS5_llS3_PT12_llPT13_lli,@function
_ZN12_GLOBAL__N_127rocblas_gemm_batched_kernelIiLi16ELi16ELi32ELi32ELi8ELi32ELi8ELi8ELi32ELc67ELc67EKaKiiEEvlllT_PT11_llS5_llS3_PT12_llPT13_lli: ; @_ZN12_GLOBAL__N_127rocblas_gemm_batched_kernelIiLi16ELi16ELi32ELi32ELi8ELi32ELi8ELi8ELi32ELc67ELc67EKaKiiEEvlllT_PT11_llS5_llS3_PT12_llPT13_lli
; %bb.0:
	s_load_b32 s31, s[0:1], 0x88
	s_bfe_u32 s2, ttmp6, 0x40014
	s_lshr_b32 s3, ttmp7, 16
	s_add_co_i32 s2, s2, 1
	s_bfe_u32 s4, ttmp6, 0x40008
	s_mul_i32 s2, s3, s2
	s_getreg_b32 s28, hwreg(HW_REG_IB_STS2, 6, 4)
	s_add_co_i32 s4, s4, s2
	s_cmp_eq_u32 s28, 0
	s_cselect_b32 s2, s3, s4
	s_mov_b32 s3, 0
	s_wait_kmcnt 0x0
	s_cmp_ge_i32 s2, s31
	s_cbranch_scc1 .LBB486_10
; %bb.1:
	v_bfe_u32 v2, v0, 10, 10
	v_and_b32_e32 v4, 0x3ff, v0
	s_bfe_u32 s30, ttmp6, 0x4000c
	s_bfe_u32 s33, ttmp6, 0x40010
	s_clause 0x2
	s_load_b256 s[4:11], s[0:1], 0x20
	s_load_b128 s[20:23], s[0:1], 0x40
	s_load_b128 s[24:27], s[0:1], 0x78
	s_add_co_i32 s30, s30, 1
	s_and_b32 s34, ttmp7, 0xffff
	s_add_co_i32 s33, s33, 1
	s_load_b256 s[12:19], s[0:1], 0x58
	s_and_b32 s29, ttmp6, 15
	s_mul_i32 s30, ttmp9, s30
	s_mul_i32 s33, s34, s33
	s_bfe_u32 s35, ttmp6, 0x40004
	v_lshl_add_u32 v1, v2, 4, v4
	s_add_co_i32 s29, s29, s30
	s_add_co_i32 s35, s35, s33
	s_cmp_eq_u32 s28, 0
	s_delay_alu instid0(VALU_DEP_1)
	v_dual_mov_b32 v3, 0 :: v_dual_bitop2_b32 v5, 31, v1 bitop3:0x40
	s_cselect_b32 s28, ttmp9, s29
	s_cselect_b32 s30, s34, s35
	s_ashr_i32 s29, s28, 31
	s_lshl_b32 s36, s30, 5
	s_lshl_b64 s[34:35], s[28:29], 5
	s_mov_b32 s37, s3
	v_dual_mov_b32 v7, v3 :: v_dual_lshrrev_b32 v6, 5, v1
	v_dual_mov_b32 v15, v3 :: v_dual_bitop2_b32 v16, s34, v5 bitop3:0x54
	v_add_nc_u64_e32 v[8:9], s[36:37], v[2:3]
	s_clause 0x1
	s_load_b96 s[28:30], s[0:1], 0x10
	s_load_b32 s33, s[0:1], 0x50
	v_lshrrev_b32_e32 v14, 3, v1
	s_wait_kmcnt 0x0
	v_mad_nc_u64_u32 v[10:11], s6, v16, v[6:7]
	v_and_b32_e32 v7, 7, v0
	s_add_nc_u64 s[0:1], s[10:11], s[36:37]
	v_lshl_add_u32 v17, v2, 5, 0x400
	v_mul_u64_e32 v[12:13], s[14:15], v[8:9]
	v_mul_u64_e32 v[0:1], s[24:25], v[8:9]
	v_mad_nc_u64_u32 v[8:9], s20, v7, v[14:15]
	v_lshlrev_b32_e32 v15, 2, v7
	v_mad_u32 v11, s7, v16, v11
	v_dual_mov_b32 v5, v3 :: v_dual_lshlrev_b32 v16, 2, v5
	s_delay_alu instid0(VALU_DEP_3) | instskip(SKIP_2) | instid1(VALU_DEP_4)
	v_lshl_or_b32 v15, v14, 5, v15
	v_mad_u32 v9, s21, v7, v9
	v_cmp_gt_i64_e64 s10, s[28:29], 0
	v_lshl_or_b32 v14, v6, 7, v16
	v_lshlrev_b32_e32 v16, 2, v4
	v_add_nc_u64_e32 v[6:7], s[34:35], v[4:5]
	v_mad_u32 v11, s6, s35, v11
	v_add_nc_u32_e32 v15, 0x400, v15
	s_lshl_b64 s[6:7], s[20:21], 3
	v_cndmask_b32_e64 v18, 0, 1, s10
	s_cmp_lg_u32 s33, 0
	v_add_nc_u64_e32 v[2:3], s[0:1], v[8:9]
	v_lshlrev_b64_e32 v[6:7], 2, v[6:7]
	s_delay_alu instid0(VALU_DEP_3)
	v_cmp_ne_u32_e64 s0, 1, v18
	s_cselect_b32 s1, -1, 0
	s_lshl_b64 s[10:11], s[24:25], 4
	v_add_nc_u64_e32 v[4:5], s[4:5], v[10:11]
	s_lshl_b64 s[4:5], s[14:15], 4
	v_lshl_add_u64 v[8:9], v[12:13], 2, s[12:13]
	s_branch .LBB486_3
.LBB486_2:                              ;   in Loop: Header=BB486_3 Depth=1
	s_add_co_i32 s2, s2, 0x10000
	s_delay_alu instid0(SALU_CYCLE_1)
	s_cmp_lt_i32 s2, s31
	s_cbranch_scc0 .LBB486_10
.LBB486_3:                              ; =>This Loop Header: Depth=1
                                        ;     Child Loop BB486_5 Depth 2
	s_wait_xcnt 0x1
	v_dual_mov_b32 v20, 0 :: v_dual_mov_b32 v19, 0
	s_wait_xcnt 0x0
	v_dual_mov_b32 v21, 0 :: v_dual_mov_b32 v18, 0
	s_and_b32 vcc_lo, exec_lo, s0
	s_cbranch_vccnz .LBB486_6
; %bb.4:                                ;   in Loop: Header=BB486_3 Depth=1
	v_mad_nc_u64_u32 v[10:11], s22, s2, v[2:3]
	v_mad_nc_u64_u32 v[12:13], s8, s2, v[4:5]
	v_dual_mov_b32 v18, 0 :: v_dual_mov_b32 v21, 0
	v_dual_mov_b32 v19, 0 :: v_dual_mov_b32 v20, 0
	s_mov_b64 s[12:13], 0
	s_delay_alu instid0(VALU_DEP_4) | instskip(NEXT) | instid1(VALU_DEP_4)
	v_mad_u32 v11, s23, s2, v11
	v_mad_u32 v13, s9, s2, v13
.LBB486_5:                              ;   Parent Loop BB486_3 Depth=1
                                        ; =>  This Inner Loop Header: Depth=2
	s_delay_alu instid0(VALU_DEP_1)
	v_add_nc_u64_e32 v[22:23], s[12:13], v[12:13]
	s_add_nc_u64 s[12:13], s[12:13], 8
	global_load_i8 v24, v[10:11], off
	global_load_i8 v25, v[22:23], off
	v_cmp_lt_i64_e64 s14, s[12:13], s[28:29]
	s_wait_xcnt 0x1
	v_add_nc_u64_e32 v[10:11], s[6:7], v[10:11]
	s_wait_loadcnt 0x0
	ds_store_b32 v14, v25
	ds_store_b32 v15, v24
	s_wait_dscnt 0x0
	s_barrier_signal -1
	s_barrier_wait -1
	ds_load_2addr_b32 v[38:39], v16 offset1:16
	s_wait_xcnt 0x0
	ds_load_b128 v[22:25], v17
	ds_load_b128 v[26:29], v17 offset:512
	ds_load_2addr_b32 v[40:41], v16 offset0:32 offset1:48
	ds_load_b128 v[30:33], v17 offset:16
	ds_load_b128 v[34:37], v17 offset:528
	s_and_b32 vcc_lo, exec_lo, s14
	s_wait_dscnt 0x4
	v_mad_u32 v21, v22, v38, v21
	s_wait_dscnt 0x3
	v_mad_u32 v38, v26, v38, v19
	v_mad_u32 v20, v22, v39, v20
	v_mad_u32 v22, v26, v39, v18
	ds_load_2addr_b32 v[18:19], v16 offset0:64 offset1:80
	s_wait_dscnt 0x3
	v_mad_u32 v26, v23, v40, v21
	v_mad_u32 v38, v27, v40, v38
	v_mad_u32 v23, v23, v41, v20
	v_mad_u32 v22, v27, v41, v22
	ds_load_2addr_b32 v[20:21], v16 offset0:96 offset1:112
	s_wait_dscnt 0x1
	v_mad_u32 v26, v24, v18, v26
	;; [unrolled: 6-line block ×5, first 2 shown]
	v_mad_u32 v20, v35, v20, v25
	v_mad_u32 v25, v31, v21, v23
	;; [unrolled: 1-line block ×3, first 2 shown]
	ds_load_2addr_b32 v[22:23], v16 offset0:224 offset1:240
	s_wait_dscnt 0x0
	s_barrier_signal -1
	s_barrier_wait -1
	v_mad_u32 v24, v32, v18, v24
	v_mad_u32 v18, v36, v18, v20
	;; [unrolled: 1-line block ×4, first 2 shown]
	s_delay_alu instid0(VALU_DEP_4) | instskip(NEXT) | instid1(VALU_DEP_4)
	v_mad_u32 v21, v33, v22, v24
	v_mad_u32 v19, v37, v22, v18
	s_delay_alu instid0(VALU_DEP_4) | instskip(NEXT) | instid1(VALU_DEP_4)
	v_mad_u32 v20, v33, v23, v20
	v_mad_u32 v18, v37, v23, v25
	s_cbranch_vccnz .LBB486_5
.LBB486_6:                              ;   in Loop: Header=BB486_3 Depth=1
	s_mul_u64 s[12:13], s[26:27], s[2:3]
	s_delay_alu instid0(VALU_DEP_1) | instskip(SKIP_1) | instid1(VALU_DEP_3)
	v_mul_lo_u32 v21, v21, s30
	s_lshl_b64 s[12:13], s[12:13], 2
	v_mul_lo_u32 v20, v20, s30
	s_add_nc_u64 s[12:13], s[18:19], s[12:13]
	v_mul_lo_u32 v19, v19, s30
	v_lshl_add_u64 v[12:13], v[0:1], 2, s[12:13]
	v_mul_lo_u32 v18, v18, s30
	s_and_not1_b32 vcc_lo, exec_lo, s1
	s_delay_alu instid0(VALU_DEP_2)
	v_add_nc_u64_e32 v[10:11], v[12:13], v[6:7]
	v_lshl_add_u64 v[12:13], s[10:11], 2, v[12:13]
	s_cbranch_vccnz .LBB486_8
; %bb.7:                                ;   in Loop: Header=BB486_3 Depth=1
	s_mul_u64 s[12:13], s[16:17], s[2:3]
	s_delay_alu instid0(SALU_CYCLE_1) | instskip(NEXT) | instid1(VALU_DEP_1)
	v_lshl_add_u64 v[22:23], s[12:13], 2, v[8:9]
	v_add_nc_u64_e32 v[24:25], v[22:23], v[6:7]
	v_lshl_add_u64 v[22:23], s[4:5], 2, v[22:23]
	s_delay_alu instid0(VALU_DEP_1)
	v_add_nc_u64_e32 v[22:23], v[22:23], v[6:7]
	global_load_b32 v26, v[24:25], off
	s_wait_loadcnt 0x0
	v_mad_u32 v26, v26, s33, v21
	global_store_b32 v[10:11], v26, off
	global_load_b32 v24, v[24:25], off offset:64
	s_wait_loadcnt 0x0
	s_wait_xcnt 0x0
	v_mad_u32 v24, v24, s33, v20
	global_store_b32 v[10:11], v24, off offset:64
	global_load_b32 v24, v[22:23], off
	s_wait_loadcnt 0x0
	v_mad_u32 v26, v24, s33, v19
	v_add_nc_u64_e32 v[24:25], v[12:13], v[6:7]
	global_store_b32 v[24:25], v26, off
	global_load_b32 v22, v[22:23], off offset:64
	s_wait_loadcnt 0x0
	s_wait_xcnt 0x0
	v_mad_u32 v22, v22, s33, v18
	global_store_b32 v[24:25], v22, off offset:64
	s_cbranch_execnz .LBB486_2
	s_branch .LBB486_9
.LBB486_8:                              ;   in Loop: Header=BB486_3 Depth=1
.LBB486_9:                              ;   in Loop: Header=BB486_3 Depth=1
	s_delay_alu instid0(VALU_DEP_1)
	v_add_nc_u64_e32 v[12:13], v[12:13], v[6:7]
	s_clause 0x3
	global_store_b32 v[10:11], v21, off
	global_store_b32 v[10:11], v20, off offset:64
	global_store_b32 v[12:13], v19, off
	global_store_b32 v[12:13], v18, off offset:64
	s_branch .LBB486_2
.LBB486_10:
	s_endpgm
	.section	.rodata,"a",@progbits
	.p2align	6, 0x0
	.amdhsa_kernel _ZN12_GLOBAL__N_127rocblas_gemm_batched_kernelIiLi16ELi16ELi32ELi32ELi8ELi32ELi8ELi8ELi32ELc67ELc67EKaKiiEEvlllT_PT11_llS5_llS3_PT12_llPT13_lli
		.amdhsa_group_segment_fixed_size 2048
		.amdhsa_private_segment_fixed_size 0
		.amdhsa_kernarg_size 140
		.amdhsa_user_sgpr_count 2
		.amdhsa_user_sgpr_dispatch_ptr 0
		.amdhsa_user_sgpr_queue_ptr 0
		.amdhsa_user_sgpr_kernarg_segment_ptr 1
		.amdhsa_user_sgpr_dispatch_id 0
		.amdhsa_user_sgpr_kernarg_preload_length 0
		.amdhsa_user_sgpr_kernarg_preload_offset 0
		.amdhsa_user_sgpr_private_segment_size 0
		.amdhsa_wavefront_size32 1
		.amdhsa_uses_dynamic_stack 0
		.amdhsa_enable_private_segment 0
		.amdhsa_system_sgpr_workgroup_id_x 1
		.amdhsa_system_sgpr_workgroup_id_y 1
		.amdhsa_system_sgpr_workgroup_id_z 1
		.amdhsa_system_sgpr_workgroup_info 0
		.amdhsa_system_vgpr_workitem_id 1
		.amdhsa_next_free_vgpr 42
		.amdhsa_next_free_sgpr 38
		.amdhsa_named_barrier_count 0
		.amdhsa_reserve_vcc 1
		.amdhsa_float_round_mode_32 0
		.amdhsa_float_round_mode_16_64 0
		.amdhsa_float_denorm_mode_32 3
		.amdhsa_float_denorm_mode_16_64 3
		.amdhsa_fp16_overflow 0
		.amdhsa_memory_ordered 1
		.amdhsa_forward_progress 1
		.amdhsa_inst_pref_size 12
		.amdhsa_round_robin_scheduling 0
		.amdhsa_exception_fp_ieee_invalid_op 0
		.amdhsa_exception_fp_denorm_src 0
		.amdhsa_exception_fp_ieee_div_zero 0
		.amdhsa_exception_fp_ieee_overflow 0
		.amdhsa_exception_fp_ieee_underflow 0
		.amdhsa_exception_fp_ieee_inexact 0
		.amdhsa_exception_int_div_zero 0
	.end_amdhsa_kernel
	.section	.text._ZN12_GLOBAL__N_127rocblas_gemm_batched_kernelIiLi16ELi16ELi32ELi32ELi8ELi32ELi8ELi8ELi32ELc67ELc67EKaKiiEEvlllT_PT11_llS5_llS3_PT12_llPT13_lli,"axG",@progbits,_ZN12_GLOBAL__N_127rocblas_gemm_batched_kernelIiLi16ELi16ELi32ELi32ELi8ELi32ELi8ELi8ELi32ELc67ELc67EKaKiiEEvlllT_PT11_llS5_llS3_PT12_llPT13_lli,comdat
.Lfunc_end486:
	.size	_ZN12_GLOBAL__N_127rocblas_gemm_batched_kernelIiLi16ELi16ELi32ELi32ELi8ELi32ELi8ELi8ELi32ELc67ELc67EKaKiiEEvlllT_PT11_llS5_llS3_PT12_llPT13_lli, .Lfunc_end486-_ZN12_GLOBAL__N_127rocblas_gemm_batched_kernelIiLi16ELi16ELi32ELi32ELi8ELi32ELi8ELi8ELi32ELc67ELc67EKaKiiEEvlllT_PT11_llS5_llS3_PT12_llPT13_lli
                                        ; -- End function
	.set _ZN12_GLOBAL__N_127rocblas_gemm_batched_kernelIiLi16ELi16ELi32ELi32ELi8ELi32ELi8ELi8ELi32ELc67ELc67EKaKiiEEvlllT_PT11_llS5_llS3_PT12_llPT13_lli.num_vgpr, 42
	.set _ZN12_GLOBAL__N_127rocblas_gemm_batched_kernelIiLi16ELi16ELi32ELi32ELi8ELi32ELi8ELi8ELi32ELc67ELc67EKaKiiEEvlllT_PT11_llS5_llS3_PT12_llPT13_lli.num_agpr, 0
	.set _ZN12_GLOBAL__N_127rocblas_gemm_batched_kernelIiLi16ELi16ELi32ELi32ELi8ELi32ELi8ELi8ELi32ELc67ELc67EKaKiiEEvlllT_PT11_llS5_llS3_PT12_llPT13_lli.numbered_sgpr, 38
	.set _ZN12_GLOBAL__N_127rocblas_gemm_batched_kernelIiLi16ELi16ELi32ELi32ELi8ELi32ELi8ELi8ELi32ELc67ELc67EKaKiiEEvlllT_PT11_llS5_llS3_PT12_llPT13_lli.num_named_barrier, 0
	.set _ZN12_GLOBAL__N_127rocblas_gemm_batched_kernelIiLi16ELi16ELi32ELi32ELi8ELi32ELi8ELi8ELi32ELc67ELc67EKaKiiEEvlllT_PT11_llS5_llS3_PT12_llPT13_lli.private_seg_size, 0
	.set _ZN12_GLOBAL__N_127rocblas_gemm_batched_kernelIiLi16ELi16ELi32ELi32ELi8ELi32ELi8ELi8ELi32ELc67ELc67EKaKiiEEvlllT_PT11_llS5_llS3_PT12_llPT13_lli.uses_vcc, 1
	.set _ZN12_GLOBAL__N_127rocblas_gemm_batched_kernelIiLi16ELi16ELi32ELi32ELi8ELi32ELi8ELi8ELi32ELc67ELc67EKaKiiEEvlllT_PT11_llS5_llS3_PT12_llPT13_lli.uses_flat_scratch, 0
	.set _ZN12_GLOBAL__N_127rocblas_gemm_batched_kernelIiLi16ELi16ELi32ELi32ELi8ELi32ELi8ELi8ELi32ELc67ELc67EKaKiiEEvlllT_PT11_llS5_llS3_PT12_llPT13_lli.has_dyn_sized_stack, 0
	.set _ZN12_GLOBAL__N_127rocblas_gemm_batched_kernelIiLi16ELi16ELi32ELi32ELi8ELi32ELi8ELi8ELi32ELc67ELc67EKaKiiEEvlllT_PT11_llS5_llS3_PT12_llPT13_lli.has_recursion, 0
	.set _ZN12_GLOBAL__N_127rocblas_gemm_batched_kernelIiLi16ELi16ELi32ELi32ELi8ELi32ELi8ELi8ELi32ELc67ELc67EKaKiiEEvlllT_PT11_llS5_llS3_PT12_llPT13_lli.has_indirect_call, 0
	.section	.AMDGPU.csdata,"",@progbits
; Kernel info:
; codeLenInByte = 1424
; TotalNumSgprs: 40
; NumVgprs: 42
; ScratchSize: 0
; MemoryBound: 0
; FloatMode: 240
; IeeeMode: 1
; LDSByteSize: 2048 bytes/workgroup (compile time only)
; SGPRBlocks: 0
; VGPRBlocks: 2
; NumSGPRsForWavesPerEU: 40
; NumVGPRsForWavesPerEU: 42
; NamedBarCnt: 0
; Occupancy: 16
; WaveLimiterHint : 0
; COMPUTE_PGM_RSRC2:SCRATCH_EN: 0
; COMPUTE_PGM_RSRC2:USER_SGPR: 2
; COMPUTE_PGM_RSRC2:TRAP_HANDLER: 0
; COMPUTE_PGM_RSRC2:TGID_X_EN: 1
; COMPUTE_PGM_RSRC2:TGID_Y_EN: 1
; COMPUTE_PGM_RSRC2:TGID_Z_EN: 1
; COMPUTE_PGM_RSRC2:TIDIG_COMP_CNT: 1
	.section	.text._ZN12_GLOBAL__N_127rocblas_gemm_batched_kernelIiLi16ELi16ELi32ELi32ELi8ELi32ELi8ELi8ELi32ELc67ELc78EKaKiiEEvlllT_PT11_llS5_llS3_PT12_llPT13_lli,"axG",@progbits,_ZN12_GLOBAL__N_127rocblas_gemm_batched_kernelIiLi16ELi16ELi32ELi32ELi8ELi32ELi8ELi8ELi32ELc67ELc78EKaKiiEEvlllT_PT11_llS5_llS3_PT12_llPT13_lli,comdat
	.globl	_ZN12_GLOBAL__N_127rocblas_gemm_batched_kernelIiLi16ELi16ELi32ELi32ELi8ELi32ELi8ELi8ELi32ELc67ELc78EKaKiiEEvlllT_PT11_llS5_llS3_PT12_llPT13_lli ; -- Begin function _ZN12_GLOBAL__N_127rocblas_gemm_batched_kernelIiLi16ELi16ELi32ELi32ELi8ELi32ELi8ELi8ELi32ELc67ELc78EKaKiiEEvlllT_PT11_llS5_llS3_PT12_llPT13_lli
	.p2align	8
	.type	_ZN12_GLOBAL__N_127rocblas_gemm_batched_kernelIiLi16ELi16ELi32ELi32ELi8ELi32ELi8ELi8ELi32ELc67ELc78EKaKiiEEvlllT_PT11_llS5_llS3_PT12_llPT13_lli,@function
_ZN12_GLOBAL__N_127rocblas_gemm_batched_kernelIiLi16ELi16ELi32ELi32ELi8ELi32ELi8ELi8ELi32ELc67ELc78EKaKiiEEvlllT_PT11_llS5_llS3_PT12_llPT13_lli: ; @_ZN12_GLOBAL__N_127rocblas_gemm_batched_kernelIiLi16ELi16ELi32ELi32ELi8ELi32ELi8ELi8ELi32ELc67ELc78EKaKiiEEvlllT_PT11_llS5_llS3_PT12_llPT13_lli
; %bb.0:
	s_load_b32 s31, s[0:1], 0x88
	s_bfe_u32 s2, ttmp6, 0x40014
	s_lshr_b32 s3, ttmp7, 16
	s_add_co_i32 s2, s2, 1
	s_bfe_u32 s4, ttmp6, 0x40008
	s_mul_i32 s2, s3, s2
	s_getreg_b32 s28, hwreg(HW_REG_IB_STS2, 6, 4)
	s_add_co_i32 s4, s4, s2
	s_cmp_eq_u32 s28, 0
	s_cselect_b32 s2, s3, s4
	s_mov_b32 s3, 0
	s_wait_kmcnt 0x0
	s_cmp_ge_i32 s2, s31
	s_cbranch_scc1 .LBB487_10
; %bb.1:
	v_bfe_u32 v2, v0, 10, 10
	v_and_b32_e32 v4, 0x3ff, v0
	s_load_b256 s[4:11], s[0:1], 0x20
	s_bfe_u32 s29, ttmp6, 0x4000c
	s_bfe_u32 s33, ttmp6, 0x40010
	s_clause 0x2
	s_load_b128 s[20:23], s[0:1], 0x40
	s_load_b128 s[24:27], s[0:1], 0x78
	s_load_b256 s[12:19], s[0:1], 0x58
	s_add_co_i32 s29, s29, 1
	s_and_b32 s34, ttmp7, 0xffff
	s_add_co_i32 s33, s33, 1
	v_lshl_add_u32 v1, v2, 4, v4
	v_mov_b32_e32 v3, 0
	s_and_b32 s30, ttmp6, 15
	s_mul_i32 s29, ttmp9, s29
	s_mul_i32 s33, s34, s33
	s_bfe_u32 s35, ttmp6, 0x40004
	s_add_co_i32 s30, s30, s29
	s_add_co_i32 s35, s35, s33
	s_cmp_eq_u32 s28, 0
	v_and_b32_e32 v14, 31, v1
	v_dual_lshrrev_b32 v10, 3, v1 :: v_dual_bitop2_b32 v8, 7, v0 bitop3:0x40
	v_dual_mov_b32 v11, v3 :: v_dual_mov_b32 v9, v3
	s_cselect_b32 s29, s34, s35
	s_cselect_b32 s28, ttmp9, s30
	s_lshl_b32 s34, s29, 5
	s_mov_b32 s35, s3
	s_ashr_i32 s29, s28, 31
	v_add_nc_u64_e32 v[12:13], s[34:35], v[10:11]
	s_lshl_b64 s[36:37], s[28:29], 5
	v_dual_mov_b32 v7, v3 :: v_dual_lshrrev_b32 v6, 5, v1
	v_or_b32_e32 v5, s36, v14
	v_add_nc_u64_e32 v[0:1], s[34:35], v[2:3]
	s_load_b96 s[28:30], s[0:1], 0x10
	s_wait_kmcnt 0x0
	v_mad_nc_u64_u32 v[18:19], s20, v12, v[8:9]
	v_lshlrev_b32_e32 v8, 2, v8
	v_mad_nc_u64_u32 v[20:21], s6, v5, v[6:7]
	s_load_b32 s33, s[0:1], 0x50
	v_lshlrev_b32_e32 v16, 2, v4
	v_mul_u64_e32 v[22:23], s[14:15], v[0:1]
	v_mul_u64_e32 v[0:1], s[24:25], v[0:1]
	v_lshl_or_b32 v8, v10, 5, v8
	v_lshl_add_u32 v17, v2, 5, 0x400
	v_mad_u32 v7, s21, v12, v19
	s_delay_alu instid0(VALU_DEP_3) | instskip(SKIP_4) | instid1(VALU_DEP_2)
	v_add_nc_u32_e32 v15, 0x400, v8
	v_mad_u32 v9, s7, v5, v21
	v_dual_mov_b32 v5, v3 :: v_dual_lshlrev_b32 v3, 2, v14
	s_wait_xcnt 0x0
	v_cmp_gt_i64_e64 s0, s[28:29], 0
	v_lshl_or_b32 v14, v6, 7, v3
	v_mad_u32 v19, s20, v13, v7
	v_add_nc_u64_e32 v[6:7], s[36:37], v[4:5]
	v_mad_u32 v21, s6, s37, v9
	s_wait_kmcnt 0x0
	s_cmp_lg_u32 s33, 0
	v_cndmask_b32_e64 v10, 0, 1, s0
	s_cselect_b32 s1, -1, 0
	s_lshl_b64 s[6:7], s[24:25], 4
	v_lshlrev_b64_e32 v[6:7], 2, v[6:7]
	s_delay_alu instid0(VALU_DEP_2)
	v_cmp_ne_u32_e64 s0, 1, v10
	v_add_nc_u64_e32 v[2:3], s[10:11], v[18:19]
	v_add_nc_u64_e32 v[4:5], s[4:5], v[20:21]
	s_lshl_b64 s[4:5], s[14:15], 4
	v_lshl_add_u64 v[8:9], v[22:23], 2, s[12:13]
	s_branch .LBB487_3
.LBB487_2:                              ;   in Loop: Header=BB487_3 Depth=1
	s_add_co_i32 s2, s2, 0x10000
	s_delay_alu instid0(SALU_CYCLE_1)
	s_cmp_lt_i32 s2, s31
	s_cbranch_scc0 .LBB487_10
.LBB487_3:                              ; =>This Loop Header: Depth=1
                                        ;     Child Loop BB487_5 Depth 2
	s_wait_xcnt 0x1
	v_dual_mov_b32 v20, 0 :: v_dual_mov_b32 v19, 0
	s_wait_xcnt 0x0
	v_dual_mov_b32 v21, 0 :: v_dual_mov_b32 v18, 0
	s_and_b32 vcc_lo, exec_lo, s0
	s_cbranch_vccnz .LBB487_6
; %bb.4:                                ;   in Loop: Header=BB487_3 Depth=1
	v_mad_nc_u64_u32 v[10:11], s22, s2, v[2:3]
	v_mad_nc_u64_u32 v[12:13], s8, s2, v[4:5]
	v_dual_mov_b32 v18, 0 :: v_dual_mov_b32 v21, 0
	v_dual_mov_b32 v19, 0 :: v_dual_mov_b32 v20, 0
	s_mov_b64 s[10:11], 0
	s_delay_alu instid0(VALU_DEP_4) | instskip(NEXT) | instid1(VALU_DEP_4)
	v_mad_u32 v11, s23, s2, v11
	v_mad_u32 v13, s9, s2, v13
.LBB487_5:                              ;   Parent Loop BB487_3 Depth=1
                                        ; =>  This Inner Loop Header: Depth=2
	s_delay_alu instid0(VALU_DEP_1) | instskip(NEXT) | instid1(VALU_DEP_3)
	v_add_nc_u64_e32 v[22:23], s[10:11], v[12:13]
	v_add_nc_u64_e32 v[24:25], s[10:11], v[10:11]
	s_add_nc_u64 s[10:11], s[10:11], 8
	global_load_i8 v26, v[22:23], off
	global_load_i8 v27, v[24:25], off
	v_cmp_lt_i64_e64 s12, s[10:11], s[28:29]
	s_wait_loadcnt 0x1
	ds_store_b32 v14, v26
	s_wait_loadcnt 0x0
	ds_store_b32 v15, v27
	s_wait_dscnt 0x0
	s_barrier_signal -1
	s_barrier_wait -1
	ds_load_2addr_b32 v[38:39], v16 offset1:16
	s_wait_xcnt 0x0
	ds_load_b128 v[22:25], v17
	ds_load_b128 v[26:29], v17 offset:512
	ds_load_2addr_b32 v[40:41], v16 offset0:32 offset1:48
	ds_load_b128 v[30:33], v17 offset:16
	ds_load_b128 v[34:37], v17 offset:528
	s_and_b32 vcc_lo, exec_lo, s12
	s_wait_dscnt 0x4
	v_mad_u32 v21, v22, v38, v21
	s_wait_dscnt 0x3
	v_mad_u32 v38, v26, v38, v19
	v_mad_u32 v20, v22, v39, v20
	v_mad_u32 v22, v26, v39, v18
	ds_load_2addr_b32 v[18:19], v16 offset0:64 offset1:80
	s_wait_dscnt 0x3
	v_mad_u32 v26, v23, v40, v21
	v_mad_u32 v38, v27, v40, v38
	v_mad_u32 v23, v23, v41, v20
	v_mad_u32 v22, v27, v41, v22
	ds_load_2addr_b32 v[20:21], v16 offset0:96 offset1:112
	s_wait_dscnt 0x1
	v_mad_u32 v26, v24, v18, v26
	v_mad_u32 v27, v28, v18, v38
	v_mad_u32 v23, v24, v19, v23
	v_mad_u32 v22, v28, v19, v22
	ds_load_2addr_b32 v[18:19], v16 offset0:128 offset1:144
	s_wait_dscnt 0x1
	v_mad_u32 v24, v25, v20, v26
	v_mad_u32 v26, v29, v20, v27
	v_mad_u32 v23, v25, v21, v23
	v_mad_u32 v22, v29, v21, v22
	ds_load_2addr_b32 v[20:21], v16 offset0:160 offset1:176
	s_wait_dscnt 0x1
	v_mad_u32 v24, v30, v18, v24
	v_mad_u32 v25, v34, v18, v26
	v_mad_u32 v23, v30, v19, v23
	v_mad_u32 v22, v34, v19, v22
	ds_load_2addr_b32 v[18:19], v16 offset0:192 offset1:208
	s_wait_dscnt 0x1
	v_mad_u32 v24, v31, v20, v24
	v_mad_u32 v20, v35, v20, v25
	v_mad_u32 v25, v31, v21, v23
	;; [unrolled: 1-line block ×3, first 2 shown]
	ds_load_2addr_b32 v[22:23], v16 offset0:224 offset1:240
	s_wait_dscnt 0x0
	s_barrier_signal -1
	s_barrier_wait -1
	v_mad_u32 v24, v32, v18, v24
	v_mad_u32 v18, v36, v18, v20
	;; [unrolled: 1-line block ×4, first 2 shown]
	s_delay_alu instid0(VALU_DEP_4) | instskip(NEXT) | instid1(VALU_DEP_4)
	v_mad_u32 v21, v33, v22, v24
	v_mad_u32 v19, v37, v22, v18
	s_delay_alu instid0(VALU_DEP_4) | instskip(NEXT) | instid1(VALU_DEP_4)
	v_mad_u32 v20, v33, v23, v20
	v_mad_u32 v18, v37, v23, v25
	s_cbranch_vccnz .LBB487_5
.LBB487_6:                              ;   in Loop: Header=BB487_3 Depth=1
	s_mul_u64 s[10:11], s[26:27], s[2:3]
	s_delay_alu instid0(VALU_DEP_1) | instskip(SKIP_1) | instid1(VALU_DEP_3)
	v_mul_lo_u32 v21, v21, s30
	s_lshl_b64 s[10:11], s[10:11], 2
	v_mul_lo_u32 v20, v20, s30
	s_add_nc_u64 s[10:11], s[18:19], s[10:11]
	v_mul_lo_u32 v19, v19, s30
	v_lshl_add_u64 v[12:13], v[0:1], 2, s[10:11]
	v_mul_lo_u32 v18, v18, s30
	s_and_not1_b32 vcc_lo, exec_lo, s1
	s_delay_alu instid0(VALU_DEP_2)
	v_add_nc_u64_e32 v[10:11], v[12:13], v[6:7]
	v_lshl_add_u64 v[12:13], s[6:7], 2, v[12:13]
	s_cbranch_vccnz .LBB487_8
; %bb.7:                                ;   in Loop: Header=BB487_3 Depth=1
	s_mul_u64 s[10:11], s[16:17], s[2:3]
	s_delay_alu instid0(SALU_CYCLE_1) | instskip(NEXT) | instid1(VALU_DEP_1)
	v_lshl_add_u64 v[22:23], s[10:11], 2, v[8:9]
	v_add_nc_u64_e32 v[24:25], v[22:23], v[6:7]
	v_lshl_add_u64 v[22:23], s[4:5], 2, v[22:23]
	s_delay_alu instid0(VALU_DEP_1)
	v_add_nc_u64_e32 v[22:23], v[22:23], v[6:7]
	global_load_b32 v26, v[24:25], off
	s_wait_loadcnt 0x0
	v_mad_u32 v26, v26, s33, v21
	global_store_b32 v[10:11], v26, off
	global_load_b32 v24, v[24:25], off offset:64
	s_wait_loadcnt 0x0
	s_wait_xcnt 0x0
	v_mad_u32 v24, v24, s33, v20
	global_store_b32 v[10:11], v24, off offset:64
	global_load_b32 v24, v[22:23], off
	s_wait_loadcnt 0x0
	v_mad_u32 v26, v24, s33, v19
	v_add_nc_u64_e32 v[24:25], v[12:13], v[6:7]
	global_store_b32 v[24:25], v26, off
	global_load_b32 v22, v[22:23], off offset:64
	s_wait_loadcnt 0x0
	s_wait_xcnt 0x0
	v_mad_u32 v22, v22, s33, v18
	global_store_b32 v[24:25], v22, off offset:64
	s_cbranch_execnz .LBB487_2
	s_branch .LBB487_9
.LBB487_8:                              ;   in Loop: Header=BB487_3 Depth=1
.LBB487_9:                              ;   in Loop: Header=BB487_3 Depth=1
	s_delay_alu instid0(VALU_DEP_1)
	v_add_nc_u64_e32 v[12:13], v[12:13], v[6:7]
	s_clause 0x3
	global_store_b32 v[10:11], v21, off
	global_store_b32 v[10:11], v20, off offset:64
	global_store_b32 v[12:13], v19, off
	global_store_b32 v[12:13], v18, off offset:64
	s_branch .LBB487_2
.LBB487_10:
	s_endpgm
	.section	.rodata,"a",@progbits
	.p2align	6, 0x0
	.amdhsa_kernel _ZN12_GLOBAL__N_127rocblas_gemm_batched_kernelIiLi16ELi16ELi32ELi32ELi8ELi32ELi8ELi8ELi32ELc67ELc78EKaKiiEEvlllT_PT11_llS5_llS3_PT12_llPT13_lli
		.amdhsa_group_segment_fixed_size 2048
		.amdhsa_private_segment_fixed_size 0
		.amdhsa_kernarg_size 140
		.amdhsa_user_sgpr_count 2
		.amdhsa_user_sgpr_dispatch_ptr 0
		.amdhsa_user_sgpr_queue_ptr 0
		.amdhsa_user_sgpr_kernarg_segment_ptr 1
		.amdhsa_user_sgpr_dispatch_id 0
		.amdhsa_user_sgpr_kernarg_preload_length 0
		.amdhsa_user_sgpr_kernarg_preload_offset 0
		.amdhsa_user_sgpr_private_segment_size 0
		.amdhsa_wavefront_size32 1
		.amdhsa_uses_dynamic_stack 0
		.amdhsa_enable_private_segment 0
		.amdhsa_system_sgpr_workgroup_id_x 1
		.amdhsa_system_sgpr_workgroup_id_y 1
		.amdhsa_system_sgpr_workgroup_id_z 1
		.amdhsa_system_sgpr_workgroup_info 0
		.amdhsa_system_vgpr_workitem_id 1
		.amdhsa_next_free_vgpr 42
		.amdhsa_next_free_sgpr 38
		.amdhsa_named_barrier_count 0
		.amdhsa_reserve_vcc 1
		.amdhsa_float_round_mode_32 0
		.amdhsa_float_round_mode_16_64 0
		.amdhsa_float_denorm_mode_32 3
		.amdhsa_float_denorm_mode_16_64 3
		.amdhsa_fp16_overflow 0
		.amdhsa_memory_ordered 1
		.amdhsa_forward_progress 1
		.amdhsa_inst_pref_size 12
		.amdhsa_round_robin_scheduling 0
		.amdhsa_exception_fp_ieee_invalid_op 0
		.amdhsa_exception_fp_denorm_src 0
		.amdhsa_exception_fp_ieee_div_zero 0
		.amdhsa_exception_fp_ieee_overflow 0
		.amdhsa_exception_fp_ieee_underflow 0
		.amdhsa_exception_fp_ieee_inexact 0
		.amdhsa_exception_int_div_zero 0
	.end_amdhsa_kernel
	.section	.text._ZN12_GLOBAL__N_127rocblas_gemm_batched_kernelIiLi16ELi16ELi32ELi32ELi8ELi32ELi8ELi8ELi32ELc67ELc78EKaKiiEEvlllT_PT11_llS5_llS3_PT12_llPT13_lli,"axG",@progbits,_ZN12_GLOBAL__N_127rocblas_gemm_batched_kernelIiLi16ELi16ELi32ELi32ELi8ELi32ELi8ELi8ELi32ELc67ELc78EKaKiiEEvlllT_PT11_llS5_llS3_PT12_llPT13_lli,comdat
.Lfunc_end487:
	.size	_ZN12_GLOBAL__N_127rocblas_gemm_batched_kernelIiLi16ELi16ELi32ELi32ELi8ELi32ELi8ELi8ELi32ELc67ELc78EKaKiiEEvlllT_PT11_llS5_llS3_PT12_llPT13_lli, .Lfunc_end487-_ZN12_GLOBAL__N_127rocblas_gemm_batched_kernelIiLi16ELi16ELi32ELi32ELi8ELi32ELi8ELi8ELi32ELc67ELc78EKaKiiEEvlllT_PT11_llS5_llS3_PT12_llPT13_lli
                                        ; -- End function
	.set _ZN12_GLOBAL__N_127rocblas_gemm_batched_kernelIiLi16ELi16ELi32ELi32ELi8ELi32ELi8ELi8ELi32ELc67ELc78EKaKiiEEvlllT_PT11_llS5_llS3_PT12_llPT13_lli.num_vgpr, 42
	.set _ZN12_GLOBAL__N_127rocblas_gemm_batched_kernelIiLi16ELi16ELi32ELi32ELi8ELi32ELi8ELi8ELi32ELc67ELc78EKaKiiEEvlllT_PT11_llS5_llS3_PT12_llPT13_lli.num_agpr, 0
	.set _ZN12_GLOBAL__N_127rocblas_gemm_batched_kernelIiLi16ELi16ELi32ELi32ELi8ELi32ELi8ELi8ELi32ELc67ELc78EKaKiiEEvlllT_PT11_llS5_llS3_PT12_llPT13_lli.numbered_sgpr, 38
	.set _ZN12_GLOBAL__N_127rocblas_gemm_batched_kernelIiLi16ELi16ELi32ELi32ELi8ELi32ELi8ELi8ELi32ELc67ELc78EKaKiiEEvlllT_PT11_llS5_llS3_PT12_llPT13_lli.num_named_barrier, 0
	.set _ZN12_GLOBAL__N_127rocblas_gemm_batched_kernelIiLi16ELi16ELi32ELi32ELi8ELi32ELi8ELi8ELi32ELc67ELc78EKaKiiEEvlllT_PT11_llS5_llS3_PT12_llPT13_lli.private_seg_size, 0
	.set _ZN12_GLOBAL__N_127rocblas_gemm_batched_kernelIiLi16ELi16ELi32ELi32ELi8ELi32ELi8ELi8ELi32ELc67ELc78EKaKiiEEvlllT_PT11_llS5_llS3_PT12_llPT13_lli.uses_vcc, 1
	.set _ZN12_GLOBAL__N_127rocblas_gemm_batched_kernelIiLi16ELi16ELi32ELi32ELi8ELi32ELi8ELi8ELi32ELc67ELc78EKaKiiEEvlllT_PT11_llS5_llS3_PT12_llPT13_lli.uses_flat_scratch, 0
	.set _ZN12_GLOBAL__N_127rocblas_gemm_batched_kernelIiLi16ELi16ELi32ELi32ELi8ELi32ELi8ELi8ELi32ELc67ELc78EKaKiiEEvlllT_PT11_llS5_llS3_PT12_llPT13_lli.has_dyn_sized_stack, 0
	.set _ZN12_GLOBAL__N_127rocblas_gemm_batched_kernelIiLi16ELi16ELi32ELi32ELi8ELi32ELi8ELi8ELi32ELc67ELc78EKaKiiEEvlllT_PT11_llS5_llS3_PT12_llPT13_lli.has_recursion, 0
	.set _ZN12_GLOBAL__N_127rocblas_gemm_batched_kernelIiLi16ELi16ELi32ELi32ELi8ELi32ELi8ELi8ELi32ELc67ELc78EKaKiiEEvlllT_PT11_llS5_llS3_PT12_llPT13_lli.has_indirect_call, 0
	.section	.AMDGPU.csdata,"",@progbits
; Kernel info:
; codeLenInByte = 1436
; TotalNumSgprs: 40
; NumVgprs: 42
; ScratchSize: 0
; MemoryBound: 0
; FloatMode: 240
; IeeeMode: 1
; LDSByteSize: 2048 bytes/workgroup (compile time only)
; SGPRBlocks: 0
; VGPRBlocks: 2
; NumSGPRsForWavesPerEU: 40
; NumVGPRsForWavesPerEU: 42
; NamedBarCnt: 0
; Occupancy: 16
; WaveLimiterHint : 0
; COMPUTE_PGM_RSRC2:SCRATCH_EN: 0
; COMPUTE_PGM_RSRC2:USER_SGPR: 2
; COMPUTE_PGM_RSRC2:TRAP_HANDLER: 0
; COMPUTE_PGM_RSRC2:TGID_X_EN: 1
; COMPUTE_PGM_RSRC2:TGID_Y_EN: 1
; COMPUTE_PGM_RSRC2:TGID_Z_EN: 1
; COMPUTE_PGM_RSRC2:TIDIG_COMP_CNT: 1
	.section	.text._ZN12_GLOBAL__N_127rocblas_gemm_batched_kernelIiLi16ELi16ELi32ELi32ELi8ELi32ELi8ELi8ELi32ELc67ELc84EKaKiiEEvlllT_PT11_llS5_llS3_PT12_llPT13_lli,"axG",@progbits,_ZN12_GLOBAL__N_127rocblas_gemm_batched_kernelIiLi16ELi16ELi32ELi32ELi8ELi32ELi8ELi8ELi32ELc67ELc84EKaKiiEEvlllT_PT11_llS5_llS3_PT12_llPT13_lli,comdat
	.globl	_ZN12_GLOBAL__N_127rocblas_gemm_batched_kernelIiLi16ELi16ELi32ELi32ELi8ELi32ELi8ELi8ELi32ELc67ELc84EKaKiiEEvlllT_PT11_llS5_llS3_PT12_llPT13_lli ; -- Begin function _ZN12_GLOBAL__N_127rocblas_gemm_batched_kernelIiLi16ELi16ELi32ELi32ELi8ELi32ELi8ELi8ELi32ELc67ELc84EKaKiiEEvlllT_PT11_llS5_llS3_PT12_llPT13_lli
	.p2align	8
	.type	_ZN12_GLOBAL__N_127rocblas_gemm_batched_kernelIiLi16ELi16ELi32ELi32ELi8ELi32ELi8ELi8ELi32ELc67ELc84EKaKiiEEvlllT_PT11_llS5_llS3_PT12_llPT13_lli,@function
_ZN12_GLOBAL__N_127rocblas_gemm_batched_kernelIiLi16ELi16ELi32ELi32ELi8ELi32ELi8ELi8ELi32ELc67ELc84EKaKiiEEvlllT_PT11_llS5_llS3_PT12_llPT13_lli: ; @_ZN12_GLOBAL__N_127rocblas_gemm_batched_kernelIiLi16ELi16ELi32ELi32ELi8ELi32ELi8ELi8ELi32ELc67ELc84EKaKiiEEvlllT_PT11_llS5_llS3_PT12_llPT13_lli
; %bb.0:
	s_load_b32 s31, s[0:1], 0x88
	s_bfe_u32 s2, ttmp6, 0x40014
	s_lshr_b32 s3, ttmp7, 16
	s_add_co_i32 s2, s2, 1
	s_bfe_u32 s4, ttmp6, 0x40008
	s_mul_i32 s2, s3, s2
	s_getreg_b32 s28, hwreg(HW_REG_IB_STS2, 6, 4)
	s_add_co_i32 s4, s4, s2
	s_cmp_eq_u32 s28, 0
	s_cselect_b32 s2, s3, s4
	s_mov_b32 s3, 0
	s_wait_kmcnt 0x0
	s_cmp_ge_i32 s2, s31
	s_cbranch_scc1 .LBB488_10
; %bb.1:
	v_bfe_u32 v2, v0, 10, 10
	v_and_b32_e32 v4, 0x3ff, v0
	s_bfe_u32 s30, ttmp6, 0x4000c
	s_bfe_u32 s33, ttmp6, 0x40010
	s_clause 0x2
	s_load_b256 s[4:11], s[0:1], 0x20
	s_load_b128 s[20:23], s[0:1], 0x40
	s_load_b128 s[24:27], s[0:1], 0x78
	s_add_co_i32 s30, s30, 1
	s_and_b32 s34, ttmp7, 0xffff
	s_add_co_i32 s33, s33, 1
	s_load_b256 s[12:19], s[0:1], 0x58
	s_and_b32 s29, ttmp6, 15
	s_mul_i32 s30, ttmp9, s30
	s_mul_i32 s33, s34, s33
	s_bfe_u32 s35, ttmp6, 0x40004
	v_lshl_add_u32 v1, v2, 4, v4
	s_add_co_i32 s29, s29, s30
	s_add_co_i32 s35, s35, s33
	s_cmp_eq_u32 s28, 0
	s_delay_alu instid0(VALU_DEP_1)
	v_dual_mov_b32 v3, 0 :: v_dual_bitop2_b32 v5, 31, v1 bitop3:0x40
	s_cselect_b32 s28, ttmp9, s29
	s_cselect_b32 s30, s34, s35
	s_ashr_i32 s29, s28, 31
	s_lshl_b32 s36, s30, 5
	s_lshl_b64 s[34:35], s[28:29], 5
	s_mov_b32 s37, s3
	v_dual_mov_b32 v7, v3 :: v_dual_lshrrev_b32 v6, 5, v1
	v_dual_mov_b32 v15, v3 :: v_dual_bitop2_b32 v16, s34, v5 bitop3:0x54
	v_add_nc_u64_e32 v[8:9], s[36:37], v[2:3]
	s_clause 0x1
	s_load_b96 s[28:30], s[0:1], 0x10
	s_load_b32 s33, s[0:1], 0x50
	v_lshrrev_b32_e32 v14, 3, v1
	s_wait_kmcnt 0x0
	v_mad_nc_u64_u32 v[10:11], s6, v16, v[6:7]
	v_and_b32_e32 v7, 7, v0
	s_add_nc_u64 s[0:1], s[10:11], s[36:37]
	v_lshl_add_u32 v17, v2, 5, 0x400
	v_mul_u64_e32 v[12:13], s[14:15], v[8:9]
	v_mul_u64_e32 v[0:1], s[24:25], v[8:9]
	v_mad_nc_u64_u32 v[8:9], s20, v7, v[14:15]
	v_lshlrev_b32_e32 v15, 2, v7
	v_mad_u32 v11, s7, v16, v11
	v_dual_mov_b32 v5, v3 :: v_dual_lshlrev_b32 v16, 2, v5
	s_delay_alu instid0(VALU_DEP_3) | instskip(SKIP_2) | instid1(VALU_DEP_4)
	v_lshl_or_b32 v15, v14, 5, v15
	v_mad_u32 v9, s21, v7, v9
	v_cmp_gt_i64_e64 s10, s[28:29], 0
	v_lshl_or_b32 v14, v6, 7, v16
	v_lshlrev_b32_e32 v16, 2, v4
	v_add_nc_u64_e32 v[6:7], s[34:35], v[4:5]
	v_mad_u32 v11, s6, s35, v11
	v_add_nc_u32_e32 v15, 0x400, v15
	s_lshl_b64 s[6:7], s[20:21], 3
	v_cndmask_b32_e64 v18, 0, 1, s10
	s_cmp_lg_u32 s33, 0
	v_add_nc_u64_e32 v[2:3], s[0:1], v[8:9]
	v_lshlrev_b64_e32 v[6:7], 2, v[6:7]
	s_delay_alu instid0(VALU_DEP_3)
	v_cmp_ne_u32_e64 s0, 1, v18
	s_cselect_b32 s1, -1, 0
	s_lshl_b64 s[10:11], s[24:25], 4
	v_add_nc_u64_e32 v[4:5], s[4:5], v[10:11]
	s_lshl_b64 s[4:5], s[14:15], 4
	v_lshl_add_u64 v[8:9], v[12:13], 2, s[12:13]
	s_branch .LBB488_3
.LBB488_2:                              ;   in Loop: Header=BB488_3 Depth=1
	s_add_co_i32 s2, s2, 0x10000
	s_delay_alu instid0(SALU_CYCLE_1)
	s_cmp_lt_i32 s2, s31
	s_cbranch_scc0 .LBB488_10
.LBB488_3:                              ; =>This Loop Header: Depth=1
                                        ;     Child Loop BB488_5 Depth 2
	s_wait_xcnt 0x1
	v_dual_mov_b32 v20, 0 :: v_dual_mov_b32 v19, 0
	s_wait_xcnt 0x0
	v_dual_mov_b32 v21, 0 :: v_dual_mov_b32 v18, 0
	s_and_b32 vcc_lo, exec_lo, s0
	s_cbranch_vccnz .LBB488_6
; %bb.4:                                ;   in Loop: Header=BB488_3 Depth=1
	v_mad_nc_u64_u32 v[10:11], s22, s2, v[2:3]
	v_mad_nc_u64_u32 v[12:13], s8, s2, v[4:5]
	v_dual_mov_b32 v18, 0 :: v_dual_mov_b32 v21, 0
	v_dual_mov_b32 v19, 0 :: v_dual_mov_b32 v20, 0
	s_mov_b64 s[12:13], 0
	s_delay_alu instid0(VALU_DEP_4) | instskip(NEXT) | instid1(VALU_DEP_4)
	v_mad_u32 v11, s23, s2, v11
	v_mad_u32 v13, s9, s2, v13
.LBB488_5:                              ;   Parent Loop BB488_3 Depth=1
                                        ; =>  This Inner Loop Header: Depth=2
	s_delay_alu instid0(VALU_DEP_1)
	v_add_nc_u64_e32 v[22:23], s[12:13], v[12:13]
	s_add_nc_u64 s[12:13], s[12:13], 8
	global_load_i8 v24, v[10:11], off
	global_load_i8 v25, v[22:23], off
	v_cmp_lt_i64_e64 s14, s[12:13], s[28:29]
	s_wait_xcnt 0x1
	v_add_nc_u64_e32 v[10:11], s[6:7], v[10:11]
	s_wait_loadcnt 0x0
	ds_store_b32 v14, v25
	ds_store_b32 v15, v24
	s_wait_dscnt 0x0
	s_barrier_signal -1
	s_barrier_wait -1
	ds_load_2addr_b32 v[38:39], v16 offset1:16
	s_wait_xcnt 0x0
	ds_load_b128 v[22:25], v17
	ds_load_b128 v[26:29], v17 offset:512
	ds_load_2addr_b32 v[40:41], v16 offset0:32 offset1:48
	ds_load_b128 v[30:33], v17 offset:16
	ds_load_b128 v[34:37], v17 offset:528
	s_and_b32 vcc_lo, exec_lo, s14
	s_wait_dscnt 0x4
	v_mad_u32 v21, v22, v38, v21
	s_wait_dscnt 0x3
	v_mad_u32 v38, v26, v38, v19
	v_mad_u32 v20, v22, v39, v20
	v_mad_u32 v22, v26, v39, v18
	ds_load_2addr_b32 v[18:19], v16 offset0:64 offset1:80
	s_wait_dscnt 0x3
	v_mad_u32 v26, v23, v40, v21
	v_mad_u32 v38, v27, v40, v38
	v_mad_u32 v23, v23, v41, v20
	v_mad_u32 v22, v27, v41, v22
	ds_load_2addr_b32 v[20:21], v16 offset0:96 offset1:112
	s_wait_dscnt 0x1
	v_mad_u32 v26, v24, v18, v26
	;; [unrolled: 6-line block ×5, first 2 shown]
	v_mad_u32 v20, v35, v20, v25
	v_mad_u32 v25, v31, v21, v23
	;; [unrolled: 1-line block ×3, first 2 shown]
	ds_load_2addr_b32 v[22:23], v16 offset0:224 offset1:240
	s_wait_dscnt 0x0
	s_barrier_signal -1
	s_barrier_wait -1
	v_mad_u32 v24, v32, v18, v24
	v_mad_u32 v18, v36, v18, v20
	;; [unrolled: 1-line block ×4, first 2 shown]
	s_delay_alu instid0(VALU_DEP_4) | instskip(NEXT) | instid1(VALU_DEP_4)
	v_mad_u32 v21, v33, v22, v24
	v_mad_u32 v19, v37, v22, v18
	s_delay_alu instid0(VALU_DEP_4) | instskip(NEXT) | instid1(VALU_DEP_4)
	v_mad_u32 v20, v33, v23, v20
	v_mad_u32 v18, v37, v23, v25
	s_cbranch_vccnz .LBB488_5
.LBB488_6:                              ;   in Loop: Header=BB488_3 Depth=1
	s_mul_u64 s[12:13], s[26:27], s[2:3]
	s_delay_alu instid0(VALU_DEP_1) | instskip(SKIP_1) | instid1(VALU_DEP_3)
	v_mul_lo_u32 v21, v21, s30
	s_lshl_b64 s[12:13], s[12:13], 2
	v_mul_lo_u32 v20, v20, s30
	s_add_nc_u64 s[12:13], s[18:19], s[12:13]
	v_mul_lo_u32 v19, v19, s30
	v_lshl_add_u64 v[12:13], v[0:1], 2, s[12:13]
	v_mul_lo_u32 v18, v18, s30
	s_and_not1_b32 vcc_lo, exec_lo, s1
	s_delay_alu instid0(VALU_DEP_2)
	v_add_nc_u64_e32 v[10:11], v[12:13], v[6:7]
	v_lshl_add_u64 v[12:13], s[10:11], 2, v[12:13]
	s_cbranch_vccnz .LBB488_8
; %bb.7:                                ;   in Loop: Header=BB488_3 Depth=1
	s_mul_u64 s[12:13], s[16:17], s[2:3]
	s_delay_alu instid0(SALU_CYCLE_1) | instskip(NEXT) | instid1(VALU_DEP_1)
	v_lshl_add_u64 v[22:23], s[12:13], 2, v[8:9]
	v_add_nc_u64_e32 v[24:25], v[22:23], v[6:7]
	v_lshl_add_u64 v[22:23], s[4:5], 2, v[22:23]
	s_delay_alu instid0(VALU_DEP_1)
	v_add_nc_u64_e32 v[22:23], v[22:23], v[6:7]
	global_load_b32 v26, v[24:25], off
	s_wait_loadcnt 0x0
	v_mad_u32 v26, v26, s33, v21
	global_store_b32 v[10:11], v26, off
	global_load_b32 v24, v[24:25], off offset:64
	s_wait_loadcnt 0x0
	s_wait_xcnt 0x0
	v_mad_u32 v24, v24, s33, v20
	global_store_b32 v[10:11], v24, off offset:64
	global_load_b32 v24, v[22:23], off
	s_wait_loadcnt 0x0
	v_mad_u32 v26, v24, s33, v19
	v_add_nc_u64_e32 v[24:25], v[12:13], v[6:7]
	global_store_b32 v[24:25], v26, off
	global_load_b32 v22, v[22:23], off offset:64
	s_wait_loadcnt 0x0
	s_wait_xcnt 0x0
	v_mad_u32 v22, v22, s33, v18
	global_store_b32 v[24:25], v22, off offset:64
	s_cbranch_execnz .LBB488_2
	s_branch .LBB488_9
.LBB488_8:                              ;   in Loop: Header=BB488_3 Depth=1
.LBB488_9:                              ;   in Loop: Header=BB488_3 Depth=1
	s_delay_alu instid0(VALU_DEP_1)
	v_add_nc_u64_e32 v[12:13], v[12:13], v[6:7]
	s_clause 0x3
	global_store_b32 v[10:11], v21, off
	global_store_b32 v[10:11], v20, off offset:64
	global_store_b32 v[12:13], v19, off
	global_store_b32 v[12:13], v18, off offset:64
	s_branch .LBB488_2
.LBB488_10:
	s_endpgm
	.section	.rodata,"a",@progbits
	.p2align	6, 0x0
	.amdhsa_kernel _ZN12_GLOBAL__N_127rocblas_gemm_batched_kernelIiLi16ELi16ELi32ELi32ELi8ELi32ELi8ELi8ELi32ELc67ELc84EKaKiiEEvlllT_PT11_llS5_llS3_PT12_llPT13_lli
		.amdhsa_group_segment_fixed_size 2048
		.amdhsa_private_segment_fixed_size 0
		.amdhsa_kernarg_size 140
		.amdhsa_user_sgpr_count 2
		.amdhsa_user_sgpr_dispatch_ptr 0
		.amdhsa_user_sgpr_queue_ptr 0
		.amdhsa_user_sgpr_kernarg_segment_ptr 1
		.amdhsa_user_sgpr_dispatch_id 0
		.amdhsa_user_sgpr_kernarg_preload_length 0
		.amdhsa_user_sgpr_kernarg_preload_offset 0
		.amdhsa_user_sgpr_private_segment_size 0
		.amdhsa_wavefront_size32 1
		.amdhsa_uses_dynamic_stack 0
		.amdhsa_enable_private_segment 0
		.amdhsa_system_sgpr_workgroup_id_x 1
		.amdhsa_system_sgpr_workgroup_id_y 1
		.amdhsa_system_sgpr_workgroup_id_z 1
		.amdhsa_system_sgpr_workgroup_info 0
		.amdhsa_system_vgpr_workitem_id 1
		.amdhsa_next_free_vgpr 42
		.amdhsa_next_free_sgpr 38
		.amdhsa_named_barrier_count 0
		.amdhsa_reserve_vcc 1
		.amdhsa_float_round_mode_32 0
		.amdhsa_float_round_mode_16_64 0
		.amdhsa_float_denorm_mode_32 3
		.amdhsa_float_denorm_mode_16_64 3
		.amdhsa_fp16_overflow 0
		.amdhsa_memory_ordered 1
		.amdhsa_forward_progress 1
		.amdhsa_inst_pref_size 12
		.amdhsa_round_robin_scheduling 0
		.amdhsa_exception_fp_ieee_invalid_op 0
		.amdhsa_exception_fp_denorm_src 0
		.amdhsa_exception_fp_ieee_div_zero 0
		.amdhsa_exception_fp_ieee_overflow 0
		.amdhsa_exception_fp_ieee_underflow 0
		.amdhsa_exception_fp_ieee_inexact 0
		.amdhsa_exception_int_div_zero 0
	.end_amdhsa_kernel
	.section	.text._ZN12_GLOBAL__N_127rocblas_gemm_batched_kernelIiLi16ELi16ELi32ELi32ELi8ELi32ELi8ELi8ELi32ELc67ELc84EKaKiiEEvlllT_PT11_llS5_llS3_PT12_llPT13_lli,"axG",@progbits,_ZN12_GLOBAL__N_127rocblas_gemm_batched_kernelIiLi16ELi16ELi32ELi32ELi8ELi32ELi8ELi8ELi32ELc67ELc84EKaKiiEEvlllT_PT11_llS5_llS3_PT12_llPT13_lli,comdat
.Lfunc_end488:
	.size	_ZN12_GLOBAL__N_127rocblas_gemm_batched_kernelIiLi16ELi16ELi32ELi32ELi8ELi32ELi8ELi8ELi32ELc67ELc84EKaKiiEEvlllT_PT11_llS5_llS3_PT12_llPT13_lli, .Lfunc_end488-_ZN12_GLOBAL__N_127rocblas_gemm_batched_kernelIiLi16ELi16ELi32ELi32ELi8ELi32ELi8ELi8ELi32ELc67ELc84EKaKiiEEvlllT_PT11_llS5_llS3_PT12_llPT13_lli
                                        ; -- End function
	.set _ZN12_GLOBAL__N_127rocblas_gemm_batched_kernelIiLi16ELi16ELi32ELi32ELi8ELi32ELi8ELi8ELi32ELc67ELc84EKaKiiEEvlllT_PT11_llS5_llS3_PT12_llPT13_lli.num_vgpr, 42
	.set _ZN12_GLOBAL__N_127rocblas_gemm_batched_kernelIiLi16ELi16ELi32ELi32ELi8ELi32ELi8ELi8ELi32ELc67ELc84EKaKiiEEvlllT_PT11_llS5_llS3_PT12_llPT13_lli.num_agpr, 0
	.set _ZN12_GLOBAL__N_127rocblas_gemm_batched_kernelIiLi16ELi16ELi32ELi32ELi8ELi32ELi8ELi8ELi32ELc67ELc84EKaKiiEEvlllT_PT11_llS5_llS3_PT12_llPT13_lli.numbered_sgpr, 38
	.set _ZN12_GLOBAL__N_127rocblas_gemm_batched_kernelIiLi16ELi16ELi32ELi32ELi8ELi32ELi8ELi8ELi32ELc67ELc84EKaKiiEEvlllT_PT11_llS5_llS3_PT12_llPT13_lli.num_named_barrier, 0
	.set _ZN12_GLOBAL__N_127rocblas_gemm_batched_kernelIiLi16ELi16ELi32ELi32ELi8ELi32ELi8ELi8ELi32ELc67ELc84EKaKiiEEvlllT_PT11_llS5_llS3_PT12_llPT13_lli.private_seg_size, 0
	.set _ZN12_GLOBAL__N_127rocblas_gemm_batched_kernelIiLi16ELi16ELi32ELi32ELi8ELi32ELi8ELi8ELi32ELc67ELc84EKaKiiEEvlllT_PT11_llS5_llS3_PT12_llPT13_lli.uses_vcc, 1
	.set _ZN12_GLOBAL__N_127rocblas_gemm_batched_kernelIiLi16ELi16ELi32ELi32ELi8ELi32ELi8ELi8ELi32ELc67ELc84EKaKiiEEvlllT_PT11_llS5_llS3_PT12_llPT13_lli.uses_flat_scratch, 0
	.set _ZN12_GLOBAL__N_127rocblas_gemm_batched_kernelIiLi16ELi16ELi32ELi32ELi8ELi32ELi8ELi8ELi32ELc67ELc84EKaKiiEEvlllT_PT11_llS5_llS3_PT12_llPT13_lli.has_dyn_sized_stack, 0
	.set _ZN12_GLOBAL__N_127rocblas_gemm_batched_kernelIiLi16ELi16ELi32ELi32ELi8ELi32ELi8ELi8ELi32ELc67ELc84EKaKiiEEvlllT_PT11_llS5_llS3_PT12_llPT13_lli.has_recursion, 0
	.set _ZN12_GLOBAL__N_127rocblas_gemm_batched_kernelIiLi16ELi16ELi32ELi32ELi8ELi32ELi8ELi8ELi32ELc67ELc84EKaKiiEEvlllT_PT11_llS5_llS3_PT12_llPT13_lli.has_indirect_call, 0
	.section	.AMDGPU.csdata,"",@progbits
; Kernel info:
; codeLenInByte = 1424
; TotalNumSgprs: 40
; NumVgprs: 42
; ScratchSize: 0
; MemoryBound: 0
; FloatMode: 240
; IeeeMode: 1
; LDSByteSize: 2048 bytes/workgroup (compile time only)
; SGPRBlocks: 0
; VGPRBlocks: 2
; NumSGPRsForWavesPerEU: 40
; NumVGPRsForWavesPerEU: 42
; NamedBarCnt: 0
; Occupancy: 16
; WaveLimiterHint : 0
; COMPUTE_PGM_RSRC2:SCRATCH_EN: 0
; COMPUTE_PGM_RSRC2:USER_SGPR: 2
; COMPUTE_PGM_RSRC2:TRAP_HANDLER: 0
; COMPUTE_PGM_RSRC2:TGID_X_EN: 1
; COMPUTE_PGM_RSRC2:TGID_Y_EN: 1
; COMPUTE_PGM_RSRC2:TGID_Z_EN: 1
; COMPUTE_PGM_RSRC2:TIDIG_COMP_CNT: 1
	.section	.text._ZN12_GLOBAL__N_127rocblas_gemm_batched_kernelIiLi16ELi16ELi32ELi32ELi8ELi32ELi8ELi8ELi32ELc78ELc67EKaKiiEEvlllT_PT11_llS5_llS3_PT12_llPT13_lli,"axG",@progbits,_ZN12_GLOBAL__N_127rocblas_gemm_batched_kernelIiLi16ELi16ELi32ELi32ELi8ELi32ELi8ELi8ELi32ELc78ELc67EKaKiiEEvlllT_PT11_llS5_llS3_PT12_llPT13_lli,comdat
	.globl	_ZN12_GLOBAL__N_127rocblas_gemm_batched_kernelIiLi16ELi16ELi32ELi32ELi8ELi32ELi8ELi8ELi32ELc78ELc67EKaKiiEEvlllT_PT11_llS5_llS3_PT12_llPT13_lli ; -- Begin function _ZN12_GLOBAL__N_127rocblas_gemm_batched_kernelIiLi16ELi16ELi32ELi32ELi8ELi32ELi8ELi8ELi32ELc78ELc67EKaKiiEEvlllT_PT11_llS5_llS3_PT12_llPT13_lli
	.p2align	8
	.type	_ZN12_GLOBAL__N_127rocblas_gemm_batched_kernelIiLi16ELi16ELi32ELi32ELi8ELi32ELi8ELi8ELi32ELc78ELc67EKaKiiEEvlllT_PT11_llS5_llS3_PT12_llPT13_lli,@function
_ZN12_GLOBAL__N_127rocblas_gemm_batched_kernelIiLi16ELi16ELi32ELi32ELi8ELi32ELi8ELi8ELi32ELc78ELc67EKaKiiEEvlllT_PT11_llS5_llS3_PT12_llPT13_lli: ; @_ZN12_GLOBAL__N_127rocblas_gemm_batched_kernelIiLi16ELi16ELi32ELi32ELi8ELi32ELi8ELi8ELi32ELc78ELc67EKaKiiEEvlllT_PT11_llS5_llS3_PT12_llPT13_lli
; %bb.0:
	s_load_b32 s31, s[0:1], 0x88
	s_bfe_u32 s2, ttmp6, 0x40014
	s_lshr_b32 s3, ttmp7, 16
	s_add_co_i32 s2, s2, 1
	s_bfe_u32 s4, ttmp6, 0x40008
	s_mul_i32 s2, s3, s2
	s_getreg_b32 s28, hwreg(HW_REG_IB_STS2, 6, 4)
	s_add_co_i32 s4, s4, s2
	s_cmp_eq_u32 s28, 0
	s_cselect_b32 s2, s3, s4
	s_mov_b32 s3, 0
	s_wait_kmcnt 0x0
	s_cmp_ge_i32 s2, s31
	s_cbranch_scc1 .LBB489_10
; %bb.1:
	s_clause 0x3
	s_load_b256 s[4:11], s[0:1], 0x20
	s_load_b128 s[20:23], s[0:1], 0x40
	s_load_b128 s[24:27], s[0:1], 0x78
	s_load_b256 s[12:19], s[0:1], 0x58
	s_bfe_u32 s29, ttmp6, 0x4000c
	s_bfe_u32 s33, ttmp6, 0x40010
	s_add_co_i32 s29, s29, 1
	s_and_b32 s34, ttmp7, 0xffff
	s_add_co_i32 s33, s33, 1
	v_bfe_u32 v2, v0, 10, 10
	v_and_b32_e32 v4, 0x3ff, v0
	s_and_b32 s30, ttmp6, 15
	s_mul_i32 s29, ttmp9, s29
	s_mul_i32 s33, s34, s33
	s_bfe_u32 s35, ttmp6, 0x40004
	s_add_co_i32 s30, s30, s29
	s_add_co_i32 s35, s35, s33
	s_cmp_eq_u32 s28, 0
	v_lshl_add_u32 v1, v2, 4, v4
	v_mov_b32_e32 v3, 0
	s_cselect_b32 s28, s34, s35
	s_cselect_b32 s34, ttmp9, s30
	s_lshl_b32 s36, s28, 5
	s_mov_b32 s37, s3
	v_lshrrev_b32_e32 v14, 5, v1
	v_add_nc_u64_e32 v[6:7], s[36:37], v[2:3]
	s_ashr_i32 s35, s34, 31
	s_load_b96 s[28:30], s[0:1], 0x10
	s_lshl_b64 s[34:35], s[34:35], 5
	v_dual_lshrrev_b32 v8, 3, v1 :: v_dual_bitop2_b32 v16, 7, v0 bitop3:0x40
	s_wait_kmcnt 0x0
	v_mad_nc_u64_u32 v[12:13], s6, v14, s[34:35]
	v_mul_u64_e32 v[10:11], s[14:15], v[6:7]
	v_dual_mov_b32 v9, v3 :: v_dual_bitop2_b32 v18, 31, v1 bitop3:0x40
	v_mul_u64_e32 v[0:1], s[24:25], v[6:7]
	s_load_b32 s1, s[0:1], 0x50
	v_lshlrev_b32_e32 v5, 2, v16
	s_delay_alu instid0(VALU_DEP_3)
	v_mad_nc_u64_u32 v[6:7], s20, v16, v[8:9]
	v_dual_lshlrev_b32 v9, 2, v18 :: v_dual_mov_b32 v19, v3
	s_add_nc_u64 s[10:11], s[10:11], s[36:37]
	v_mad_u32 v13, s7, v14, v13
	v_lshl_or_b32 v8, v8, 5, v5
	v_mov_b32_e32 v5, v3
	v_lshl_or_b32 v14, v14, 7, v9
	v_lshl_add_u32 v17, v2, 5, 0x400
	s_wait_xcnt 0x0
	v_cmp_gt_i64_e64 s0, s[28:29], 0
	v_add_nc_u32_e32 v15, 0x400, v8
	v_mad_u32 v7, s21, v16, v7
	v_lshlrev_b32_e32 v16, 2, v4
	s_lshl_b64 s[6:7], s[6:7], 3
	s_lshl_b64 s[20:21], s[20:21], 3
	v_add_nc_u64_e32 v[8:9], v[12:13], v[18:19]
	v_add_nc_u64_e32 v[12:13], s[34:35], v[4:5]
	v_cndmask_b32_e64 v18, 0, 1, s0
	s_wait_kmcnt 0x0
	s_cmp_lg_u32 s1, 0
	s_cselect_b32 s33, -1, 0
	v_add_nc_u64_e32 v[2:3], s[10:11], v[6:7]
	v_add_nc_u64_e32 v[4:5], s[4:5], v[8:9]
	v_lshlrev_b64_e32 v[6:7], 2, v[12:13]
	v_cmp_ne_u32_e64 s0, 1, v18
	v_lshl_add_u64 v[8:9], v[10:11], 2, s[12:13]
	s_lshl_b64 s[4:5], s[14:15], 4
	s_lshl_b64 s[10:11], s[24:25], 4
	s_branch .LBB489_3
.LBB489_2:                              ;   in Loop: Header=BB489_3 Depth=1
	s_add_co_i32 s2, s2, 0x10000
	s_delay_alu instid0(SALU_CYCLE_1)
	s_cmp_lt_i32 s2, s31
	s_cbranch_scc0 .LBB489_10
.LBB489_3:                              ; =>This Loop Header: Depth=1
                                        ;     Child Loop BB489_5 Depth 2
	s_wait_xcnt 0x1
	v_dual_mov_b32 v20, 0 :: v_dual_mov_b32 v19, 0
	s_wait_xcnt 0x0
	v_dual_mov_b32 v21, 0 :: v_dual_mov_b32 v18, 0
	s_and_b32 vcc_lo, exec_lo, s0
	s_cbranch_vccnz .LBB489_6
; %bb.4:                                ;   in Loop: Header=BB489_3 Depth=1
	v_mad_nc_u64_u32 v[10:11], s22, s2, v[2:3]
	v_mad_nc_u64_u32 v[12:13], s8, s2, v[4:5]
	v_dual_mov_b32 v18, 0 :: v_dual_mov_b32 v21, 0
	v_dual_mov_b32 v19, 0 :: v_dual_mov_b32 v20, 0
	s_mov_b64 s[12:13], 0
	s_delay_alu instid0(VALU_DEP_4) | instskip(NEXT) | instid1(VALU_DEP_4)
	v_mad_u32 v11, s23, s2, v11
	v_mad_u32 v13, s9, s2, v13
.LBB489_5:                              ;   Parent Loop BB489_3 Depth=1
                                        ; =>  This Inner Loop Header: Depth=2
	global_load_i8 v22, v[12:13], off
	global_load_i8 v23, v[10:11], off
	s_add_nc_u64 s[12:13], s[12:13], 8
	s_wait_xcnt 0x0
	v_add_nc_u64_e32 v[10:11], s[20:21], v[10:11]
	v_cmp_lt_i64_e64 s14, s[12:13], s[28:29]
	v_add_nc_u64_e32 v[12:13], s[6:7], v[12:13]
	s_wait_loadcnt 0x1
	ds_store_b32 v14, v22
	s_wait_loadcnt 0x0
	ds_store_b32 v15, v23
	s_wait_dscnt 0x0
	s_barrier_signal -1
	s_barrier_wait -1
	ds_load_2addr_b32 v[38:39], v16 offset1:16
	ds_load_b128 v[22:25], v17
	ds_load_b128 v[26:29], v17 offset:512
	ds_load_2addr_b32 v[40:41], v16 offset0:32 offset1:48
	ds_load_b128 v[30:33], v17 offset:16
	ds_load_b128 v[34:37], v17 offset:528
	s_and_b32 vcc_lo, exec_lo, s14
	s_wait_dscnt 0x4
	v_mad_u32 v21, v22, v38, v21
	s_wait_dscnt 0x3
	v_mad_u32 v38, v26, v38, v19
	v_mad_u32 v20, v22, v39, v20
	v_mad_u32 v22, v26, v39, v18
	ds_load_2addr_b32 v[18:19], v16 offset0:64 offset1:80
	s_wait_dscnt 0x3
	v_mad_u32 v26, v23, v40, v21
	v_mad_u32 v38, v27, v40, v38
	v_mad_u32 v23, v23, v41, v20
	v_mad_u32 v22, v27, v41, v22
	ds_load_2addr_b32 v[20:21], v16 offset0:96 offset1:112
	s_wait_dscnt 0x1
	v_mad_u32 v26, v24, v18, v26
	;; [unrolled: 6-line block ×5, first 2 shown]
	v_mad_u32 v20, v35, v20, v25
	v_mad_u32 v25, v31, v21, v23
	;; [unrolled: 1-line block ×3, first 2 shown]
	ds_load_2addr_b32 v[22:23], v16 offset0:224 offset1:240
	s_wait_dscnt 0x0
	s_barrier_signal -1
	s_barrier_wait -1
	v_mad_u32 v24, v32, v18, v24
	v_mad_u32 v18, v36, v18, v20
	;; [unrolled: 1-line block ×4, first 2 shown]
	s_delay_alu instid0(VALU_DEP_4) | instskip(NEXT) | instid1(VALU_DEP_4)
	v_mad_u32 v21, v33, v22, v24
	v_mad_u32 v19, v37, v22, v18
	s_delay_alu instid0(VALU_DEP_4) | instskip(NEXT) | instid1(VALU_DEP_4)
	v_mad_u32 v20, v33, v23, v20
	v_mad_u32 v18, v37, v23, v25
	s_cbranch_vccnz .LBB489_5
.LBB489_6:                              ;   in Loop: Header=BB489_3 Depth=1
	s_mul_u64 s[12:13], s[26:27], s[2:3]
	s_delay_alu instid0(VALU_DEP_1) | instskip(SKIP_1) | instid1(VALU_DEP_3)
	v_mul_lo_u32 v21, v21, s30
	s_lshl_b64 s[12:13], s[12:13], 2
	v_mul_lo_u32 v20, v20, s30
	s_add_nc_u64 s[12:13], s[18:19], s[12:13]
	v_mul_lo_u32 v19, v19, s30
	v_lshl_add_u64 v[12:13], v[0:1], 2, s[12:13]
	v_mul_lo_u32 v18, v18, s30
	s_and_not1_b32 vcc_lo, exec_lo, s33
	s_delay_alu instid0(VALU_DEP_2)
	v_add_nc_u64_e32 v[10:11], v[12:13], v[6:7]
	v_lshl_add_u64 v[12:13], s[10:11], 2, v[12:13]
	s_cbranch_vccnz .LBB489_8
; %bb.7:                                ;   in Loop: Header=BB489_3 Depth=1
	s_mul_u64 s[12:13], s[16:17], s[2:3]
	s_delay_alu instid0(SALU_CYCLE_1) | instskip(NEXT) | instid1(VALU_DEP_1)
	v_lshl_add_u64 v[22:23], s[12:13], 2, v[8:9]
	v_add_nc_u64_e32 v[24:25], v[22:23], v[6:7]
	v_lshl_add_u64 v[22:23], s[4:5], 2, v[22:23]
	s_delay_alu instid0(VALU_DEP_1)
	v_add_nc_u64_e32 v[22:23], v[22:23], v[6:7]
	global_load_b32 v26, v[24:25], off
	s_wait_loadcnt 0x0
	v_mad_u32 v26, v26, s1, v21
	global_store_b32 v[10:11], v26, off
	global_load_b32 v24, v[24:25], off offset:64
	s_wait_loadcnt 0x0
	s_wait_xcnt 0x0
	v_mad_u32 v24, v24, s1, v20
	global_store_b32 v[10:11], v24, off offset:64
	global_load_b32 v24, v[22:23], off
	s_wait_loadcnt 0x0
	v_mad_u32 v26, v24, s1, v19
	v_add_nc_u64_e32 v[24:25], v[12:13], v[6:7]
	global_store_b32 v[24:25], v26, off
	global_load_b32 v22, v[22:23], off offset:64
	s_wait_loadcnt 0x0
	s_wait_xcnt 0x0
	v_mad_u32 v22, v22, s1, v18
	global_store_b32 v[24:25], v22, off offset:64
	s_cbranch_execnz .LBB489_2
	s_branch .LBB489_9
.LBB489_8:                              ;   in Loop: Header=BB489_3 Depth=1
.LBB489_9:                              ;   in Loop: Header=BB489_3 Depth=1
	s_delay_alu instid0(VALU_DEP_1)
	v_add_nc_u64_e32 v[12:13], v[12:13], v[6:7]
	s_clause 0x3
	global_store_b32 v[10:11], v21, off
	global_store_b32 v[10:11], v20, off offset:64
	global_store_b32 v[12:13], v19, off
	global_store_b32 v[12:13], v18, off offset:64
	s_branch .LBB489_2
.LBB489_10:
	s_endpgm
	.section	.rodata,"a",@progbits
	.p2align	6, 0x0
	.amdhsa_kernel _ZN12_GLOBAL__N_127rocblas_gemm_batched_kernelIiLi16ELi16ELi32ELi32ELi8ELi32ELi8ELi8ELi32ELc78ELc67EKaKiiEEvlllT_PT11_llS5_llS3_PT12_llPT13_lli
		.amdhsa_group_segment_fixed_size 2048
		.amdhsa_private_segment_fixed_size 0
		.amdhsa_kernarg_size 140
		.amdhsa_user_sgpr_count 2
		.amdhsa_user_sgpr_dispatch_ptr 0
		.amdhsa_user_sgpr_queue_ptr 0
		.amdhsa_user_sgpr_kernarg_segment_ptr 1
		.amdhsa_user_sgpr_dispatch_id 0
		.amdhsa_user_sgpr_kernarg_preload_length 0
		.amdhsa_user_sgpr_kernarg_preload_offset 0
		.amdhsa_user_sgpr_private_segment_size 0
		.amdhsa_wavefront_size32 1
		.amdhsa_uses_dynamic_stack 0
		.amdhsa_enable_private_segment 0
		.amdhsa_system_sgpr_workgroup_id_x 1
		.amdhsa_system_sgpr_workgroup_id_y 1
		.amdhsa_system_sgpr_workgroup_id_z 1
		.amdhsa_system_sgpr_workgroup_info 0
		.amdhsa_system_vgpr_workitem_id 1
		.amdhsa_next_free_vgpr 42
		.amdhsa_next_free_sgpr 38
		.amdhsa_named_barrier_count 0
		.amdhsa_reserve_vcc 1
		.amdhsa_float_round_mode_32 0
		.amdhsa_float_round_mode_16_64 0
		.amdhsa_float_denorm_mode_32 3
		.amdhsa_float_denorm_mode_16_64 3
		.amdhsa_fp16_overflow 0
		.amdhsa_memory_ordered 1
		.amdhsa_forward_progress 1
		.amdhsa_inst_pref_size 12
		.amdhsa_round_robin_scheduling 0
		.amdhsa_exception_fp_ieee_invalid_op 0
		.amdhsa_exception_fp_denorm_src 0
		.amdhsa_exception_fp_ieee_div_zero 0
		.amdhsa_exception_fp_ieee_overflow 0
		.amdhsa_exception_fp_ieee_underflow 0
		.amdhsa_exception_fp_ieee_inexact 0
		.amdhsa_exception_int_div_zero 0
	.end_amdhsa_kernel
	.section	.text._ZN12_GLOBAL__N_127rocblas_gemm_batched_kernelIiLi16ELi16ELi32ELi32ELi8ELi32ELi8ELi8ELi32ELc78ELc67EKaKiiEEvlllT_PT11_llS5_llS3_PT12_llPT13_lli,"axG",@progbits,_ZN12_GLOBAL__N_127rocblas_gemm_batched_kernelIiLi16ELi16ELi32ELi32ELi8ELi32ELi8ELi8ELi32ELc78ELc67EKaKiiEEvlllT_PT11_llS5_llS3_PT12_llPT13_lli,comdat
.Lfunc_end489:
	.size	_ZN12_GLOBAL__N_127rocblas_gemm_batched_kernelIiLi16ELi16ELi32ELi32ELi8ELi32ELi8ELi8ELi32ELc78ELc67EKaKiiEEvlllT_PT11_llS5_llS3_PT12_llPT13_lli, .Lfunc_end489-_ZN12_GLOBAL__N_127rocblas_gemm_batched_kernelIiLi16ELi16ELi32ELi32ELi8ELi32ELi8ELi8ELi32ELc78ELc67EKaKiiEEvlllT_PT11_llS5_llS3_PT12_llPT13_lli
                                        ; -- End function
	.set _ZN12_GLOBAL__N_127rocblas_gemm_batched_kernelIiLi16ELi16ELi32ELi32ELi8ELi32ELi8ELi8ELi32ELc78ELc67EKaKiiEEvlllT_PT11_llS5_llS3_PT12_llPT13_lli.num_vgpr, 42
	.set _ZN12_GLOBAL__N_127rocblas_gemm_batched_kernelIiLi16ELi16ELi32ELi32ELi8ELi32ELi8ELi8ELi32ELc78ELc67EKaKiiEEvlllT_PT11_llS5_llS3_PT12_llPT13_lli.num_agpr, 0
	.set _ZN12_GLOBAL__N_127rocblas_gemm_batched_kernelIiLi16ELi16ELi32ELi32ELi8ELi32ELi8ELi8ELi32ELc78ELc67EKaKiiEEvlllT_PT11_llS5_llS3_PT12_llPT13_lli.numbered_sgpr, 38
	.set _ZN12_GLOBAL__N_127rocblas_gemm_batched_kernelIiLi16ELi16ELi32ELi32ELi8ELi32ELi8ELi8ELi32ELc78ELc67EKaKiiEEvlllT_PT11_llS5_llS3_PT12_llPT13_lli.num_named_barrier, 0
	.set _ZN12_GLOBAL__N_127rocblas_gemm_batched_kernelIiLi16ELi16ELi32ELi32ELi8ELi32ELi8ELi8ELi32ELc78ELc67EKaKiiEEvlllT_PT11_llS5_llS3_PT12_llPT13_lli.private_seg_size, 0
	.set _ZN12_GLOBAL__N_127rocblas_gemm_batched_kernelIiLi16ELi16ELi32ELi32ELi8ELi32ELi8ELi8ELi32ELc78ELc67EKaKiiEEvlllT_PT11_llS5_llS3_PT12_llPT13_lli.uses_vcc, 1
	.set _ZN12_GLOBAL__N_127rocblas_gemm_batched_kernelIiLi16ELi16ELi32ELi32ELi8ELi32ELi8ELi8ELi32ELc78ELc67EKaKiiEEvlllT_PT11_llS5_llS3_PT12_llPT13_lli.uses_flat_scratch, 0
	.set _ZN12_GLOBAL__N_127rocblas_gemm_batched_kernelIiLi16ELi16ELi32ELi32ELi8ELi32ELi8ELi8ELi32ELc78ELc67EKaKiiEEvlllT_PT11_llS5_llS3_PT12_llPT13_lli.has_dyn_sized_stack, 0
	.set _ZN12_GLOBAL__N_127rocblas_gemm_batched_kernelIiLi16ELi16ELi32ELi32ELi8ELi32ELi8ELi8ELi32ELc78ELc67EKaKiiEEvlllT_PT11_llS5_llS3_PT12_llPT13_lli.has_recursion, 0
	.set _ZN12_GLOBAL__N_127rocblas_gemm_batched_kernelIiLi16ELi16ELi32ELi32ELi8ELi32ELi8ELi8ELi32ELc78ELc67EKaKiiEEvlllT_PT11_llS5_llS3_PT12_llPT13_lli.has_indirect_call, 0
	.section	.AMDGPU.csdata,"",@progbits
; Kernel info:
; codeLenInByte = 1416
; TotalNumSgprs: 40
; NumVgprs: 42
; ScratchSize: 0
; MemoryBound: 0
; FloatMode: 240
; IeeeMode: 1
; LDSByteSize: 2048 bytes/workgroup (compile time only)
; SGPRBlocks: 0
; VGPRBlocks: 2
; NumSGPRsForWavesPerEU: 40
; NumVGPRsForWavesPerEU: 42
; NamedBarCnt: 0
; Occupancy: 16
; WaveLimiterHint : 0
; COMPUTE_PGM_RSRC2:SCRATCH_EN: 0
; COMPUTE_PGM_RSRC2:USER_SGPR: 2
; COMPUTE_PGM_RSRC2:TRAP_HANDLER: 0
; COMPUTE_PGM_RSRC2:TGID_X_EN: 1
; COMPUTE_PGM_RSRC2:TGID_Y_EN: 1
; COMPUTE_PGM_RSRC2:TGID_Z_EN: 1
; COMPUTE_PGM_RSRC2:TIDIG_COMP_CNT: 1
	.section	.text._ZN12_GLOBAL__N_127rocblas_gemm_batched_kernelIiLi16ELi16ELi32ELi32ELi8ELi32ELi8ELi8ELi32ELc84ELc67EKaKiiEEvlllT_PT11_llS5_llS3_PT12_llPT13_lli,"axG",@progbits,_ZN12_GLOBAL__N_127rocblas_gemm_batched_kernelIiLi16ELi16ELi32ELi32ELi8ELi32ELi8ELi8ELi32ELc84ELc67EKaKiiEEvlllT_PT11_llS5_llS3_PT12_llPT13_lli,comdat
	.globl	_ZN12_GLOBAL__N_127rocblas_gemm_batched_kernelIiLi16ELi16ELi32ELi32ELi8ELi32ELi8ELi8ELi32ELc84ELc67EKaKiiEEvlllT_PT11_llS5_llS3_PT12_llPT13_lli ; -- Begin function _ZN12_GLOBAL__N_127rocblas_gemm_batched_kernelIiLi16ELi16ELi32ELi32ELi8ELi32ELi8ELi8ELi32ELc84ELc67EKaKiiEEvlllT_PT11_llS5_llS3_PT12_llPT13_lli
	.p2align	8
	.type	_ZN12_GLOBAL__N_127rocblas_gemm_batched_kernelIiLi16ELi16ELi32ELi32ELi8ELi32ELi8ELi8ELi32ELc84ELc67EKaKiiEEvlllT_PT11_llS5_llS3_PT12_llPT13_lli,@function
_ZN12_GLOBAL__N_127rocblas_gemm_batched_kernelIiLi16ELi16ELi32ELi32ELi8ELi32ELi8ELi8ELi32ELc84ELc67EKaKiiEEvlllT_PT11_llS5_llS3_PT12_llPT13_lli: ; @_ZN12_GLOBAL__N_127rocblas_gemm_batched_kernelIiLi16ELi16ELi32ELi32ELi8ELi32ELi8ELi8ELi32ELc84ELc67EKaKiiEEvlllT_PT11_llS5_llS3_PT12_llPT13_lli
; %bb.0:
	s_load_b32 s31, s[0:1], 0x88
	s_bfe_u32 s2, ttmp6, 0x40014
	s_lshr_b32 s3, ttmp7, 16
	s_add_co_i32 s2, s2, 1
	s_bfe_u32 s4, ttmp6, 0x40008
	s_mul_i32 s2, s3, s2
	s_getreg_b32 s28, hwreg(HW_REG_IB_STS2, 6, 4)
	s_add_co_i32 s4, s4, s2
	s_cmp_eq_u32 s28, 0
	s_cselect_b32 s2, s3, s4
	s_mov_b32 s3, 0
	s_wait_kmcnt 0x0
	s_cmp_ge_i32 s2, s31
	s_cbranch_scc1 .LBB490_10
; %bb.1:
	v_bfe_u32 v2, v0, 10, 10
	v_and_b32_e32 v4, 0x3ff, v0
	s_bfe_u32 s30, ttmp6, 0x4000c
	s_bfe_u32 s33, ttmp6, 0x40010
	s_clause 0x2
	s_load_b256 s[4:11], s[0:1], 0x20
	s_load_b128 s[20:23], s[0:1], 0x40
	s_load_b128 s[24:27], s[0:1], 0x78
	s_add_co_i32 s30, s30, 1
	s_and_b32 s34, ttmp7, 0xffff
	s_add_co_i32 s33, s33, 1
	s_load_b256 s[12:19], s[0:1], 0x58
	s_and_b32 s29, ttmp6, 15
	s_mul_i32 s30, ttmp9, s30
	s_mul_i32 s33, s34, s33
	s_bfe_u32 s35, ttmp6, 0x40004
	v_lshl_add_u32 v1, v2, 4, v4
	s_add_co_i32 s29, s29, s30
	s_add_co_i32 s35, s35, s33
	s_cmp_eq_u32 s28, 0
	s_delay_alu instid0(VALU_DEP_1)
	v_dual_mov_b32 v3, 0 :: v_dual_bitop2_b32 v5, 31, v1 bitop3:0x40
	s_cselect_b32 s28, ttmp9, s29
	s_cselect_b32 s30, s34, s35
	s_ashr_i32 s29, s28, 31
	s_lshl_b32 s36, s30, 5
	s_lshl_b64 s[34:35], s[28:29], 5
	s_mov_b32 s37, s3
	v_dual_mov_b32 v7, v3 :: v_dual_lshrrev_b32 v6, 5, v1
	v_dual_mov_b32 v15, v3 :: v_dual_bitop2_b32 v16, s34, v5 bitop3:0x54
	v_add_nc_u64_e32 v[8:9], s[36:37], v[2:3]
	s_clause 0x1
	s_load_b96 s[28:30], s[0:1], 0x10
	s_load_b32 s33, s[0:1], 0x50
	v_lshrrev_b32_e32 v14, 3, v1
	s_wait_kmcnt 0x0
	v_mad_nc_u64_u32 v[10:11], s6, v16, v[6:7]
	v_and_b32_e32 v7, 7, v0
	s_add_nc_u64 s[0:1], s[10:11], s[36:37]
	v_lshl_add_u32 v17, v2, 5, 0x400
	v_mul_u64_e32 v[12:13], s[14:15], v[8:9]
	v_mul_u64_e32 v[0:1], s[24:25], v[8:9]
	v_mad_nc_u64_u32 v[8:9], s20, v7, v[14:15]
	v_lshlrev_b32_e32 v15, 2, v7
	v_mad_u32 v11, s7, v16, v11
	v_dual_mov_b32 v5, v3 :: v_dual_lshlrev_b32 v16, 2, v5
	s_delay_alu instid0(VALU_DEP_3) | instskip(SKIP_2) | instid1(VALU_DEP_4)
	v_lshl_or_b32 v15, v14, 5, v15
	v_mad_u32 v9, s21, v7, v9
	v_cmp_gt_i64_e64 s10, s[28:29], 0
	v_lshl_or_b32 v14, v6, 7, v16
	v_lshlrev_b32_e32 v16, 2, v4
	v_add_nc_u64_e32 v[6:7], s[34:35], v[4:5]
	v_mad_u32 v11, s6, s35, v11
	v_add_nc_u32_e32 v15, 0x400, v15
	s_lshl_b64 s[6:7], s[20:21], 3
	v_cndmask_b32_e64 v18, 0, 1, s10
	s_cmp_lg_u32 s33, 0
	v_add_nc_u64_e32 v[2:3], s[0:1], v[8:9]
	v_lshlrev_b64_e32 v[6:7], 2, v[6:7]
	s_delay_alu instid0(VALU_DEP_3)
	v_cmp_ne_u32_e64 s0, 1, v18
	s_cselect_b32 s1, -1, 0
	s_lshl_b64 s[10:11], s[24:25], 4
	v_add_nc_u64_e32 v[4:5], s[4:5], v[10:11]
	s_lshl_b64 s[4:5], s[14:15], 4
	v_lshl_add_u64 v[8:9], v[12:13], 2, s[12:13]
	s_branch .LBB490_3
.LBB490_2:                              ;   in Loop: Header=BB490_3 Depth=1
	s_add_co_i32 s2, s2, 0x10000
	s_delay_alu instid0(SALU_CYCLE_1)
	s_cmp_lt_i32 s2, s31
	s_cbranch_scc0 .LBB490_10
.LBB490_3:                              ; =>This Loop Header: Depth=1
                                        ;     Child Loop BB490_5 Depth 2
	s_wait_xcnt 0x1
	v_dual_mov_b32 v20, 0 :: v_dual_mov_b32 v19, 0
	s_wait_xcnt 0x0
	v_dual_mov_b32 v21, 0 :: v_dual_mov_b32 v18, 0
	s_and_b32 vcc_lo, exec_lo, s0
	s_cbranch_vccnz .LBB490_6
; %bb.4:                                ;   in Loop: Header=BB490_3 Depth=1
	v_mad_nc_u64_u32 v[10:11], s22, s2, v[2:3]
	v_mad_nc_u64_u32 v[12:13], s8, s2, v[4:5]
	v_dual_mov_b32 v18, 0 :: v_dual_mov_b32 v21, 0
	v_dual_mov_b32 v19, 0 :: v_dual_mov_b32 v20, 0
	s_mov_b64 s[12:13], 0
	s_delay_alu instid0(VALU_DEP_4) | instskip(NEXT) | instid1(VALU_DEP_4)
	v_mad_u32 v11, s23, s2, v11
	v_mad_u32 v13, s9, s2, v13
.LBB490_5:                              ;   Parent Loop BB490_3 Depth=1
                                        ; =>  This Inner Loop Header: Depth=2
	s_delay_alu instid0(VALU_DEP_1)
	v_add_nc_u64_e32 v[22:23], s[12:13], v[12:13]
	s_add_nc_u64 s[12:13], s[12:13], 8
	global_load_i8 v24, v[10:11], off
	global_load_i8 v25, v[22:23], off
	v_cmp_lt_i64_e64 s14, s[12:13], s[28:29]
	s_wait_xcnt 0x1
	v_add_nc_u64_e32 v[10:11], s[6:7], v[10:11]
	s_wait_loadcnt 0x0
	ds_store_b32 v14, v25
	ds_store_b32 v15, v24
	s_wait_dscnt 0x0
	s_barrier_signal -1
	s_barrier_wait -1
	ds_load_2addr_b32 v[38:39], v16 offset1:16
	s_wait_xcnt 0x0
	ds_load_b128 v[22:25], v17
	ds_load_b128 v[26:29], v17 offset:512
	ds_load_2addr_b32 v[40:41], v16 offset0:32 offset1:48
	ds_load_b128 v[30:33], v17 offset:16
	ds_load_b128 v[34:37], v17 offset:528
	s_and_b32 vcc_lo, exec_lo, s14
	s_wait_dscnt 0x4
	v_mad_u32 v21, v22, v38, v21
	s_wait_dscnt 0x3
	v_mad_u32 v38, v26, v38, v19
	v_mad_u32 v20, v22, v39, v20
	v_mad_u32 v22, v26, v39, v18
	ds_load_2addr_b32 v[18:19], v16 offset0:64 offset1:80
	s_wait_dscnt 0x3
	v_mad_u32 v26, v23, v40, v21
	v_mad_u32 v38, v27, v40, v38
	v_mad_u32 v23, v23, v41, v20
	v_mad_u32 v22, v27, v41, v22
	ds_load_2addr_b32 v[20:21], v16 offset0:96 offset1:112
	s_wait_dscnt 0x1
	v_mad_u32 v26, v24, v18, v26
	;; [unrolled: 6-line block ×5, first 2 shown]
	v_mad_u32 v20, v35, v20, v25
	v_mad_u32 v25, v31, v21, v23
	;; [unrolled: 1-line block ×3, first 2 shown]
	ds_load_2addr_b32 v[22:23], v16 offset0:224 offset1:240
	s_wait_dscnt 0x0
	s_barrier_signal -1
	s_barrier_wait -1
	v_mad_u32 v24, v32, v18, v24
	v_mad_u32 v18, v36, v18, v20
	;; [unrolled: 1-line block ×4, first 2 shown]
	s_delay_alu instid0(VALU_DEP_4) | instskip(NEXT) | instid1(VALU_DEP_4)
	v_mad_u32 v21, v33, v22, v24
	v_mad_u32 v19, v37, v22, v18
	s_delay_alu instid0(VALU_DEP_4) | instskip(NEXT) | instid1(VALU_DEP_4)
	v_mad_u32 v20, v33, v23, v20
	v_mad_u32 v18, v37, v23, v25
	s_cbranch_vccnz .LBB490_5
.LBB490_6:                              ;   in Loop: Header=BB490_3 Depth=1
	s_mul_u64 s[12:13], s[26:27], s[2:3]
	s_delay_alu instid0(VALU_DEP_1) | instskip(SKIP_1) | instid1(VALU_DEP_3)
	v_mul_lo_u32 v21, v21, s30
	s_lshl_b64 s[12:13], s[12:13], 2
	v_mul_lo_u32 v20, v20, s30
	s_add_nc_u64 s[12:13], s[18:19], s[12:13]
	v_mul_lo_u32 v19, v19, s30
	v_lshl_add_u64 v[12:13], v[0:1], 2, s[12:13]
	v_mul_lo_u32 v18, v18, s30
	s_and_not1_b32 vcc_lo, exec_lo, s1
	s_delay_alu instid0(VALU_DEP_2)
	v_add_nc_u64_e32 v[10:11], v[12:13], v[6:7]
	v_lshl_add_u64 v[12:13], s[10:11], 2, v[12:13]
	s_cbranch_vccnz .LBB490_8
; %bb.7:                                ;   in Loop: Header=BB490_3 Depth=1
	s_mul_u64 s[12:13], s[16:17], s[2:3]
	s_delay_alu instid0(SALU_CYCLE_1) | instskip(NEXT) | instid1(VALU_DEP_1)
	v_lshl_add_u64 v[22:23], s[12:13], 2, v[8:9]
	v_add_nc_u64_e32 v[24:25], v[22:23], v[6:7]
	v_lshl_add_u64 v[22:23], s[4:5], 2, v[22:23]
	s_delay_alu instid0(VALU_DEP_1)
	v_add_nc_u64_e32 v[22:23], v[22:23], v[6:7]
	global_load_b32 v26, v[24:25], off
	s_wait_loadcnt 0x0
	v_mad_u32 v26, v26, s33, v21
	global_store_b32 v[10:11], v26, off
	global_load_b32 v24, v[24:25], off offset:64
	s_wait_loadcnt 0x0
	s_wait_xcnt 0x0
	v_mad_u32 v24, v24, s33, v20
	global_store_b32 v[10:11], v24, off offset:64
	global_load_b32 v24, v[22:23], off
	s_wait_loadcnt 0x0
	v_mad_u32 v26, v24, s33, v19
	v_add_nc_u64_e32 v[24:25], v[12:13], v[6:7]
	global_store_b32 v[24:25], v26, off
	global_load_b32 v22, v[22:23], off offset:64
	s_wait_loadcnt 0x0
	s_wait_xcnt 0x0
	v_mad_u32 v22, v22, s33, v18
	global_store_b32 v[24:25], v22, off offset:64
	s_cbranch_execnz .LBB490_2
	s_branch .LBB490_9
.LBB490_8:                              ;   in Loop: Header=BB490_3 Depth=1
.LBB490_9:                              ;   in Loop: Header=BB490_3 Depth=1
	s_delay_alu instid0(VALU_DEP_1)
	v_add_nc_u64_e32 v[12:13], v[12:13], v[6:7]
	s_clause 0x3
	global_store_b32 v[10:11], v21, off
	global_store_b32 v[10:11], v20, off offset:64
	global_store_b32 v[12:13], v19, off
	global_store_b32 v[12:13], v18, off offset:64
	s_branch .LBB490_2
.LBB490_10:
	s_endpgm
	.section	.rodata,"a",@progbits
	.p2align	6, 0x0
	.amdhsa_kernel _ZN12_GLOBAL__N_127rocblas_gemm_batched_kernelIiLi16ELi16ELi32ELi32ELi8ELi32ELi8ELi8ELi32ELc84ELc67EKaKiiEEvlllT_PT11_llS5_llS3_PT12_llPT13_lli
		.amdhsa_group_segment_fixed_size 2048
		.amdhsa_private_segment_fixed_size 0
		.amdhsa_kernarg_size 140
		.amdhsa_user_sgpr_count 2
		.amdhsa_user_sgpr_dispatch_ptr 0
		.amdhsa_user_sgpr_queue_ptr 0
		.amdhsa_user_sgpr_kernarg_segment_ptr 1
		.amdhsa_user_sgpr_dispatch_id 0
		.amdhsa_user_sgpr_kernarg_preload_length 0
		.amdhsa_user_sgpr_kernarg_preload_offset 0
		.amdhsa_user_sgpr_private_segment_size 0
		.amdhsa_wavefront_size32 1
		.amdhsa_uses_dynamic_stack 0
		.amdhsa_enable_private_segment 0
		.amdhsa_system_sgpr_workgroup_id_x 1
		.amdhsa_system_sgpr_workgroup_id_y 1
		.amdhsa_system_sgpr_workgroup_id_z 1
		.amdhsa_system_sgpr_workgroup_info 0
		.amdhsa_system_vgpr_workitem_id 1
		.amdhsa_next_free_vgpr 42
		.amdhsa_next_free_sgpr 38
		.amdhsa_named_barrier_count 0
		.amdhsa_reserve_vcc 1
		.amdhsa_float_round_mode_32 0
		.amdhsa_float_round_mode_16_64 0
		.amdhsa_float_denorm_mode_32 3
		.amdhsa_float_denorm_mode_16_64 3
		.amdhsa_fp16_overflow 0
		.amdhsa_memory_ordered 1
		.amdhsa_forward_progress 1
		.amdhsa_inst_pref_size 12
		.amdhsa_round_robin_scheduling 0
		.amdhsa_exception_fp_ieee_invalid_op 0
		.amdhsa_exception_fp_denorm_src 0
		.amdhsa_exception_fp_ieee_div_zero 0
		.amdhsa_exception_fp_ieee_overflow 0
		.amdhsa_exception_fp_ieee_underflow 0
		.amdhsa_exception_fp_ieee_inexact 0
		.amdhsa_exception_int_div_zero 0
	.end_amdhsa_kernel
	.section	.text._ZN12_GLOBAL__N_127rocblas_gemm_batched_kernelIiLi16ELi16ELi32ELi32ELi8ELi32ELi8ELi8ELi32ELc84ELc67EKaKiiEEvlllT_PT11_llS5_llS3_PT12_llPT13_lli,"axG",@progbits,_ZN12_GLOBAL__N_127rocblas_gemm_batched_kernelIiLi16ELi16ELi32ELi32ELi8ELi32ELi8ELi8ELi32ELc84ELc67EKaKiiEEvlllT_PT11_llS5_llS3_PT12_llPT13_lli,comdat
.Lfunc_end490:
	.size	_ZN12_GLOBAL__N_127rocblas_gemm_batched_kernelIiLi16ELi16ELi32ELi32ELi8ELi32ELi8ELi8ELi32ELc84ELc67EKaKiiEEvlllT_PT11_llS5_llS3_PT12_llPT13_lli, .Lfunc_end490-_ZN12_GLOBAL__N_127rocblas_gemm_batched_kernelIiLi16ELi16ELi32ELi32ELi8ELi32ELi8ELi8ELi32ELc84ELc67EKaKiiEEvlllT_PT11_llS5_llS3_PT12_llPT13_lli
                                        ; -- End function
	.set _ZN12_GLOBAL__N_127rocblas_gemm_batched_kernelIiLi16ELi16ELi32ELi32ELi8ELi32ELi8ELi8ELi32ELc84ELc67EKaKiiEEvlllT_PT11_llS5_llS3_PT12_llPT13_lli.num_vgpr, 42
	.set _ZN12_GLOBAL__N_127rocblas_gemm_batched_kernelIiLi16ELi16ELi32ELi32ELi8ELi32ELi8ELi8ELi32ELc84ELc67EKaKiiEEvlllT_PT11_llS5_llS3_PT12_llPT13_lli.num_agpr, 0
	.set _ZN12_GLOBAL__N_127rocblas_gemm_batched_kernelIiLi16ELi16ELi32ELi32ELi8ELi32ELi8ELi8ELi32ELc84ELc67EKaKiiEEvlllT_PT11_llS5_llS3_PT12_llPT13_lli.numbered_sgpr, 38
	.set _ZN12_GLOBAL__N_127rocblas_gemm_batched_kernelIiLi16ELi16ELi32ELi32ELi8ELi32ELi8ELi8ELi32ELc84ELc67EKaKiiEEvlllT_PT11_llS5_llS3_PT12_llPT13_lli.num_named_barrier, 0
	.set _ZN12_GLOBAL__N_127rocblas_gemm_batched_kernelIiLi16ELi16ELi32ELi32ELi8ELi32ELi8ELi8ELi32ELc84ELc67EKaKiiEEvlllT_PT11_llS5_llS3_PT12_llPT13_lli.private_seg_size, 0
	.set _ZN12_GLOBAL__N_127rocblas_gemm_batched_kernelIiLi16ELi16ELi32ELi32ELi8ELi32ELi8ELi8ELi32ELc84ELc67EKaKiiEEvlllT_PT11_llS5_llS3_PT12_llPT13_lli.uses_vcc, 1
	.set _ZN12_GLOBAL__N_127rocblas_gemm_batched_kernelIiLi16ELi16ELi32ELi32ELi8ELi32ELi8ELi8ELi32ELc84ELc67EKaKiiEEvlllT_PT11_llS5_llS3_PT12_llPT13_lli.uses_flat_scratch, 0
	.set _ZN12_GLOBAL__N_127rocblas_gemm_batched_kernelIiLi16ELi16ELi32ELi32ELi8ELi32ELi8ELi8ELi32ELc84ELc67EKaKiiEEvlllT_PT11_llS5_llS3_PT12_llPT13_lli.has_dyn_sized_stack, 0
	.set _ZN12_GLOBAL__N_127rocblas_gemm_batched_kernelIiLi16ELi16ELi32ELi32ELi8ELi32ELi8ELi8ELi32ELc84ELc67EKaKiiEEvlllT_PT11_llS5_llS3_PT12_llPT13_lli.has_recursion, 0
	.set _ZN12_GLOBAL__N_127rocblas_gemm_batched_kernelIiLi16ELi16ELi32ELi32ELi8ELi32ELi8ELi8ELi32ELc84ELc67EKaKiiEEvlllT_PT11_llS5_llS3_PT12_llPT13_lli.has_indirect_call, 0
	.section	.AMDGPU.csdata,"",@progbits
; Kernel info:
; codeLenInByte = 1424
; TotalNumSgprs: 40
; NumVgprs: 42
; ScratchSize: 0
; MemoryBound: 0
; FloatMode: 240
; IeeeMode: 1
; LDSByteSize: 2048 bytes/workgroup (compile time only)
; SGPRBlocks: 0
; VGPRBlocks: 2
; NumSGPRsForWavesPerEU: 40
; NumVGPRsForWavesPerEU: 42
; NamedBarCnt: 0
; Occupancy: 16
; WaveLimiterHint : 0
; COMPUTE_PGM_RSRC2:SCRATCH_EN: 0
; COMPUTE_PGM_RSRC2:USER_SGPR: 2
; COMPUTE_PGM_RSRC2:TRAP_HANDLER: 0
; COMPUTE_PGM_RSRC2:TGID_X_EN: 1
; COMPUTE_PGM_RSRC2:TGID_Y_EN: 1
; COMPUTE_PGM_RSRC2:TGID_Z_EN: 1
; COMPUTE_PGM_RSRC2:TIDIG_COMP_CNT: 1
	.section	.text._ZN12_GLOBAL__N_135rocblas_gemm_batched_general_kernelIiLi16ELi16ELi32ELi32ELi8ELi32ELi8ELi8ELi32ELc78ELc78EKaKiiEEvlllT_PT11_llS5_llS3_PT12_llPT13_lli,"axG",@progbits,_ZN12_GLOBAL__N_135rocblas_gemm_batched_general_kernelIiLi16ELi16ELi32ELi32ELi8ELi32ELi8ELi8ELi32ELc78ELc78EKaKiiEEvlllT_PT11_llS5_llS3_PT12_llPT13_lli,comdat
	.globl	_ZN12_GLOBAL__N_135rocblas_gemm_batched_general_kernelIiLi16ELi16ELi32ELi32ELi8ELi32ELi8ELi8ELi32ELc78ELc78EKaKiiEEvlllT_PT11_llS5_llS3_PT12_llPT13_lli ; -- Begin function _ZN12_GLOBAL__N_135rocblas_gemm_batched_general_kernelIiLi16ELi16ELi32ELi32ELi8ELi32ELi8ELi8ELi32ELc78ELc78EKaKiiEEvlllT_PT11_llS5_llS3_PT12_llPT13_lli
	.p2align	8
	.type	_ZN12_GLOBAL__N_135rocblas_gemm_batched_general_kernelIiLi16ELi16ELi32ELi32ELi8ELi32ELi8ELi8ELi32ELc78ELc78EKaKiiEEvlllT_PT11_llS5_llS3_PT12_llPT13_lli,@function
_ZN12_GLOBAL__N_135rocblas_gemm_batched_general_kernelIiLi16ELi16ELi32ELi32ELi8ELi32ELi8ELi8ELi32ELc78ELc78EKaKiiEEvlllT_PT11_llS5_llS3_PT12_llPT13_lli: ; @_ZN12_GLOBAL__N_135rocblas_gemm_batched_general_kernelIiLi16ELi16ELi32ELi32ELi8ELi32ELi8ELi8ELi32ELc78ELc78EKaKiiEEvlllT_PT11_llS5_llS3_PT12_llPT13_lli
; %bb.0:
	s_load_b32 s33, s[0:1], 0x88
	s_bfe_u32 s2, ttmp6, 0x40014
	s_lshr_b32 s3, ttmp7, 16
	s_add_co_i32 s2, s2, 1
	s_bfe_u32 s5, ttmp6, 0x40008
	s_mul_i32 s4, s3, s2
	s_getreg_b32 s2, hwreg(HW_REG_IB_STS2, 6, 4)
	s_add_co_i32 s5, s5, s4
	s_cmp_eq_u32 s2, 0
	s_mov_b32 s35, 0
	s_cselect_b32 s34, s3, s5
	s_wait_kmcnt 0x0
	s_cmp_ge_i32 s34, s33
	s_cbranch_scc1 .LBB491_34
; %bb.1:
	v_bfe_u32 v8, v0, 10, 10
	v_and_b32_e32 v10, 0x3ff, v0
	s_bfe_u32 s28, ttmp6, 0x4000c
	s_bfe_u32 s29, ttmp6, 0x40010
	s_clause 0x2
	s_load_b256 s[8:15], s[0:1], 0x20
	s_load_b128 s[4:7], s[0:1], 0x40
	s_load_b128 s[24:27], s[0:1], 0x78
	s_add_co_i32 s28, s28, 1
	s_and_b32 s30, ttmp7, 0xffff
	s_add_co_i32 s29, s29, 1
	v_lshl_add_u32 v2, v8, 4, v10
	s_load_b256 s[16:23], s[0:1], 0x58
	v_mov_b32_e32 v9, 0
	s_and_b32 s3, ttmp6, 15
	s_mul_i32 s28, ttmp9, s28
	s_mul_i32 s29, s30, s29
	s_bfe_u32 s31, ttmp6, 0x40004
	s_add_co_i32 s3, s3, s28
	s_add_co_i32 s31, s31, s29
	s_cmp_eq_u32 s2, 0
	v_dual_mov_b32 v7, v9 :: v_dual_lshrrev_b32 v6, 3, v2
	v_and_b32_e32 v0, 7, v0
	s_cselect_b32 s28, s30, s31
	s_cselect_b32 s2, ttmp9, s3
	s_lshl_b32 s40, s28, 5
	s_mov_b32 s41, s35
	v_dual_mov_b32 v1, v9 :: v_dual_bitop2_b32 v16, 31, v2 bitop3:0x40
	v_add_nc_u64_e32 v[14:15], s[40:41], v[6:7]
	v_add_nc_u64_e32 v[12:13], s[40:41], v[8:9]
	v_dual_mov_b32 v11, v9 :: v_dual_lshrrev_b32 v2, 5, v2
	s_clause 0x1
	s_load_b128 s[28:31], s[0:1], 0x0
	s_load_b96 s[36:38], s[0:1], 0x10
	s_ashr_i32 s3, s2, 31
	v_mov_b32_e32 v3, v9
	s_wait_kmcnt 0x0
	v_mad_nc_u64_u32 v[20:21], s4, v14, v[0:1]
	s_lshl_b64 s[2:3], s[2:3], 5
	v_mul_u64_e32 v[18:19], s[18:19], v[12:13]
	v_mad_nc_u64_u32 v[22:23], s10, v2, s[2:3]
	v_mul_u64_e32 v[4:5], s[24:25], v[12:13]
	v_dual_mov_b32 v17, v9 :: v_dual_bitop2_b32 v24, s2, v16 bitop3:0x54
	v_dual_mov_b32 v25, s3 :: v_dual_lshlrev_b32 v7, 2, v0
	s_load_b32 s39, s[0:1], 0x50
	v_lshlrev_b32_e32 v26, 2, v10
	v_mad_u32 v9, s5, v14, v21
	v_lshlrev_b32_e32 v21, 2, v16
	v_lshl_add_u32 v27, v8, 5, 0x400
	v_mad_u32 v23, s11, v2, v23
	s_wait_xcnt 0x0
	v_cmp_gt_i64_e64 s0, s[28:29], v[24:25]
	v_lshl_or_b32 v25, v6, 5, v7
	v_add_nc_u64_e32 v[6:7], s[2:3], v[10:11]
	v_lshl_or_b32 v24, v2, 7, v21
	v_cmp_gt_i64_e64 s1, s[30:31], v[14:15]
	v_cmp_gt_i64_e64 s2, s[30:31], v[12:13]
	v_mad_u32 v21, s4, v15, v9
	v_add_nc_u64_e32 v[14:15], 16, v[12:13]
	v_add_nc_u32_e32 v25, 0x400, v25
	v_add_nc_u64_e32 v[10:11], 16, v[6:7]
	v_add_nc_u64_e32 v[16:17], v[22:23], v[16:17]
	v_cmp_gt_i64_e64 s3, s[28:29], v[6:7]
	s_wait_kmcnt 0x0
	s_cmp_lg_u32 s39, 0
	v_cmp_gt_i64_e64 s5, s[30:31], v[14:15]
	s_cselect_b32 s40, -1, 0
	v_cmp_gt_i64_e64 s4, s[28:29], v[10:11]
	v_add_nc_u64_e32 v[10:11], s[14:15], v[20:21]
	v_add_nc_u64_e32 v[12:13], s[8:9], v[16:17]
	v_cmp_gt_i64_e64 s28, s[36:37], 0
	v_lshl_add_u64 v[8:9], v[18:19], 2, s[16:17]
	s_lshl_b64 s[8:9], s[18:19], 4
	s_lshl_b64 s[14:15], s[24:25], 4
	;; [unrolled: 1-line block ×3, first 2 shown]
	s_branch .LBB491_4
.LBB491_2:                              ;   in Loop: Header=BB491_4 Depth=1
	s_wait_xcnt 0x0
	s_or_b32 exec_lo, exec_lo, s18
.LBB491_3:                              ;   in Loop: Header=BB491_4 Depth=1
	s_add_co_i32 s34, s34, 0x10000
	s_delay_alu instid0(SALU_CYCLE_1)
	s_cmp_lt_i32 s34, s33
	s_cbranch_scc0 .LBB491_34
.LBB491_4:                              ; =>This Loop Header: Depth=1
                                        ;     Child Loop BB491_7 Depth 2
	v_dual_mov_b32 v30, 0 :: v_dual_mov_b32 v31, 0
	v_dual_mov_b32 v28, 0 :: v_dual_mov_b32 v29, 0
	s_and_not1_b32 vcc_lo, exec_lo, s28
	s_cbranch_vccnz .LBB491_11
; %bb.5:                                ;   in Loop: Header=BB491_4 Depth=1
	v_mad_nc_u64_u32 v[14:15], s6, s34, v[10:11]
	v_mad_nc_u64_u32 v[16:17], s12, s34, v[12:13]
	v_dual_mov_b32 v31, 0 :: v_dual_mov_b32 v30, 0
	v_dual_mov_b32 v29, 0 :: v_dual_mov_b32 v28, 0
	s_mov_b64 s[16:17], 0
	s_delay_alu instid0(VALU_DEP_4) | instskip(NEXT) | instid1(VALU_DEP_4)
	v_mad_u32 v15, s7, s34, v15
	v_mad_u32 v17, s13, s34, v17
	s_branch .LBB491_7
.LBB491_6:                              ;   in Loop: Header=BB491_7 Depth=2
	s_wait_xcnt 0x0
	s_or_b32 exec_lo, exec_lo, s18
	s_wait_loadcnt 0x0
	ds_store_b32 v25, v19
	s_wait_dscnt 0x0
	s_barrier_signal -1
	s_barrier_wait -1
	ds_load_b128 v[18:21], v27
	ds_load_2addr_b32 v[22:23], v26 offset1:16
	ds_load_b128 v[32:35], v27 offset:512
	ds_load_2addr_b32 v[44:45], v26 offset0:32 offset1:48
	ds_load_b128 v[36:39], v27 offset:16
	ds_load_2addr_b32 v[46:47], v26 offset0:64 offset1:80
	ds_load_b128 v[40:43], v27 offset:528
	s_add_nc_u64 s[16:17], s[16:17], 8
	v_add_nc_u64_e32 v[16:17], s[10:11], v[16:17]
	v_cmp_lt_i64_e64 s18, s[16:17], s[36:37]
	s_and_b32 vcc_lo, exec_lo, s18
	s_wait_dscnt 0x5
	v_mad_u32 v31, v18, v22, v31
	v_mad_u32 v18, v18, v23, v30
	s_wait_dscnt 0x4
	v_mad_u32 v29, v32, v22, v29
	v_mad_u32 v28, v32, v23, v28
	ds_load_2addr_b32 v[22:23], v26 offset0:96 offset1:112
	s_wait_dscnt 0x4
	v_mad_u32 v30, v19, v44, v31
	v_mad_u32 v31, v19, v45, v18
	v_mad_u32 v29, v33, v44, v29
	v_mad_u32 v28, v33, v45, v28
	ds_load_2addr_b32 v[18:19], v26 offset0:128 offset1:144
	s_wait_dscnt 0x3
	v_mad_u32 v30, v20, v46, v30
	v_mad_u32 v20, v20, v47, v31
	;; [unrolled: 6-line block ×4, first 2 shown]
	v_mad_u32 v22, v40, v18, v22
	v_mad_u32 v23, v40, v19, v23
	ds_load_2addr_b32 v[18:19], v26 offset0:224 offset1:240
	s_wait_dscnt 0x0
	s_barrier_signal -1
	s_barrier_wait -1
	v_mad_u32 v30, v37, v28, v30
	v_mad_u32 v31, v37, v29, v31
	;; [unrolled: 1-line block ×4, first 2 shown]
	s_delay_alu instid0(VALU_DEP_4) | instskip(NEXT) | instid1(VALU_DEP_4)
	v_mad_u32 v28, v38, v20, v30
	v_mad_u32 v29, v38, v21, v31
	s_delay_alu instid0(VALU_DEP_4) | instskip(NEXT) | instid1(VALU_DEP_4)
	v_mad_u32 v20, v42, v20, v22
	v_mad_u32 v21, v42, v21, v23
	;; [unrolled: 3-line block ×4, first 2 shown]
	s_cbranch_vccz .LBB491_11
.LBB491_7:                              ;   Parent Loop BB491_4 Depth=1
                                        ; =>  This Inner Loop Header: Depth=2
	v_add_nc_u64_e32 v[18:19], s[16:17], v[2:3]
	s_delay_alu instid0(VALU_DEP_1) | instskip(SKIP_2) | instid1(SALU_CYCLE_1)
	v_cmp_gt_i64_e32 vcc_lo, s[36:37], v[18:19]
	v_mov_b32_e32 v18, 0
	s_and_b32 s19, s0, vcc_lo
	s_and_saveexec_b32 s18, s19
	s_cbranch_execz .LBB491_9
; %bb.8:                                ;   in Loop: Header=BB491_7 Depth=2
	global_load_i8 v18, v[16:17], off
.LBB491_9:                              ;   in Loop: Header=BB491_7 Depth=2
	s_wait_xcnt 0x0
	s_or_b32 exec_lo, exec_lo, s18
	v_add_nc_u64_e32 v[20:21], s[16:17], v[0:1]
	v_mov_b32_e32 v19, 0
	s_wait_loadcnt 0x0
	ds_store_b32 v24, v18
	v_cmp_gt_i64_e32 vcc_lo, s[36:37], v[20:21]
	s_and_b32 s19, vcc_lo, s1
	s_delay_alu instid0(SALU_CYCLE_1)
	s_and_saveexec_b32 s18, s19
	s_cbranch_execz .LBB491_6
; %bb.10:                               ;   in Loop: Header=BB491_7 Depth=2
	v_add_nc_u64_e32 v[18:19], s[16:17], v[14:15]
	global_load_i8 v19, v[18:19], off
	s_branch .LBB491_6
.LBB491_11:                             ;   in Loop: Header=BB491_4 Depth=1
	s_mul_u64 s[16:17], s[26:27], s[34:35]
	s_and_not1_b32 vcc_lo, exec_lo, s40
	s_lshl_b64 s[16:17], s[16:17], 2
	s_delay_alu instid0(SALU_CYCLE_1)
	s_add_nc_u64 s[16:17], s[22:23], s[16:17]
	s_cbranch_vccnz .LBB491_16
; %bb.12:                               ;   in Loop: Header=BB491_4 Depth=1
	s_and_saveexec_b32 s18, s2
	s_cbranch_execz .LBB491_23
; %bb.13:                               ;   in Loop: Header=BB491_4 Depth=1
	s_mul_u64 s[24:25], s[20:21], s[34:35]
	v_lshlrev_b64_e32 v[14:15], 2, v[6:7]
	v_lshl_add_u64 v[16:17], s[24:25], 2, v[8:9]
	v_lshl_add_u64 v[18:19], v[4:5], 2, s[16:17]
	s_delay_alu instid0(VALU_DEP_2) | instskip(NEXT) | instid1(VALU_DEP_2)
	v_add_nc_u64_e32 v[22:23], v[16:17], v[14:15]
	v_add_nc_u64_e32 v[20:21], v[18:19], v[14:15]
	s_and_saveexec_b32 s19, s3
	s_cbranch_execnz .LBB491_17
; %bb.14:                               ;   in Loop: Header=BB491_4 Depth=1
	s_or_b32 exec_lo, exec_lo, s19
	s_and_saveexec_b32 s19, s4
	s_cbranch_execnz .LBB491_18
.LBB491_15:                             ;   in Loop: Header=BB491_4 Depth=1
	s_or_b32 exec_lo, exec_lo, s19
	s_delay_alu instid0(SALU_CYCLE_1)
	s_and_b32 exec_lo, exec_lo, s5
	s_cbranch_execnz .LBB491_19
	s_branch .LBB491_23
.LBB491_16:                             ;   in Loop: Header=BB491_4 Depth=1
	s_branch .LBB491_24
.LBB491_17:                             ;   in Loop: Header=BB491_4 Depth=1
	global_load_b32 v32, v[22:23], off
	v_mul_lo_u32 v33, v31, s38
	s_wait_loadcnt 0x0
	s_delay_alu instid0(VALU_DEP_1)
	v_mad_u32 v32, v32, s39, v33
	global_store_b32 v[20:21], v32, off
	s_wait_xcnt 0x0
	s_or_b32 exec_lo, exec_lo, s19
	s_and_saveexec_b32 s19, s4
	s_cbranch_execz .LBB491_15
.LBB491_18:                             ;   in Loop: Header=BB491_4 Depth=1
	global_load_b32 v22, v[22:23], off offset:64
	s_wait_xcnt 0x0
	v_mul_lo_u32 v23, v30, s38
	s_wait_loadcnt 0x0
	s_delay_alu instid0(VALU_DEP_1) | instskip(SKIP_3) | instid1(SALU_CYCLE_1)
	v_mad_u32 v22, v22, s39, v23
	global_store_b32 v[20:21], v22, off offset:64
	s_wait_xcnt 0x0
	s_or_b32 exec_lo, exec_lo, s19
	s_and_b32 exec_lo, exec_lo, s5
	s_cbranch_execz .LBB491_23
.LBB491_19:                             ;   in Loop: Header=BB491_4 Depth=1
	v_lshl_add_u64 v[16:17], s[8:9], 2, v[16:17]
	v_lshl_add_u64 v[18:19], s[14:15], 2, v[18:19]
	s_delay_alu instid0(VALU_DEP_2) | instskip(NEXT) | instid1(VALU_DEP_2)
	v_add_nc_u64_e32 v[16:17], v[16:17], v[14:15]
	v_add_nc_u64_e32 v[14:15], v[18:19], v[14:15]
	s_and_saveexec_b32 s19, s3
	s_cbranch_execz .LBB491_21
; %bb.20:                               ;   in Loop: Header=BB491_4 Depth=1
	global_load_b32 v18, v[16:17], off
	v_mul_lo_u32 v19, v29, s38
	s_wait_loadcnt 0x0
	s_delay_alu instid0(VALU_DEP_1)
	v_mad_u32 v18, v18, s39, v19
	global_store_b32 v[14:15], v18, off
.LBB491_21:                             ;   in Loop: Header=BB491_4 Depth=1
	s_wait_xcnt 0x0
	s_or_b32 exec_lo, exec_lo, s19
	s_delay_alu instid0(SALU_CYCLE_1)
	s_and_b32 exec_lo, exec_lo, s4
	s_cbranch_execz .LBB491_23
; %bb.22:                               ;   in Loop: Header=BB491_4 Depth=1
	global_load_b32 v16, v[16:17], off offset:64
	s_wait_xcnt 0x0
	v_mul_lo_u32 v17, v28, s38
	s_wait_loadcnt 0x0
	s_delay_alu instid0(VALU_DEP_1)
	v_mad_u32 v16, v16, s39, v17
	global_store_b32 v[14:15], v16, off offset:64
.LBB491_23:                             ;   in Loop: Header=BB491_4 Depth=1
	s_wait_xcnt 0x0
	s_or_b32 exec_lo, exec_lo, s18
	s_cbranch_execnz .LBB491_3
.LBB491_24:                             ;   in Loop: Header=BB491_4 Depth=1
	s_and_saveexec_b32 s18, s2
	s_cbranch_execz .LBB491_2
; %bb.25:                               ;   in Loop: Header=BB491_4 Depth=1
	v_lshl_add_u64 v[14:15], v[4:5], 2, s[16:17]
	s_delay_alu instid0(VALU_DEP_1)
	v_lshl_add_u64 v[16:17], v[6:7], 2, v[14:15]
	s_and_saveexec_b32 s16, s3
	s_cbranch_execnz .LBB491_28
; %bb.26:                               ;   in Loop: Header=BB491_4 Depth=1
	s_or_b32 exec_lo, exec_lo, s16
	s_and_saveexec_b32 s16, s4
	s_cbranch_execnz .LBB491_29
.LBB491_27:                             ;   in Loop: Header=BB491_4 Depth=1
	s_or_b32 exec_lo, exec_lo, s16
	s_delay_alu instid0(SALU_CYCLE_1)
	s_and_b32 exec_lo, exec_lo, s5
	s_cbranch_execz .LBB491_2
	s_branch .LBB491_30
.LBB491_28:                             ;   in Loop: Header=BB491_4 Depth=1
	v_mul_lo_u32 v18, v31, s38
	global_store_b32 v[16:17], v18, off
	s_wait_xcnt 0x0
	s_or_b32 exec_lo, exec_lo, s16
	s_and_saveexec_b32 s16, s4
	s_cbranch_execz .LBB491_27
.LBB491_29:                             ;   in Loop: Header=BB491_4 Depth=1
	v_mul_lo_u32 v18, v30, s38
	global_store_b32 v[16:17], v18, off offset:64
	s_wait_xcnt 0x0
	s_or_b32 exec_lo, exec_lo, s16
	s_delay_alu instid0(SALU_CYCLE_1)
	s_and_b32 exec_lo, exec_lo, s5
	s_cbranch_execz .LBB491_2
.LBB491_30:                             ;   in Loop: Header=BB491_4 Depth=1
	v_lshl_add_u64 v[14:15], s[14:15], 2, v[14:15]
	s_delay_alu instid0(VALU_DEP_1)
	v_lshl_add_u64 v[14:15], v[6:7], 2, v[14:15]
	s_and_saveexec_b32 s16, s3
	s_cbranch_execz .LBB491_32
; %bb.31:                               ;   in Loop: Header=BB491_4 Depth=1
	v_mul_lo_u32 v16, v29, s38
	global_store_b32 v[14:15], v16, off
.LBB491_32:                             ;   in Loop: Header=BB491_4 Depth=1
	s_wait_xcnt 0x0
	s_or_b32 exec_lo, exec_lo, s16
	s_delay_alu instid0(SALU_CYCLE_1)
	s_and_b32 exec_lo, exec_lo, s4
	s_cbranch_execz .LBB491_2
; %bb.33:                               ;   in Loop: Header=BB491_4 Depth=1
	v_mul_lo_u32 v16, v28, s38
	global_store_b32 v[14:15], v16, off offset:64
	s_branch .LBB491_2
.LBB491_34:
	s_endpgm
	.section	.rodata,"a",@progbits
	.p2align	6, 0x0
	.amdhsa_kernel _ZN12_GLOBAL__N_135rocblas_gemm_batched_general_kernelIiLi16ELi16ELi32ELi32ELi8ELi32ELi8ELi8ELi32ELc78ELc78EKaKiiEEvlllT_PT11_llS5_llS3_PT12_llPT13_lli
		.amdhsa_group_segment_fixed_size 2048
		.amdhsa_private_segment_fixed_size 0
		.amdhsa_kernarg_size 140
		.amdhsa_user_sgpr_count 2
		.amdhsa_user_sgpr_dispatch_ptr 0
		.amdhsa_user_sgpr_queue_ptr 0
		.amdhsa_user_sgpr_kernarg_segment_ptr 1
		.amdhsa_user_sgpr_dispatch_id 0
		.amdhsa_user_sgpr_kernarg_preload_length 0
		.amdhsa_user_sgpr_kernarg_preload_offset 0
		.amdhsa_user_sgpr_private_segment_size 0
		.amdhsa_wavefront_size32 1
		.amdhsa_uses_dynamic_stack 0
		.amdhsa_enable_private_segment 0
		.amdhsa_system_sgpr_workgroup_id_x 1
		.amdhsa_system_sgpr_workgroup_id_y 1
		.amdhsa_system_sgpr_workgroup_id_z 1
		.amdhsa_system_sgpr_workgroup_info 0
		.amdhsa_system_vgpr_workitem_id 1
		.amdhsa_next_free_vgpr 48
		.amdhsa_next_free_sgpr 42
		.amdhsa_named_barrier_count 0
		.amdhsa_reserve_vcc 1
		.amdhsa_float_round_mode_32 0
		.amdhsa_float_round_mode_16_64 0
		.amdhsa_float_denorm_mode_32 3
		.amdhsa_float_denorm_mode_16_64 3
		.amdhsa_fp16_overflow 0
		.amdhsa_memory_ordered 1
		.amdhsa_forward_progress 1
		.amdhsa_inst_pref_size 15
		.amdhsa_round_robin_scheduling 0
		.amdhsa_exception_fp_ieee_invalid_op 0
		.amdhsa_exception_fp_denorm_src 0
		.amdhsa_exception_fp_ieee_div_zero 0
		.amdhsa_exception_fp_ieee_overflow 0
		.amdhsa_exception_fp_ieee_underflow 0
		.amdhsa_exception_fp_ieee_inexact 0
		.amdhsa_exception_int_div_zero 0
	.end_amdhsa_kernel
	.section	.text._ZN12_GLOBAL__N_135rocblas_gemm_batched_general_kernelIiLi16ELi16ELi32ELi32ELi8ELi32ELi8ELi8ELi32ELc78ELc78EKaKiiEEvlllT_PT11_llS5_llS3_PT12_llPT13_lli,"axG",@progbits,_ZN12_GLOBAL__N_135rocblas_gemm_batched_general_kernelIiLi16ELi16ELi32ELi32ELi8ELi32ELi8ELi8ELi32ELc78ELc78EKaKiiEEvlllT_PT11_llS5_llS3_PT12_llPT13_lli,comdat
.Lfunc_end491:
	.size	_ZN12_GLOBAL__N_135rocblas_gemm_batched_general_kernelIiLi16ELi16ELi32ELi32ELi8ELi32ELi8ELi8ELi32ELc78ELc78EKaKiiEEvlllT_PT11_llS5_llS3_PT12_llPT13_lli, .Lfunc_end491-_ZN12_GLOBAL__N_135rocblas_gemm_batched_general_kernelIiLi16ELi16ELi32ELi32ELi8ELi32ELi8ELi8ELi32ELc78ELc78EKaKiiEEvlllT_PT11_llS5_llS3_PT12_llPT13_lli
                                        ; -- End function
	.set _ZN12_GLOBAL__N_135rocblas_gemm_batched_general_kernelIiLi16ELi16ELi32ELi32ELi8ELi32ELi8ELi8ELi32ELc78ELc78EKaKiiEEvlllT_PT11_llS5_llS3_PT12_llPT13_lli.num_vgpr, 48
	.set _ZN12_GLOBAL__N_135rocblas_gemm_batched_general_kernelIiLi16ELi16ELi32ELi32ELi8ELi32ELi8ELi8ELi32ELc78ELc78EKaKiiEEvlllT_PT11_llS5_llS3_PT12_llPT13_lli.num_agpr, 0
	.set _ZN12_GLOBAL__N_135rocblas_gemm_batched_general_kernelIiLi16ELi16ELi32ELi32ELi8ELi32ELi8ELi8ELi32ELc78ELc78EKaKiiEEvlllT_PT11_llS5_llS3_PT12_llPT13_lli.numbered_sgpr, 42
	.set _ZN12_GLOBAL__N_135rocblas_gemm_batched_general_kernelIiLi16ELi16ELi32ELi32ELi8ELi32ELi8ELi8ELi32ELc78ELc78EKaKiiEEvlllT_PT11_llS5_llS3_PT12_llPT13_lli.num_named_barrier, 0
	.set _ZN12_GLOBAL__N_135rocblas_gemm_batched_general_kernelIiLi16ELi16ELi32ELi32ELi8ELi32ELi8ELi8ELi32ELc78ELc78EKaKiiEEvlllT_PT11_llS5_llS3_PT12_llPT13_lli.private_seg_size, 0
	.set _ZN12_GLOBAL__N_135rocblas_gemm_batched_general_kernelIiLi16ELi16ELi32ELi32ELi8ELi32ELi8ELi8ELi32ELc78ELc78EKaKiiEEvlllT_PT11_llS5_llS3_PT12_llPT13_lli.uses_vcc, 1
	.set _ZN12_GLOBAL__N_135rocblas_gemm_batched_general_kernelIiLi16ELi16ELi32ELi32ELi8ELi32ELi8ELi8ELi32ELc78ELc78EKaKiiEEvlllT_PT11_llS5_llS3_PT12_llPT13_lli.uses_flat_scratch, 0
	.set _ZN12_GLOBAL__N_135rocblas_gemm_batched_general_kernelIiLi16ELi16ELi32ELi32ELi8ELi32ELi8ELi8ELi32ELc78ELc78EKaKiiEEvlllT_PT11_llS5_llS3_PT12_llPT13_lli.has_dyn_sized_stack, 0
	.set _ZN12_GLOBAL__N_135rocblas_gemm_batched_general_kernelIiLi16ELi16ELi32ELi32ELi8ELi32ELi8ELi8ELi32ELc78ELc78EKaKiiEEvlllT_PT11_llS5_llS3_PT12_llPT13_lli.has_recursion, 0
	.set _ZN12_GLOBAL__N_135rocblas_gemm_batched_general_kernelIiLi16ELi16ELi32ELi32ELi8ELi32ELi8ELi8ELi32ELc78ELc78EKaKiiEEvlllT_PT11_llS5_llS3_PT12_llPT13_lli.has_indirect_call, 0
	.section	.AMDGPU.csdata,"",@progbits
; Kernel info:
; codeLenInByte = 1864
; TotalNumSgprs: 44
; NumVgprs: 48
; ScratchSize: 0
; MemoryBound: 0
; FloatMode: 240
; IeeeMode: 1
; LDSByteSize: 2048 bytes/workgroup (compile time only)
; SGPRBlocks: 0
; VGPRBlocks: 2
; NumSGPRsForWavesPerEU: 44
; NumVGPRsForWavesPerEU: 48
; NamedBarCnt: 0
; Occupancy: 16
; WaveLimiterHint : 0
; COMPUTE_PGM_RSRC2:SCRATCH_EN: 0
; COMPUTE_PGM_RSRC2:USER_SGPR: 2
; COMPUTE_PGM_RSRC2:TRAP_HANDLER: 0
; COMPUTE_PGM_RSRC2:TGID_X_EN: 1
; COMPUTE_PGM_RSRC2:TGID_Y_EN: 1
; COMPUTE_PGM_RSRC2:TGID_Z_EN: 1
; COMPUTE_PGM_RSRC2:TIDIG_COMP_CNT: 1
	.section	.text._ZN12_GLOBAL__N_135rocblas_gemm_batched_general_kernelIiLi16ELi16ELi32ELi32ELi8ELi32ELi8ELi8ELi32ELc84ELc78EKaKiiEEvlllT_PT11_llS5_llS3_PT12_llPT13_lli,"axG",@progbits,_ZN12_GLOBAL__N_135rocblas_gemm_batched_general_kernelIiLi16ELi16ELi32ELi32ELi8ELi32ELi8ELi8ELi32ELc84ELc78EKaKiiEEvlllT_PT11_llS5_llS3_PT12_llPT13_lli,comdat
	.globl	_ZN12_GLOBAL__N_135rocblas_gemm_batched_general_kernelIiLi16ELi16ELi32ELi32ELi8ELi32ELi8ELi8ELi32ELc84ELc78EKaKiiEEvlllT_PT11_llS5_llS3_PT12_llPT13_lli ; -- Begin function _ZN12_GLOBAL__N_135rocblas_gemm_batched_general_kernelIiLi16ELi16ELi32ELi32ELi8ELi32ELi8ELi8ELi32ELc84ELc78EKaKiiEEvlllT_PT11_llS5_llS3_PT12_llPT13_lli
	.p2align	8
	.type	_ZN12_GLOBAL__N_135rocblas_gemm_batched_general_kernelIiLi16ELi16ELi32ELi32ELi8ELi32ELi8ELi8ELi32ELc84ELc78EKaKiiEEvlllT_PT11_llS5_llS3_PT12_llPT13_lli,@function
_ZN12_GLOBAL__N_135rocblas_gemm_batched_general_kernelIiLi16ELi16ELi32ELi32ELi8ELi32ELi8ELi8ELi32ELc84ELc78EKaKiiEEvlllT_PT11_llS5_llS3_PT12_llPT13_lli: ; @_ZN12_GLOBAL__N_135rocblas_gemm_batched_general_kernelIiLi16ELi16ELi32ELi32ELi8ELi32ELi8ELi8ELi32ELc84ELc78EKaKiiEEvlllT_PT11_llS5_llS3_PT12_llPT13_lli
; %bb.0:
	s_load_b32 s31, s[0:1], 0x88
	s_bfe_u32 s2, ttmp6, 0x40014
	s_lshr_b32 s3, ttmp7, 16
	s_add_co_i32 s2, s2, 1
	s_bfe_u32 s5, ttmp6, 0x40008
	s_mul_i32 s4, s3, s2
	s_getreg_b32 s2, hwreg(HW_REG_IB_STS2, 6, 4)
	s_add_co_i32 s5, s5, s4
	s_cmp_eq_u32 s2, 0
	s_mov_b32 s35, 0
	s_cselect_b32 s34, s3, s5
	s_wait_kmcnt 0x0
	s_cmp_ge_i32 s34, s31
	s_cbranch_scc1 .LBB492_34
; %bb.1:
	v_bfe_u32 v8, v0, 10, 10
	v_and_b32_e32 v10, 0x3ff, v0
	s_load_b256 s[8:15], s[0:1], 0x20
	s_bfe_u32 s3, ttmp6, 0x4000c
	s_bfe_u32 s29, ttmp6, 0x40010
	s_clause 0x2
	s_load_b128 s[4:7], s[0:1], 0x40
	s_load_b128 s[24:27], s[0:1], 0x78
	s_load_b256 s[16:23], s[0:1], 0x58
	s_add_co_i32 s3, s3, 1
	s_and_b32 s30, ttmp7, 0xffff
	s_add_co_i32 s29, s29, 1
	v_lshl_add_u32 v1, v8, 4, v10
	v_mov_b32_e32 v9, 0
	s_and_b32 s28, ttmp6, 15
	s_mul_i32 s3, ttmp9, s3
	s_mul_i32 s29, s30, s29
	s_bfe_u32 s33, ttmp6, 0x40004
	s_add_co_i32 s28, s28, s3
	s_add_co_i32 s33, s33, s29
	s_cmp_eq_u32 s2, 0
	v_and_b32_e32 v6, 31, v1
	v_dual_lshrrev_b32 v12, 3, v1 :: v_dual_bitop2_b32 v0, 7, v0 bitop3:0x40
	v_mov_b32_e32 v13, v9
	s_cselect_b32 s3, s30, s33
	s_cselect_b32 s2, ttmp9, s28
	s_lshl_b32 s28, s3, 5
	s_mov_b32 s29, s35
	s_ashr_i32 s3, s2, 31
	v_dual_mov_b32 v3, v9 :: v_dual_lshrrev_b32 v2, 5, v1
	s_lshl_b64 s[2:3], s[2:3], 5
	v_mov_b32_e32 v1, v9
	v_add_nc_u64_e32 v[16:17], s[28:29], v[12:13]
	v_add_nc_u64_e32 v[14:15], s[28:29], v[8:9]
	v_dual_mov_b32 v11, v9 :: v_dual_bitop2_b32 v18, s2, v6 bitop3:0x54
	s_clause 0x2
	s_load_b128 s[36:39], s[0:1], 0x0
	s_load_b32 s33, s[0:1], 0x50
	s_load_b96 s[28:30], s[0:1], 0x10
	v_lshlrev_b32_e32 v13, 2, v6
	s_wait_kmcnt 0x0
	v_mad_nc_u64_u32 v[22:23], s4, v16, v[0:1]
	v_mad_nc_u64_u32 v[28:29], s10, v18, v[2:3]
	v_mul_u64_e32 v[20:21], s[18:19], v[14:15]
	v_mul_u64_e32 v[4:5], s[24:25], v[14:15]
	v_add_nc_u64_e32 v[6:7], s[2:3], v[10:11]
	v_dual_mov_b32 v19, s3 :: v_dual_lshlrev_b32 v9, 2, v0
	v_lshl_or_b32 v24, v2, 7, v13
	v_lshl_add_u32 v27, v8, 5, 0x400
	v_mad_u32 v23, s5, v16, v23
	v_mad_u32 v26, s11, v18, v29
	v_lshl_or_b32 v9, v12, 5, v9
	v_add_nc_u64_e32 v[12:13], 16, v[6:7]
	v_cmp_gt_i64_e64 s1, s[38:39], v[16:17]
	v_cmp_gt_i64_e64 s0, s[36:37], v[18:19]
	s_delay_alu instid0(VALU_DEP_4)
	v_add_nc_u32_e32 v25, 0x400, v9
	v_cmp_gt_i64_e64 s2, s[38:39], v[14:15]
	s_cmp_lg_u32 s33, 0
	v_mad_u32 v23, s4, v17, v23
	v_mad_u32 v29, s10, s3, v26
	v_add_nc_u64_e32 v[16:17], 16, v[14:15]
	v_lshlrev_b32_e32 v26, 2, v10
	v_cmp_gt_i64_e64 s3, s[36:37], v[6:7]
	v_cmp_gt_i64_e64 s4, s[36:37], v[12:13]
	s_delay_alu instid0(VALU_DEP_4)
	v_cmp_gt_i64_e64 s5, s[38:39], v[16:17]
	v_add_nc_u64_e32 v[10:11], s[14:15], v[22:23]
	v_lshl_add_u64 v[8:9], v[20:21], 2, s[16:17]
	v_add_nc_u64_e32 v[12:13], s[8:9], v[28:29]
	v_cmp_gt_i64_e64 s16, s[28:29], 0
	s_cselect_b32 s17, -1, 0
	s_lshl_b64 s[8:9], s[18:19], 4
	s_lshl_b64 s[10:11], s[24:25], 4
	s_branch .LBB492_4
.LBB492_2:                              ;   in Loop: Header=BB492_4 Depth=1
	s_wait_xcnt 0x0
	s_or_b32 exec_lo, exec_lo, s18
.LBB492_3:                              ;   in Loop: Header=BB492_4 Depth=1
	s_add_co_i32 s34, s34, 0x10000
	s_delay_alu instid0(SALU_CYCLE_1)
	s_cmp_lt_i32 s34, s31
	s_cbranch_scc0 .LBB492_34
.LBB492_4:                              ; =>This Loop Header: Depth=1
                                        ;     Child Loop BB492_7 Depth 2
	v_dual_mov_b32 v30, 0 :: v_dual_mov_b32 v31, 0
	v_dual_mov_b32 v28, 0 :: v_dual_mov_b32 v29, 0
	s_and_not1_b32 vcc_lo, exec_lo, s16
	s_cbranch_vccnz .LBB492_11
; %bb.5:                                ;   in Loop: Header=BB492_4 Depth=1
	v_mad_nc_u64_u32 v[14:15], s6, s34, v[10:11]
	v_mad_nc_u64_u32 v[16:17], s12, s34, v[12:13]
	v_dual_mov_b32 v31, 0 :: v_dual_mov_b32 v30, 0
	v_dual_mov_b32 v29, 0 :: v_dual_mov_b32 v28, 0
	s_mov_b64 s[14:15], 0
	s_delay_alu instid0(VALU_DEP_4) | instskip(NEXT) | instid1(VALU_DEP_4)
	v_mad_u32 v15, s7, s34, v15
	v_mad_u32 v17, s13, s34, v17
	s_branch .LBB492_7
.LBB492_6:                              ;   in Loop: Header=BB492_7 Depth=2
	s_wait_xcnt 0x0
	s_or_b32 exec_lo, exec_lo, s18
	s_wait_loadcnt 0x0
	ds_store_b32 v25, v19
	s_wait_dscnt 0x0
	s_barrier_signal -1
	s_barrier_wait -1
	ds_load_b128 v[18:21], v27
	ds_load_2addr_b32 v[22:23], v26 offset1:16
	ds_load_b128 v[32:35], v27 offset:512
	ds_load_2addr_b32 v[44:45], v26 offset0:32 offset1:48
	ds_load_b128 v[36:39], v27 offset:16
	ds_load_2addr_b32 v[46:47], v26 offset0:64 offset1:80
	ds_load_b128 v[40:43], v27 offset:528
	s_add_nc_u64 s[14:15], s[14:15], 8
	s_delay_alu instid0(SALU_CYCLE_1)
	v_cmp_lt_i64_e64 s18, s[14:15], s[28:29]
	s_and_b32 vcc_lo, exec_lo, s18
	s_wait_dscnt 0x5
	v_mad_u32 v31, v18, v22, v31
	v_mad_u32 v18, v18, v23, v30
	s_wait_dscnt 0x4
	v_mad_u32 v29, v32, v22, v29
	v_mad_u32 v28, v32, v23, v28
	ds_load_2addr_b32 v[22:23], v26 offset0:96 offset1:112
	s_wait_dscnt 0x4
	v_mad_u32 v30, v19, v44, v31
	v_mad_u32 v31, v19, v45, v18
	v_mad_u32 v29, v33, v44, v29
	v_mad_u32 v28, v33, v45, v28
	ds_load_2addr_b32 v[18:19], v26 offset0:128 offset1:144
	s_wait_dscnt 0x3
	v_mad_u32 v30, v20, v46, v30
	v_mad_u32 v20, v20, v47, v31
	;; [unrolled: 6-line block ×4, first 2 shown]
	v_mad_u32 v22, v40, v18, v22
	v_mad_u32 v23, v40, v19, v23
	ds_load_2addr_b32 v[18:19], v26 offset0:224 offset1:240
	s_wait_dscnt 0x0
	s_barrier_signal -1
	s_barrier_wait -1
	v_mad_u32 v30, v37, v28, v30
	v_mad_u32 v31, v37, v29, v31
	;; [unrolled: 1-line block ×4, first 2 shown]
	s_delay_alu instid0(VALU_DEP_4) | instskip(NEXT) | instid1(VALU_DEP_4)
	v_mad_u32 v28, v38, v20, v30
	v_mad_u32 v29, v38, v21, v31
	s_delay_alu instid0(VALU_DEP_4) | instskip(NEXT) | instid1(VALU_DEP_4)
	v_mad_u32 v20, v42, v20, v22
	v_mad_u32 v21, v42, v21, v23
	;; [unrolled: 3-line block ×4, first 2 shown]
	s_cbranch_vccz .LBB492_11
.LBB492_7:                              ;   Parent Loop BB492_4 Depth=1
                                        ; =>  This Inner Loop Header: Depth=2
	v_add_nc_u64_e32 v[18:19], s[14:15], v[2:3]
	s_delay_alu instid0(VALU_DEP_1) | instskip(SKIP_2) | instid1(SALU_CYCLE_1)
	v_cmp_gt_i64_e32 vcc_lo, s[28:29], v[18:19]
	v_mov_b32_e32 v18, 0
	s_and_b32 s19, s0, vcc_lo
	s_and_saveexec_b32 s18, s19
	s_cbranch_execz .LBB492_9
; %bb.8:                                ;   in Loop: Header=BB492_7 Depth=2
	s_delay_alu instid0(VALU_DEP_4)
	v_add_nc_u64_e32 v[18:19], s[14:15], v[16:17]
	global_load_i8 v18, v[18:19], off
.LBB492_9:                              ;   in Loop: Header=BB492_7 Depth=2
	s_wait_xcnt 0x0
	s_or_b32 exec_lo, exec_lo, s18
	v_add_nc_u64_e32 v[20:21], s[14:15], v[0:1]
	v_mov_b32_e32 v19, 0
	s_wait_loadcnt 0x0
	ds_store_b32 v24, v18
	v_cmp_gt_i64_e32 vcc_lo, s[28:29], v[20:21]
	s_and_b32 s19, vcc_lo, s1
	s_delay_alu instid0(SALU_CYCLE_1)
	s_and_saveexec_b32 s18, s19
	s_cbranch_execz .LBB492_6
; %bb.10:                               ;   in Loop: Header=BB492_7 Depth=2
	v_add_nc_u64_e32 v[18:19], s[14:15], v[14:15]
	global_load_i8 v19, v[18:19], off
	s_branch .LBB492_6
.LBB492_11:                             ;   in Loop: Header=BB492_4 Depth=1
	s_mul_u64 s[14:15], s[26:27], s[34:35]
	s_and_not1_b32 vcc_lo, exec_lo, s17
	s_lshl_b64 s[14:15], s[14:15], 2
	s_delay_alu instid0(SALU_CYCLE_1)
	s_add_nc_u64 s[14:15], s[22:23], s[14:15]
	s_cbranch_vccnz .LBB492_16
; %bb.12:                               ;   in Loop: Header=BB492_4 Depth=1
	s_and_saveexec_b32 s18, s2
	s_cbranch_execz .LBB492_23
; %bb.13:                               ;   in Loop: Header=BB492_4 Depth=1
	s_mul_u64 s[24:25], s[20:21], s[34:35]
	v_lshlrev_b64_e32 v[14:15], 2, v[6:7]
	v_lshl_add_u64 v[16:17], s[24:25], 2, v[8:9]
	v_lshl_add_u64 v[18:19], v[4:5], 2, s[14:15]
	s_delay_alu instid0(VALU_DEP_2) | instskip(NEXT) | instid1(VALU_DEP_2)
	v_add_nc_u64_e32 v[22:23], v[16:17], v[14:15]
	v_add_nc_u64_e32 v[20:21], v[18:19], v[14:15]
	s_and_saveexec_b32 s19, s3
	s_cbranch_execnz .LBB492_17
; %bb.14:                               ;   in Loop: Header=BB492_4 Depth=1
	s_or_b32 exec_lo, exec_lo, s19
	s_and_saveexec_b32 s19, s4
	s_cbranch_execnz .LBB492_18
.LBB492_15:                             ;   in Loop: Header=BB492_4 Depth=1
	s_or_b32 exec_lo, exec_lo, s19
	s_delay_alu instid0(SALU_CYCLE_1)
	s_and_b32 exec_lo, exec_lo, s5
	s_cbranch_execnz .LBB492_19
	s_branch .LBB492_23
.LBB492_16:                             ;   in Loop: Header=BB492_4 Depth=1
	s_branch .LBB492_24
.LBB492_17:                             ;   in Loop: Header=BB492_4 Depth=1
	global_load_b32 v32, v[22:23], off
	v_mul_lo_u32 v33, v31, s30
	s_wait_loadcnt 0x0
	s_delay_alu instid0(VALU_DEP_1)
	v_mad_u32 v32, v32, s33, v33
	global_store_b32 v[20:21], v32, off
	s_wait_xcnt 0x0
	s_or_b32 exec_lo, exec_lo, s19
	s_and_saveexec_b32 s19, s4
	s_cbranch_execz .LBB492_15
.LBB492_18:                             ;   in Loop: Header=BB492_4 Depth=1
	global_load_b32 v22, v[22:23], off offset:64
	s_wait_xcnt 0x0
	v_mul_lo_u32 v23, v30, s30
	s_wait_loadcnt 0x0
	s_delay_alu instid0(VALU_DEP_1) | instskip(SKIP_3) | instid1(SALU_CYCLE_1)
	v_mad_u32 v22, v22, s33, v23
	global_store_b32 v[20:21], v22, off offset:64
	s_wait_xcnt 0x0
	s_or_b32 exec_lo, exec_lo, s19
	s_and_b32 exec_lo, exec_lo, s5
	s_cbranch_execz .LBB492_23
.LBB492_19:                             ;   in Loop: Header=BB492_4 Depth=1
	v_lshl_add_u64 v[16:17], s[8:9], 2, v[16:17]
	v_lshl_add_u64 v[18:19], s[10:11], 2, v[18:19]
	s_delay_alu instid0(VALU_DEP_2) | instskip(NEXT) | instid1(VALU_DEP_2)
	v_add_nc_u64_e32 v[16:17], v[16:17], v[14:15]
	v_add_nc_u64_e32 v[14:15], v[18:19], v[14:15]
	s_and_saveexec_b32 s19, s3
	s_cbranch_execz .LBB492_21
; %bb.20:                               ;   in Loop: Header=BB492_4 Depth=1
	global_load_b32 v18, v[16:17], off
	v_mul_lo_u32 v19, v29, s30
	s_wait_loadcnt 0x0
	s_delay_alu instid0(VALU_DEP_1)
	v_mad_u32 v18, v18, s33, v19
	global_store_b32 v[14:15], v18, off
.LBB492_21:                             ;   in Loop: Header=BB492_4 Depth=1
	s_wait_xcnt 0x0
	s_or_b32 exec_lo, exec_lo, s19
	s_delay_alu instid0(SALU_CYCLE_1)
	s_and_b32 exec_lo, exec_lo, s4
	s_cbranch_execz .LBB492_23
; %bb.22:                               ;   in Loop: Header=BB492_4 Depth=1
	global_load_b32 v16, v[16:17], off offset:64
	s_wait_xcnt 0x0
	v_mul_lo_u32 v17, v28, s30
	s_wait_loadcnt 0x0
	s_delay_alu instid0(VALU_DEP_1)
	v_mad_u32 v16, v16, s33, v17
	global_store_b32 v[14:15], v16, off offset:64
.LBB492_23:                             ;   in Loop: Header=BB492_4 Depth=1
	s_wait_xcnt 0x0
	s_or_b32 exec_lo, exec_lo, s18
	s_cbranch_execnz .LBB492_3
.LBB492_24:                             ;   in Loop: Header=BB492_4 Depth=1
	s_and_saveexec_b32 s18, s2
	s_cbranch_execz .LBB492_2
; %bb.25:                               ;   in Loop: Header=BB492_4 Depth=1
	v_lshl_add_u64 v[14:15], v[4:5], 2, s[14:15]
	s_delay_alu instid0(VALU_DEP_1)
	v_lshl_add_u64 v[16:17], v[6:7], 2, v[14:15]
	s_and_saveexec_b32 s14, s3
	s_cbranch_execnz .LBB492_28
; %bb.26:                               ;   in Loop: Header=BB492_4 Depth=1
	s_or_b32 exec_lo, exec_lo, s14
	s_and_saveexec_b32 s14, s4
	s_cbranch_execnz .LBB492_29
.LBB492_27:                             ;   in Loop: Header=BB492_4 Depth=1
	s_or_b32 exec_lo, exec_lo, s14
	s_delay_alu instid0(SALU_CYCLE_1)
	s_and_b32 exec_lo, exec_lo, s5
	s_cbranch_execz .LBB492_2
	s_branch .LBB492_30
.LBB492_28:                             ;   in Loop: Header=BB492_4 Depth=1
	v_mul_lo_u32 v18, v31, s30
	global_store_b32 v[16:17], v18, off
	s_wait_xcnt 0x0
	s_or_b32 exec_lo, exec_lo, s14
	s_and_saveexec_b32 s14, s4
	s_cbranch_execz .LBB492_27
.LBB492_29:                             ;   in Loop: Header=BB492_4 Depth=1
	v_mul_lo_u32 v18, v30, s30
	global_store_b32 v[16:17], v18, off offset:64
	s_wait_xcnt 0x0
	s_or_b32 exec_lo, exec_lo, s14
	s_delay_alu instid0(SALU_CYCLE_1)
	s_and_b32 exec_lo, exec_lo, s5
	s_cbranch_execz .LBB492_2
.LBB492_30:                             ;   in Loop: Header=BB492_4 Depth=1
	v_lshl_add_u64 v[14:15], s[10:11], 2, v[14:15]
	s_delay_alu instid0(VALU_DEP_1)
	v_lshl_add_u64 v[14:15], v[6:7], 2, v[14:15]
	s_and_saveexec_b32 s14, s3
	s_cbranch_execz .LBB492_32
; %bb.31:                               ;   in Loop: Header=BB492_4 Depth=1
	v_mul_lo_u32 v16, v29, s30
	global_store_b32 v[14:15], v16, off
.LBB492_32:                             ;   in Loop: Header=BB492_4 Depth=1
	s_wait_xcnt 0x0
	s_or_b32 exec_lo, exec_lo, s14
	s_delay_alu instid0(SALU_CYCLE_1)
	s_and_b32 exec_lo, exec_lo, s4
	s_cbranch_execz .LBB492_2
; %bb.33:                               ;   in Loop: Header=BB492_4 Depth=1
	v_mul_lo_u32 v16, v28, s30
	global_store_b32 v[14:15], v16, off offset:64
	s_branch .LBB492_2
.LBB492_34:
	s_endpgm
	.section	.rodata,"a",@progbits
	.p2align	6, 0x0
	.amdhsa_kernel _ZN12_GLOBAL__N_135rocblas_gemm_batched_general_kernelIiLi16ELi16ELi32ELi32ELi8ELi32ELi8ELi8ELi32ELc84ELc78EKaKiiEEvlllT_PT11_llS5_llS3_PT12_llPT13_lli
		.amdhsa_group_segment_fixed_size 2048
		.amdhsa_private_segment_fixed_size 0
		.amdhsa_kernarg_size 140
		.amdhsa_user_sgpr_count 2
		.amdhsa_user_sgpr_dispatch_ptr 0
		.amdhsa_user_sgpr_queue_ptr 0
		.amdhsa_user_sgpr_kernarg_segment_ptr 1
		.amdhsa_user_sgpr_dispatch_id 0
		.amdhsa_user_sgpr_kernarg_preload_length 0
		.amdhsa_user_sgpr_kernarg_preload_offset 0
		.amdhsa_user_sgpr_private_segment_size 0
		.amdhsa_wavefront_size32 1
		.amdhsa_uses_dynamic_stack 0
		.amdhsa_enable_private_segment 0
		.amdhsa_system_sgpr_workgroup_id_x 1
		.amdhsa_system_sgpr_workgroup_id_y 1
		.amdhsa_system_sgpr_workgroup_id_z 1
		.amdhsa_system_sgpr_workgroup_info 0
		.amdhsa_system_vgpr_workitem_id 1
		.amdhsa_next_free_vgpr 48
		.amdhsa_next_free_sgpr 40
		.amdhsa_named_barrier_count 0
		.amdhsa_reserve_vcc 1
		.amdhsa_float_round_mode_32 0
		.amdhsa_float_round_mode_16_64 0
		.amdhsa_float_denorm_mode_32 3
		.amdhsa_float_denorm_mode_16_64 3
		.amdhsa_fp16_overflow 0
		.amdhsa_memory_ordered 1
		.amdhsa_forward_progress 1
		.amdhsa_inst_pref_size 15
		.amdhsa_round_robin_scheduling 0
		.amdhsa_exception_fp_ieee_invalid_op 0
		.amdhsa_exception_fp_denorm_src 0
		.amdhsa_exception_fp_ieee_div_zero 0
		.amdhsa_exception_fp_ieee_overflow 0
		.amdhsa_exception_fp_ieee_underflow 0
		.amdhsa_exception_fp_ieee_inexact 0
		.amdhsa_exception_int_div_zero 0
	.end_amdhsa_kernel
	.section	.text._ZN12_GLOBAL__N_135rocblas_gemm_batched_general_kernelIiLi16ELi16ELi32ELi32ELi8ELi32ELi8ELi8ELi32ELc84ELc78EKaKiiEEvlllT_PT11_llS5_llS3_PT12_llPT13_lli,"axG",@progbits,_ZN12_GLOBAL__N_135rocblas_gemm_batched_general_kernelIiLi16ELi16ELi32ELi32ELi8ELi32ELi8ELi8ELi32ELc84ELc78EKaKiiEEvlllT_PT11_llS5_llS3_PT12_llPT13_lli,comdat
.Lfunc_end492:
	.size	_ZN12_GLOBAL__N_135rocblas_gemm_batched_general_kernelIiLi16ELi16ELi32ELi32ELi8ELi32ELi8ELi8ELi32ELc84ELc78EKaKiiEEvlllT_PT11_llS5_llS3_PT12_llPT13_lli, .Lfunc_end492-_ZN12_GLOBAL__N_135rocblas_gemm_batched_general_kernelIiLi16ELi16ELi32ELi32ELi8ELi32ELi8ELi8ELi32ELc84ELc78EKaKiiEEvlllT_PT11_llS5_llS3_PT12_llPT13_lli
                                        ; -- End function
	.set _ZN12_GLOBAL__N_135rocblas_gemm_batched_general_kernelIiLi16ELi16ELi32ELi32ELi8ELi32ELi8ELi8ELi32ELc84ELc78EKaKiiEEvlllT_PT11_llS5_llS3_PT12_llPT13_lli.num_vgpr, 48
	.set _ZN12_GLOBAL__N_135rocblas_gemm_batched_general_kernelIiLi16ELi16ELi32ELi32ELi8ELi32ELi8ELi8ELi32ELc84ELc78EKaKiiEEvlllT_PT11_llS5_llS3_PT12_llPT13_lli.num_agpr, 0
	.set _ZN12_GLOBAL__N_135rocblas_gemm_batched_general_kernelIiLi16ELi16ELi32ELi32ELi8ELi32ELi8ELi8ELi32ELc84ELc78EKaKiiEEvlllT_PT11_llS5_llS3_PT12_llPT13_lli.numbered_sgpr, 40
	.set _ZN12_GLOBAL__N_135rocblas_gemm_batched_general_kernelIiLi16ELi16ELi32ELi32ELi8ELi32ELi8ELi8ELi32ELc84ELc78EKaKiiEEvlllT_PT11_llS5_llS3_PT12_llPT13_lli.num_named_barrier, 0
	.set _ZN12_GLOBAL__N_135rocblas_gemm_batched_general_kernelIiLi16ELi16ELi32ELi32ELi8ELi32ELi8ELi8ELi32ELc84ELc78EKaKiiEEvlllT_PT11_llS5_llS3_PT12_llPT13_lli.private_seg_size, 0
	.set _ZN12_GLOBAL__N_135rocblas_gemm_batched_general_kernelIiLi16ELi16ELi32ELi32ELi8ELi32ELi8ELi8ELi32ELc84ELc78EKaKiiEEvlllT_PT11_llS5_llS3_PT12_llPT13_lli.uses_vcc, 1
	.set _ZN12_GLOBAL__N_135rocblas_gemm_batched_general_kernelIiLi16ELi16ELi32ELi32ELi8ELi32ELi8ELi8ELi32ELc84ELc78EKaKiiEEvlllT_PT11_llS5_llS3_PT12_llPT13_lli.uses_flat_scratch, 0
	.set _ZN12_GLOBAL__N_135rocblas_gemm_batched_general_kernelIiLi16ELi16ELi32ELi32ELi8ELi32ELi8ELi8ELi32ELc84ELc78EKaKiiEEvlllT_PT11_llS5_llS3_PT12_llPT13_lli.has_dyn_sized_stack, 0
	.set _ZN12_GLOBAL__N_135rocblas_gemm_batched_general_kernelIiLi16ELi16ELi32ELi32ELi8ELi32ELi8ELi8ELi32ELc84ELc78EKaKiiEEvlllT_PT11_llS5_llS3_PT12_llPT13_lli.has_recursion, 0
	.set _ZN12_GLOBAL__N_135rocblas_gemm_batched_general_kernelIiLi16ELi16ELi32ELi32ELi8ELi32ELi8ELi8ELi32ELc84ELc78EKaKiiEEvlllT_PT11_llS5_llS3_PT12_llPT13_lli.has_indirect_call, 0
	.section	.AMDGPU.csdata,"",@progbits
; Kernel info:
; codeLenInByte = 1868
; TotalNumSgprs: 42
; NumVgprs: 48
; ScratchSize: 0
; MemoryBound: 0
; FloatMode: 240
; IeeeMode: 1
; LDSByteSize: 2048 bytes/workgroup (compile time only)
; SGPRBlocks: 0
; VGPRBlocks: 2
; NumSGPRsForWavesPerEU: 42
; NumVGPRsForWavesPerEU: 48
; NamedBarCnt: 0
; Occupancy: 16
; WaveLimiterHint : 0
; COMPUTE_PGM_RSRC2:SCRATCH_EN: 0
; COMPUTE_PGM_RSRC2:USER_SGPR: 2
; COMPUTE_PGM_RSRC2:TRAP_HANDLER: 0
; COMPUTE_PGM_RSRC2:TGID_X_EN: 1
; COMPUTE_PGM_RSRC2:TGID_Y_EN: 1
; COMPUTE_PGM_RSRC2:TGID_Z_EN: 1
; COMPUTE_PGM_RSRC2:TIDIG_COMP_CNT: 1
	.section	.text._ZN12_GLOBAL__N_135rocblas_gemm_batched_general_kernelIiLi16ELi16ELi32ELi32ELi8ELi32ELi8ELi8ELi32ELc78ELc84EKaKiiEEvlllT_PT11_llS5_llS3_PT12_llPT13_lli,"axG",@progbits,_ZN12_GLOBAL__N_135rocblas_gemm_batched_general_kernelIiLi16ELi16ELi32ELi32ELi8ELi32ELi8ELi8ELi32ELc78ELc84EKaKiiEEvlllT_PT11_llS5_llS3_PT12_llPT13_lli,comdat
	.globl	_ZN12_GLOBAL__N_135rocblas_gemm_batched_general_kernelIiLi16ELi16ELi32ELi32ELi8ELi32ELi8ELi8ELi32ELc78ELc84EKaKiiEEvlllT_PT11_llS5_llS3_PT12_llPT13_lli ; -- Begin function _ZN12_GLOBAL__N_135rocblas_gemm_batched_general_kernelIiLi16ELi16ELi32ELi32ELi8ELi32ELi8ELi8ELi32ELc78ELc84EKaKiiEEvlllT_PT11_llS5_llS3_PT12_llPT13_lli
	.p2align	8
	.type	_ZN12_GLOBAL__N_135rocblas_gemm_batched_general_kernelIiLi16ELi16ELi32ELi32ELi8ELi32ELi8ELi8ELi32ELc78ELc84EKaKiiEEvlllT_PT11_llS5_llS3_PT12_llPT13_lli,@function
_ZN12_GLOBAL__N_135rocblas_gemm_batched_general_kernelIiLi16ELi16ELi32ELi32ELi8ELi32ELi8ELi8ELi32ELc78ELc84EKaKiiEEvlllT_PT11_llS5_llS3_PT12_llPT13_lli: ; @_ZN12_GLOBAL__N_135rocblas_gemm_batched_general_kernelIiLi16ELi16ELi32ELi32ELi8ELi32ELi8ELi8ELi32ELc78ELc84EKaKiiEEvlllT_PT11_llS5_llS3_PT12_llPT13_lli
; %bb.0:
	s_load_b32 s33, s[0:1], 0x88
	s_bfe_u32 s2, ttmp6, 0x40014
	s_lshr_b32 s3, ttmp7, 16
	s_add_co_i32 s2, s2, 1
	s_bfe_u32 s5, ttmp6, 0x40008
	s_mul_i32 s4, s3, s2
	s_getreg_b32 s2, hwreg(HW_REG_IB_STS2, 6, 4)
	s_add_co_i32 s5, s5, s4
	s_cmp_eq_u32 s2, 0
	s_mov_b32 s35, 0
	s_cselect_b32 s34, s3, s5
	s_wait_kmcnt 0x0
	s_cmp_ge_i32 s34, s33
	s_cbranch_scc1 .LBB493_34
; %bb.1:
	s_clause 0x6
	s_load_b128 s[4:7], s[0:1], 0x0
	s_load_b96 s[36:38], s[0:1], 0x10
	s_load_b256 s[8:15], s[0:1], 0x20
	s_load_b128 s[24:27], s[0:1], 0x40
	s_load_b32 s39, s[0:1], 0x50
	s_load_b128 s[28:31], s[0:1], 0x78
	s_load_b256 s[16:23], s[0:1], 0x58
	s_wait_xcnt 0x0
	s_bfe_u32 s0, ttmp6, 0x4000c
	s_bfe_u32 s3, ttmp6, 0x40010
	s_add_co_i32 s0, s0, 1
	s_and_b32 s40, ttmp7, 0xffff
	s_add_co_i32 s3, s3, 1
	v_bfe_u32 v8, v0, 10, 10
	v_and_b32_e32 v10, 0x3ff, v0
	s_and_b32 s1, ttmp6, 15
	s_mul_i32 s0, ttmp9, s0
	s_mul_i32 s3, s40, s3
	s_bfe_u32 s41, ttmp6, 0x40004
	s_add_co_i32 s1, s1, s0
	s_add_co_i32 s41, s41, s3
	s_cmp_eq_u32 s2, 0
	v_lshl_add_u32 v1, v8, 4, v10
	v_mov_b32_e32 v9, 0
	s_cselect_b32 s2, s40, s41
	s_cselect_b32 s0, ttmp9, s1
	s_lshl_b32 s42, s2, 5
	s_mov_b32 s43, s35
	v_and_b32_e32 v12, 31, v1
	v_add_nc_u64_e32 v[14:15], s[42:43], v[8:9]
	v_dual_mov_b32 v3, v9 :: v_dual_lshrrev_b32 v2, 5, v1
	s_ashr_i32 s1, s0, 31
	v_dual_lshrrev_b32 v6, 3, v1 :: v_dual_bitop2_b32 v0, 7, v0 bitop3:0x40
	s_lshl_b64 s[2:3], s[0:1], 5
	s_wait_kmcnt 0x0
	s_delay_alu instid0(VALU_DEP_3)
	v_mul_u64_e32 v[16:17], s[18:19], v[14:15]
	v_mad_nc_u64_u32 v[20:21], s10, v2, s[2:3]
	v_dual_mov_b32 v7, v9 :: v_dual_bitop2_b32 v18, s2, v12 bitop3:0x54
	v_dual_mov_b32 v19, s3 :: v_dual_mov_b32 v1, v9
	v_mul_u64_e32 v[4:5], s[28:29], v[14:15]
	v_dual_mov_b32 v11, v9 :: v_dual_mov_b32 v13, v9
	s_delay_alu instid0(VALU_DEP_3)
	v_cmp_gt_i64_e64 s0, s[4:5], v[18:19]
	v_mad_nc_u64_u32 v[18:19], s24, v0, v[6:7]
	v_dual_lshlrev_b32 v9, 2, v0 :: v_dual_lshlrev_b32 v26, 2, v10
	v_mad_u32 v21, s11, v2, v21
	v_add_nc_u64_e32 v[22:23], s[42:43], v[6:7]
	v_lshlrev_b32_e32 v24, 2, v12
	s_delay_alu instid0(VALU_DEP_4)
	v_lshl_or_b32 v9, v6, 5, v9
	v_add_nc_u64_e32 v[6:7], s[2:3], v[10:11]
	s_cmp_lg_u32 s39, 0
	s_add_nc_u64 s[14:15], s[14:15], s[42:43]
	s_cselect_b32 s40, -1, 0
	v_mad_u32 v19, s25, v0, v19
	v_cmp_gt_i64_e64 s1, s[6:7], v[22:23]
	v_add_nc_u64_e32 v[22:23], 16, v[14:15]
	v_add_nc_u64_e32 v[10:11], 16, v[6:7]
	;; [unrolled: 1-line block ×3, first 2 shown]
	v_cmp_gt_i64_e64 s2, s[6:7], v[14:15]
	v_cmp_gt_i64_e64 s3, s[4:5], v[6:7]
	v_lshl_or_b32 v24, v2, 7, v24
	v_add_nc_u32_e32 v25, 0x400, v9
	v_lshl_add_u32 v27, v8, 5, 0x400
	v_cmp_gt_i64_e64 s4, s[4:5], v[10:11]
	v_cmp_gt_i64_e64 s5, s[6:7], v[22:23]
	s_lshl_b64 s[6:7], s[18:19], 4
	v_add_nc_u64_e32 v[10:11], s[14:15], v[18:19]
	v_add_nc_u64_e32 v[12:13], s[8:9], v[12:13]
	v_cmp_gt_i64_e64 s18, s[36:37], 0
	v_lshl_add_u64 v[8:9], v[16:17], 2, s[16:17]
	s_lshl_b64 s[8:9], s[28:29], 4
	s_lshl_b64 s[14:15], s[24:25], 3
	;; [unrolled: 1-line block ×3, first 2 shown]
	s_branch .LBB493_4
.LBB493_2:                              ;   in Loop: Header=BB493_4 Depth=1
	s_wait_xcnt 0x0
	s_or_b32 exec_lo, exec_lo, s19
.LBB493_3:                              ;   in Loop: Header=BB493_4 Depth=1
	s_add_co_i32 s34, s34, 0x10000
	s_delay_alu instid0(SALU_CYCLE_1)
	s_cmp_lt_i32 s34, s33
	s_cbranch_scc0 .LBB493_34
.LBB493_4:                              ; =>This Loop Header: Depth=1
                                        ;     Child Loop BB493_7 Depth 2
	v_dual_mov_b32 v30, 0 :: v_dual_mov_b32 v31, 0
	v_dual_mov_b32 v28, 0 :: v_dual_mov_b32 v29, 0
	s_and_not1_b32 vcc_lo, exec_lo, s18
	s_cbranch_vccnz .LBB493_11
; %bb.5:                                ;   in Loop: Header=BB493_4 Depth=1
	v_mad_nc_u64_u32 v[14:15], s26, s34, v[10:11]
	v_mad_nc_u64_u32 v[16:17], s12, s34, v[12:13]
	v_dual_mov_b32 v31, 0 :: v_dual_mov_b32 v30, 0
	v_dual_mov_b32 v29, 0 :: v_dual_mov_b32 v28, 0
	s_mov_b64 s[16:17], 0
	s_delay_alu instid0(VALU_DEP_4) | instskip(NEXT) | instid1(VALU_DEP_4)
	v_mad_u32 v15, s27, s34, v15
	v_mad_u32 v17, s13, s34, v17
	s_branch .LBB493_7
.LBB493_6:                              ;   in Loop: Header=BB493_7 Depth=2
	s_wait_xcnt 0x0
	s_or_b32 exec_lo, exec_lo, s19
	s_wait_loadcnt 0x0
	ds_store_b32 v25, v19
	s_wait_dscnt 0x0
	s_barrier_signal -1
	s_barrier_wait -1
	ds_load_b128 v[18:21], v27
	ds_load_2addr_b32 v[22:23], v26 offset1:16
	ds_load_b128 v[32:35], v27 offset:512
	ds_load_2addr_b32 v[44:45], v26 offset0:32 offset1:48
	ds_load_b128 v[36:39], v27 offset:16
	ds_load_2addr_b32 v[46:47], v26 offset0:64 offset1:80
	ds_load_b128 v[40:43], v27 offset:528
	s_add_nc_u64 s[16:17], s[16:17], 8
	v_add_nc_u64_e32 v[14:15], s[14:15], v[14:15]
	v_cmp_lt_i64_e64 s19, s[16:17], s[36:37]
	v_add_nc_u64_e32 v[16:17], s[10:11], v[16:17]
	s_and_b32 vcc_lo, exec_lo, s19
	s_wait_dscnt 0x5
	v_mad_u32 v31, v18, v22, v31
	v_mad_u32 v18, v18, v23, v30
	s_wait_dscnt 0x4
	v_mad_u32 v29, v32, v22, v29
	v_mad_u32 v28, v32, v23, v28
	ds_load_2addr_b32 v[22:23], v26 offset0:96 offset1:112
	s_wait_dscnt 0x4
	v_mad_u32 v30, v19, v44, v31
	v_mad_u32 v31, v19, v45, v18
	v_mad_u32 v29, v33, v44, v29
	v_mad_u32 v28, v33, v45, v28
	ds_load_2addr_b32 v[18:19], v26 offset0:128 offset1:144
	s_wait_dscnt 0x3
	v_mad_u32 v30, v20, v46, v30
	v_mad_u32 v20, v20, v47, v31
	;; [unrolled: 6-line block ×4, first 2 shown]
	v_mad_u32 v22, v40, v18, v22
	v_mad_u32 v23, v40, v19, v23
	ds_load_2addr_b32 v[18:19], v26 offset0:224 offset1:240
	s_wait_dscnt 0x0
	s_barrier_signal -1
	s_barrier_wait -1
	v_mad_u32 v30, v37, v28, v30
	v_mad_u32 v31, v37, v29, v31
	v_mad_u32 v22, v41, v28, v22
	v_mad_u32 v23, v41, v29, v23
	s_delay_alu instid0(VALU_DEP_4) | instskip(NEXT) | instid1(VALU_DEP_4)
	v_mad_u32 v28, v38, v20, v30
	v_mad_u32 v29, v38, v21, v31
	s_delay_alu instid0(VALU_DEP_4) | instskip(NEXT) | instid1(VALU_DEP_4)
	v_mad_u32 v20, v42, v20, v22
	v_mad_u32 v21, v42, v21, v23
	;; [unrolled: 3-line block ×4, first 2 shown]
	s_cbranch_vccz .LBB493_11
.LBB493_7:                              ;   Parent Loop BB493_4 Depth=1
                                        ; =>  This Inner Loop Header: Depth=2
	v_add_nc_u64_e32 v[18:19], s[16:17], v[2:3]
	s_delay_alu instid0(VALU_DEP_1) | instskip(SKIP_2) | instid1(SALU_CYCLE_1)
	v_cmp_gt_i64_e32 vcc_lo, s[36:37], v[18:19]
	v_mov_b32_e32 v18, 0
	s_and_b32 s24, s0, vcc_lo
	s_and_saveexec_b32 s19, s24
	s_cbranch_execz .LBB493_9
; %bb.8:                                ;   in Loop: Header=BB493_7 Depth=2
	global_load_i8 v18, v[16:17], off
.LBB493_9:                              ;   in Loop: Header=BB493_7 Depth=2
	s_wait_xcnt 0x0
	s_or_b32 exec_lo, exec_lo, s19
	v_add_nc_u64_e32 v[20:21], s[16:17], v[0:1]
	v_mov_b32_e32 v19, 0
	s_wait_loadcnt 0x0
	ds_store_b32 v24, v18
	v_cmp_gt_i64_e32 vcc_lo, s[36:37], v[20:21]
	s_and_b32 s24, vcc_lo, s1
	s_delay_alu instid0(SALU_CYCLE_1)
	s_and_saveexec_b32 s19, s24
	s_cbranch_execz .LBB493_6
; %bb.10:                               ;   in Loop: Header=BB493_7 Depth=2
	global_load_i8 v19, v[14:15], off
	s_branch .LBB493_6
.LBB493_11:                             ;   in Loop: Header=BB493_4 Depth=1
	s_mul_u64 s[16:17], s[30:31], s[34:35]
	s_and_not1_b32 vcc_lo, exec_lo, s40
	s_lshl_b64 s[16:17], s[16:17], 2
	s_delay_alu instid0(SALU_CYCLE_1)
	s_add_nc_u64 s[16:17], s[22:23], s[16:17]
	s_cbranch_vccnz .LBB493_16
; %bb.12:                               ;   in Loop: Header=BB493_4 Depth=1
	s_and_saveexec_b32 s19, s2
	s_cbranch_execz .LBB493_23
; %bb.13:                               ;   in Loop: Header=BB493_4 Depth=1
	s_mul_u64 s[24:25], s[20:21], s[34:35]
	v_lshlrev_b64_e32 v[14:15], 2, v[6:7]
	v_lshl_add_u64 v[16:17], s[24:25], 2, v[8:9]
	v_lshl_add_u64 v[18:19], v[4:5], 2, s[16:17]
	s_delay_alu instid0(VALU_DEP_2) | instskip(NEXT) | instid1(VALU_DEP_2)
	v_add_nc_u64_e32 v[22:23], v[16:17], v[14:15]
	v_add_nc_u64_e32 v[20:21], v[18:19], v[14:15]
	s_and_saveexec_b32 s24, s3
	s_cbranch_execnz .LBB493_17
; %bb.14:                               ;   in Loop: Header=BB493_4 Depth=1
	s_or_b32 exec_lo, exec_lo, s24
	s_and_saveexec_b32 s24, s4
	s_cbranch_execnz .LBB493_18
.LBB493_15:                             ;   in Loop: Header=BB493_4 Depth=1
	s_or_b32 exec_lo, exec_lo, s24
	s_delay_alu instid0(SALU_CYCLE_1)
	s_and_b32 exec_lo, exec_lo, s5
	s_cbranch_execnz .LBB493_19
	s_branch .LBB493_23
.LBB493_16:                             ;   in Loop: Header=BB493_4 Depth=1
	s_branch .LBB493_24
.LBB493_17:                             ;   in Loop: Header=BB493_4 Depth=1
	global_load_b32 v32, v[22:23], off
	v_mul_lo_u32 v33, v31, s38
	s_wait_loadcnt 0x0
	s_delay_alu instid0(VALU_DEP_1)
	v_mad_u32 v32, v32, s39, v33
	global_store_b32 v[20:21], v32, off
	s_wait_xcnt 0x0
	s_or_b32 exec_lo, exec_lo, s24
	s_and_saveexec_b32 s24, s4
	s_cbranch_execz .LBB493_15
.LBB493_18:                             ;   in Loop: Header=BB493_4 Depth=1
	global_load_b32 v22, v[22:23], off offset:64
	s_wait_xcnt 0x0
	v_mul_lo_u32 v23, v30, s38
	s_wait_loadcnt 0x0
	s_delay_alu instid0(VALU_DEP_1) | instskip(SKIP_3) | instid1(SALU_CYCLE_1)
	v_mad_u32 v22, v22, s39, v23
	global_store_b32 v[20:21], v22, off offset:64
	s_wait_xcnt 0x0
	s_or_b32 exec_lo, exec_lo, s24
	s_and_b32 exec_lo, exec_lo, s5
	s_cbranch_execz .LBB493_23
.LBB493_19:                             ;   in Loop: Header=BB493_4 Depth=1
	v_lshl_add_u64 v[16:17], s[6:7], 2, v[16:17]
	v_lshl_add_u64 v[18:19], s[8:9], 2, v[18:19]
	s_delay_alu instid0(VALU_DEP_2) | instskip(NEXT) | instid1(VALU_DEP_2)
	v_add_nc_u64_e32 v[16:17], v[16:17], v[14:15]
	v_add_nc_u64_e32 v[14:15], v[18:19], v[14:15]
	s_and_saveexec_b32 s24, s3
	s_cbranch_execz .LBB493_21
; %bb.20:                               ;   in Loop: Header=BB493_4 Depth=1
	global_load_b32 v18, v[16:17], off
	v_mul_lo_u32 v19, v29, s38
	s_wait_loadcnt 0x0
	s_delay_alu instid0(VALU_DEP_1)
	v_mad_u32 v18, v18, s39, v19
	global_store_b32 v[14:15], v18, off
.LBB493_21:                             ;   in Loop: Header=BB493_4 Depth=1
	s_wait_xcnt 0x0
	s_or_b32 exec_lo, exec_lo, s24
	s_delay_alu instid0(SALU_CYCLE_1)
	s_and_b32 exec_lo, exec_lo, s4
	s_cbranch_execz .LBB493_23
; %bb.22:                               ;   in Loop: Header=BB493_4 Depth=1
	global_load_b32 v16, v[16:17], off offset:64
	s_wait_xcnt 0x0
	v_mul_lo_u32 v17, v28, s38
	s_wait_loadcnt 0x0
	s_delay_alu instid0(VALU_DEP_1)
	v_mad_u32 v16, v16, s39, v17
	global_store_b32 v[14:15], v16, off offset:64
.LBB493_23:                             ;   in Loop: Header=BB493_4 Depth=1
	s_wait_xcnt 0x0
	s_or_b32 exec_lo, exec_lo, s19
	s_cbranch_execnz .LBB493_3
.LBB493_24:                             ;   in Loop: Header=BB493_4 Depth=1
	s_and_saveexec_b32 s19, s2
	s_cbranch_execz .LBB493_2
; %bb.25:                               ;   in Loop: Header=BB493_4 Depth=1
	v_lshl_add_u64 v[14:15], v[4:5], 2, s[16:17]
	s_delay_alu instid0(VALU_DEP_1)
	v_lshl_add_u64 v[16:17], v[6:7], 2, v[14:15]
	s_and_saveexec_b32 s16, s3
	s_cbranch_execnz .LBB493_28
; %bb.26:                               ;   in Loop: Header=BB493_4 Depth=1
	s_or_b32 exec_lo, exec_lo, s16
	s_and_saveexec_b32 s16, s4
	s_cbranch_execnz .LBB493_29
.LBB493_27:                             ;   in Loop: Header=BB493_4 Depth=1
	s_or_b32 exec_lo, exec_lo, s16
	s_delay_alu instid0(SALU_CYCLE_1)
	s_and_b32 exec_lo, exec_lo, s5
	s_cbranch_execz .LBB493_2
	s_branch .LBB493_30
.LBB493_28:                             ;   in Loop: Header=BB493_4 Depth=1
	v_mul_lo_u32 v18, v31, s38
	global_store_b32 v[16:17], v18, off
	s_wait_xcnt 0x0
	s_or_b32 exec_lo, exec_lo, s16
	s_and_saveexec_b32 s16, s4
	s_cbranch_execz .LBB493_27
.LBB493_29:                             ;   in Loop: Header=BB493_4 Depth=1
	v_mul_lo_u32 v18, v30, s38
	global_store_b32 v[16:17], v18, off offset:64
	s_wait_xcnt 0x0
	s_or_b32 exec_lo, exec_lo, s16
	s_delay_alu instid0(SALU_CYCLE_1)
	s_and_b32 exec_lo, exec_lo, s5
	s_cbranch_execz .LBB493_2
.LBB493_30:                             ;   in Loop: Header=BB493_4 Depth=1
	v_lshl_add_u64 v[14:15], s[8:9], 2, v[14:15]
	s_delay_alu instid0(VALU_DEP_1)
	v_lshl_add_u64 v[14:15], v[6:7], 2, v[14:15]
	s_and_saveexec_b32 s16, s3
	s_cbranch_execz .LBB493_32
; %bb.31:                               ;   in Loop: Header=BB493_4 Depth=1
	v_mul_lo_u32 v16, v29, s38
	global_store_b32 v[14:15], v16, off
.LBB493_32:                             ;   in Loop: Header=BB493_4 Depth=1
	s_wait_xcnt 0x0
	s_or_b32 exec_lo, exec_lo, s16
	s_delay_alu instid0(SALU_CYCLE_1)
	s_and_b32 exec_lo, exec_lo, s4
	s_cbranch_execz .LBB493_2
; %bb.33:                               ;   in Loop: Header=BB493_4 Depth=1
	v_mul_lo_u32 v16, v28, s38
	global_store_b32 v[14:15], v16, off offset:64
	s_branch .LBB493_2
.LBB493_34:
	s_endpgm
	.section	.rodata,"a",@progbits
	.p2align	6, 0x0
	.amdhsa_kernel _ZN12_GLOBAL__N_135rocblas_gemm_batched_general_kernelIiLi16ELi16ELi32ELi32ELi8ELi32ELi8ELi8ELi32ELc78ELc84EKaKiiEEvlllT_PT11_llS5_llS3_PT12_llPT13_lli
		.amdhsa_group_segment_fixed_size 2048
		.amdhsa_private_segment_fixed_size 0
		.amdhsa_kernarg_size 140
		.amdhsa_user_sgpr_count 2
		.amdhsa_user_sgpr_dispatch_ptr 0
		.amdhsa_user_sgpr_queue_ptr 0
		.amdhsa_user_sgpr_kernarg_segment_ptr 1
		.amdhsa_user_sgpr_dispatch_id 0
		.amdhsa_user_sgpr_kernarg_preload_length 0
		.amdhsa_user_sgpr_kernarg_preload_offset 0
		.amdhsa_user_sgpr_private_segment_size 0
		.amdhsa_wavefront_size32 1
		.amdhsa_uses_dynamic_stack 0
		.amdhsa_enable_private_segment 0
		.amdhsa_system_sgpr_workgroup_id_x 1
		.amdhsa_system_sgpr_workgroup_id_y 1
		.amdhsa_system_sgpr_workgroup_id_z 1
		.amdhsa_system_sgpr_workgroup_info 0
		.amdhsa_system_vgpr_workitem_id 1
		.amdhsa_next_free_vgpr 48
		.amdhsa_next_free_sgpr 44
		.amdhsa_named_barrier_count 0
		.amdhsa_reserve_vcc 1
		.amdhsa_float_round_mode_32 0
		.amdhsa_float_round_mode_16_64 0
		.amdhsa_float_denorm_mode_32 3
		.amdhsa_float_denorm_mode_16_64 3
		.amdhsa_fp16_overflow 0
		.amdhsa_memory_ordered 1
		.amdhsa_forward_progress 1
		.amdhsa_inst_pref_size 15
		.amdhsa_round_robin_scheduling 0
		.amdhsa_exception_fp_ieee_invalid_op 0
		.amdhsa_exception_fp_denorm_src 0
		.amdhsa_exception_fp_ieee_div_zero 0
		.amdhsa_exception_fp_ieee_overflow 0
		.amdhsa_exception_fp_ieee_underflow 0
		.amdhsa_exception_fp_ieee_inexact 0
		.amdhsa_exception_int_div_zero 0
	.end_amdhsa_kernel
	.section	.text._ZN12_GLOBAL__N_135rocblas_gemm_batched_general_kernelIiLi16ELi16ELi32ELi32ELi8ELi32ELi8ELi8ELi32ELc78ELc84EKaKiiEEvlllT_PT11_llS5_llS3_PT12_llPT13_lli,"axG",@progbits,_ZN12_GLOBAL__N_135rocblas_gemm_batched_general_kernelIiLi16ELi16ELi32ELi32ELi8ELi32ELi8ELi8ELi32ELc78ELc84EKaKiiEEvlllT_PT11_llS5_llS3_PT12_llPT13_lli,comdat
.Lfunc_end493:
	.size	_ZN12_GLOBAL__N_135rocblas_gemm_batched_general_kernelIiLi16ELi16ELi32ELi32ELi8ELi32ELi8ELi8ELi32ELc78ELc84EKaKiiEEvlllT_PT11_llS5_llS3_PT12_llPT13_lli, .Lfunc_end493-_ZN12_GLOBAL__N_135rocblas_gemm_batched_general_kernelIiLi16ELi16ELi32ELi32ELi8ELi32ELi8ELi8ELi32ELc78ELc84EKaKiiEEvlllT_PT11_llS5_llS3_PT12_llPT13_lli
                                        ; -- End function
	.set _ZN12_GLOBAL__N_135rocblas_gemm_batched_general_kernelIiLi16ELi16ELi32ELi32ELi8ELi32ELi8ELi8ELi32ELc78ELc84EKaKiiEEvlllT_PT11_llS5_llS3_PT12_llPT13_lli.num_vgpr, 48
	.set _ZN12_GLOBAL__N_135rocblas_gemm_batched_general_kernelIiLi16ELi16ELi32ELi32ELi8ELi32ELi8ELi8ELi32ELc78ELc84EKaKiiEEvlllT_PT11_llS5_llS3_PT12_llPT13_lli.num_agpr, 0
	.set _ZN12_GLOBAL__N_135rocblas_gemm_batched_general_kernelIiLi16ELi16ELi32ELi32ELi8ELi32ELi8ELi8ELi32ELc78ELc84EKaKiiEEvlllT_PT11_llS5_llS3_PT12_llPT13_lli.numbered_sgpr, 44
	.set _ZN12_GLOBAL__N_135rocblas_gemm_batched_general_kernelIiLi16ELi16ELi32ELi32ELi8ELi32ELi8ELi8ELi32ELc78ELc84EKaKiiEEvlllT_PT11_llS5_llS3_PT12_llPT13_lli.num_named_barrier, 0
	.set _ZN12_GLOBAL__N_135rocblas_gemm_batched_general_kernelIiLi16ELi16ELi32ELi32ELi8ELi32ELi8ELi8ELi32ELc78ELc84EKaKiiEEvlllT_PT11_llS5_llS3_PT12_llPT13_lli.private_seg_size, 0
	.set _ZN12_GLOBAL__N_135rocblas_gemm_batched_general_kernelIiLi16ELi16ELi32ELi32ELi8ELi32ELi8ELi8ELi32ELc78ELc84EKaKiiEEvlllT_PT11_llS5_llS3_PT12_llPT13_lli.uses_vcc, 1
	.set _ZN12_GLOBAL__N_135rocblas_gemm_batched_general_kernelIiLi16ELi16ELi32ELi32ELi8ELi32ELi8ELi8ELi32ELc78ELc84EKaKiiEEvlllT_PT11_llS5_llS3_PT12_llPT13_lli.uses_flat_scratch, 0
	.set _ZN12_GLOBAL__N_135rocblas_gemm_batched_general_kernelIiLi16ELi16ELi32ELi32ELi8ELi32ELi8ELi8ELi32ELc78ELc84EKaKiiEEvlllT_PT11_llS5_llS3_PT12_llPT13_lli.has_dyn_sized_stack, 0
	.set _ZN12_GLOBAL__N_135rocblas_gemm_batched_general_kernelIiLi16ELi16ELi32ELi32ELi8ELi32ELi8ELi8ELi32ELc78ELc84EKaKiiEEvlllT_PT11_llS5_llS3_PT12_llPT13_lli.has_recursion, 0
	.set _ZN12_GLOBAL__N_135rocblas_gemm_batched_general_kernelIiLi16ELi16ELi32ELi32ELi8ELi32ELi8ELi8ELi32ELc78ELc84EKaKiiEEvlllT_PT11_llS5_llS3_PT12_llPT13_lli.has_indirect_call, 0
	.section	.AMDGPU.csdata,"",@progbits
; Kernel info:
; codeLenInByte = 1876
; TotalNumSgprs: 46
; NumVgprs: 48
; ScratchSize: 0
; MemoryBound: 0
; FloatMode: 240
; IeeeMode: 1
; LDSByteSize: 2048 bytes/workgroup (compile time only)
; SGPRBlocks: 0
; VGPRBlocks: 2
; NumSGPRsForWavesPerEU: 46
; NumVGPRsForWavesPerEU: 48
; NamedBarCnt: 0
; Occupancy: 16
; WaveLimiterHint : 0
; COMPUTE_PGM_RSRC2:SCRATCH_EN: 0
; COMPUTE_PGM_RSRC2:USER_SGPR: 2
; COMPUTE_PGM_RSRC2:TRAP_HANDLER: 0
; COMPUTE_PGM_RSRC2:TGID_X_EN: 1
; COMPUTE_PGM_RSRC2:TGID_Y_EN: 1
; COMPUTE_PGM_RSRC2:TGID_Z_EN: 1
; COMPUTE_PGM_RSRC2:TIDIG_COMP_CNT: 1
	.section	.text._ZN12_GLOBAL__N_135rocblas_gemm_batched_general_kernelIiLi16ELi16ELi32ELi32ELi8ELi32ELi8ELi8ELi32ELc84ELc84EKaKiiEEvlllT_PT11_llS5_llS3_PT12_llPT13_lli,"axG",@progbits,_ZN12_GLOBAL__N_135rocblas_gemm_batched_general_kernelIiLi16ELi16ELi32ELi32ELi8ELi32ELi8ELi8ELi32ELc84ELc84EKaKiiEEvlllT_PT11_llS5_llS3_PT12_llPT13_lli,comdat
	.globl	_ZN12_GLOBAL__N_135rocblas_gemm_batched_general_kernelIiLi16ELi16ELi32ELi32ELi8ELi32ELi8ELi8ELi32ELc84ELc84EKaKiiEEvlllT_PT11_llS5_llS3_PT12_llPT13_lli ; -- Begin function _ZN12_GLOBAL__N_135rocblas_gemm_batched_general_kernelIiLi16ELi16ELi32ELi32ELi8ELi32ELi8ELi8ELi32ELc84ELc84EKaKiiEEvlllT_PT11_llS5_llS3_PT12_llPT13_lli
	.p2align	8
	.type	_ZN12_GLOBAL__N_135rocblas_gemm_batched_general_kernelIiLi16ELi16ELi32ELi32ELi8ELi32ELi8ELi8ELi32ELc84ELc84EKaKiiEEvlllT_PT11_llS5_llS3_PT12_llPT13_lli,@function
_ZN12_GLOBAL__N_135rocblas_gemm_batched_general_kernelIiLi16ELi16ELi32ELi32ELi8ELi32ELi8ELi8ELi32ELc84ELc84EKaKiiEEvlllT_PT11_llS5_llS3_PT12_llPT13_lli: ; @_ZN12_GLOBAL__N_135rocblas_gemm_batched_general_kernelIiLi16ELi16ELi32ELi32ELi8ELi32ELi8ELi8ELi32ELc84ELc84EKaKiiEEvlllT_PT11_llS5_llS3_PT12_llPT13_lli
; %bb.0:
	s_load_b32 s33, s[0:1], 0x88
	s_bfe_u32 s2, ttmp6, 0x40014
	s_lshr_b32 s3, ttmp7, 16
	s_add_co_i32 s2, s2, 1
	s_bfe_u32 s5, ttmp6, 0x40008
	s_mul_i32 s4, s3, s2
	s_getreg_b32 s2, hwreg(HW_REG_IB_STS2, 6, 4)
	s_add_co_i32 s5, s5, s4
	s_cmp_eq_u32 s2, 0
	s_mov_b32 s35, 0
	s_cselect_b32 s34, s3, s5
	s_wait_kmcnt 0x0
	s_cmp_ge_i32 s34, s33
	s_cbranch_scc1 .LBB494_34
; %bb.1:
	v_bfe_u32 v8, v0, 10, 10
	v_and_b32_e32 v10, 0x3ff, v0
	s_bfe_u32 s3, ttmp6, 0x4000c
	s_bfe_u32 s37, ttmp6, 0x40010
	s_clause 0x4
	s_load_b128 s[4:7], s[0:1], 0x0
	s_load_b256 s[8:15], s[0:1], 0x20
	s_load_b128 s[24:27], s[0:1], 0x40
	s_load_b128 s[28:31], s[0:1], 0x78
	s_load_b256 s[16:23], s[0:1], 0x58
	s_add_co_i32 s3, s3, 1
	s_and_b32 s38, ttmp7, 0xffff
	s_add_co_i32 s37, s37, 1
	s_and_b32 s36, ttmp6, 15
	s_mul_i32 s3, ttmp9, s3
	s_mul_i32 s37, s38, s37
	s_bfe_u32 s39, ttmp6, 0x40004
	v_lshl_add_u32 v1, v8, 4, v10
	s_add_co_i32 s36, s36, s3
	s_add_co_i32 s39, s39, s37
	s_cmp_eq_u32 s2, 0
	s_delay_alu instid0(VALU_DEP_1)
	v_dual_mov_b32 v9, 0 :: v_dual_bitop2_b32 v4, 31, v1 bitop3:0x40
	s_cselect_b32 s3, s38, s39
	s_cselect_b32 s2, ttmp9, s36
	s_lshl_b32 s42, s3, 5
	s_ashr_i32 s3, s2, 31
	s_mov_b32 s43, s35
	s_lshl_b64 s[2:3], s[2:3], 5
	v_add_nc_u64_e32 v[12:13], s[42:43], v[8:9]
	v_dual_mov_b32 v3, v9 :: v_dual_lshrrev_b32 v2, 5, v1
	v_dual_lshrrev_b32 v6, 3, v1 :: v_dual_bitop2_b32 v14, s2, v4 bitop3:0x54
	v_dual_mov_b32 v7, v9 :: v_dual_bitop2_b32 v0, 7, v0 bitop3:0x40
	s_wait_kmcnt 0x0
	s_delay_alu instid0(VALU_DEP_4) | instskip(NEXT) | instid1(VALU_DEP_3)
	v_mul_u64_e32 v[16:17], s[18:19], v[12:13]
	v_mad_nc_u64_u32 v[18:19], s10, v14, v[2:3]
	v_dual_mov_b32 v15, s3 :: v_dual_lshlrev_b32 v24, 2, v4
	v_mul_u64_e32 v[4:5], s[28:29], v[12:13]
	v_mad_nc_u64_u32 v[22:23], s24, v0, v[6:7]
	v_dual_mov_b32 v11, v9 :: v_dual_lshlrev_b32 v1, 2, v0
	s_clause 0x1
	s_load_b96 s[36:38], s[0:1], 0x10
	s_load_b32 s39, s[0:1], 0x50
	v_add_nc_u64_e32 v[20:21], s[42:43], v[6:7]
	s_wait_xcnt 0x0
	v_cmp_gt_i64_e64 s0, s[4:5], v[14:15]
	v_mad_u32 v19, s11, v14, v19
	v_lshl_or_b32 v25, v6, 5, v1
	v_add_nc_u64_e32 v[6:7], s[2:3], v[10:11]
	v_dual_mov_b32 v1, v9 :: v_dual_lshlrev_b32 v26, 2, v10
	v_mad_u32 v23, s25, v0, v23
	v_add_nc_u64_e32 v[14:15], 16, v[12:13]
	v_cmp_gt_i64_e64 s1, s[6:7], v[20:21]
	v_cmp_gt_i64_e64 s2, s[6:7], v[12:13]
	v_add_nc_u64_e32 v[10:11], 16, v[6:7]
	v_lshl_add_u32 v27, v8, 5, 0x400
	v_mad_u32 v19, s10, s3, v19
	v_cmp_gt_i64_e64 s3, s[4:5], v[6:7]
	v_lshl_or_b32 v24, v2, 7, v24
	v_add_nc_u32_e32 v25, 0x400, v25
	v_cmp_gt_i64_e64 s4, s[4:5], v[10:11]
	v_cmp_gt_i64_e64 s5, s[6:7], v[14:15]
	s_add_nc_u64 s[6:7], s[14:15], s[42:43]
	s_wait_kmcnt 0x0
	s_cmp_lg_u32 s39, 0
	v_lshl_add_u64 v[8:9], v[16:17], 2, s[16:17]
	v_add_nc_u64_e32 v[10:11], s[6:7], v[22:23]
	v_add_nc_u64_e32 v[12:13], s[8:9], v[18:19]
	v_cmp_gt_i64_e64 s16, s[36:37], 0
	s_cselect_b32 s40, -1, 0
	s_lshl_b64 s[6:7], s[18:19], 4
	s_lshl_b64 s[8:9], s[28:29], 4
	;; [unrolled: 1-line block ×3, first 2 shown]
	s_branch .LBB494_4
.LBB494_2:                              ;   in Loop: Header=BB494_4 Depth=1
	s_wait_xcnt 0x0
	s_or_b32 exec_lo, exec_lo, s17
.LBB494_3:                              ;   in Loop: Header=BB494_4 Depth=1
	s_add_co_i32 s34, s34, 0x10000
	s_delay_alu instid0(SALU_CYCLE_1)
	s_cmp_lt_i32 s34, s33
	s_cbranch_scc0 .LBB494_34
.LBB494_4:                              ; =>This Loop Header: Depth=1
                                        ;     Child Loop BB494_7 Depth 2
	v_dual_mov_b32 v30, 0 :: v_dual_mov_b32 v31, 0
	v_dual_mov_b32 v28, 0 :: v_dual_mov_b32 v29, 0
	s_and_not1_b32 vcc_lo, exec_lo, s16
	s_cbranch_vccnz .LBB494_11
; %bb.5:                                ;   in Loop: Header=BB494_4 Depth=1
	v_mad_nc_u64_u32 v[14:15], s26, s34, v[10:11]
	v_mad_nc_u64_u32 v[16:17], s12, s34, v[12:13]
	v_dual_mov_b32 v31, 0 :: v_dual_mov_b32 v30, 0
	v_dual_mov_b32 v29, 0 :: v_dual_mov_b32 v28, 0
	s_mov_b64 s[14:15], 0
	s_delay_alu instid0(VALU_DEP_4) | instskip(NEXT) | instid1(VALU_DEP_4)
	v_mad_u32 v15, s27, s34, v15
	v_mad_u32 v17, s13, s34, v17
	s_branch .LBB494_7
.LBB494_6:                              ;   in Loop: Header=BB494_7 Depth=2
	s_wait_xcnt 0x0
	s_or_b32 exec_lo, exec_lo, s17
	s_wait_loadcnt 0x0
	ds_store_b32 v25, v19
	s_wait_dscnt 0x0
	s_barrier_signal -1
	s_barrier_wait -1
	ds_load_b128 v[18:21], v27
	ds_load_2addr_b32 v[22:23], v26 offset1:16
	ds_load_b128 v[32:35], v27 offset:512
	ds_load_2addr_b32 v[44:45], v26 offset0:32 offset1:48
	ds_load_b128 v[36:39], v27 offset:16
	ds_load_2addr_b32 v[46:47], v26 offset0:64 offset1:80
	ds_load_b128 v[40:43], v27 offset:528
	s_add_nc_u64 s[14:15], s[14:15], 8
	v_add_nc_u64_e32 v[14:15], s[10:11], v[14:15]
	v_cmp_lt_i64_e64 s17, s[14:15], s[36:37]
	s_and_b32 vcc_lo, exec_lo, s17
	s_wait_dscnt 0x5
	v_mad_u32 v31, v18, v22, v31
	v_mad_u32 v18, v18, v23, v30
	s_wait_dscnt 0x4
	v_mad_u32 v29, v32, v22, v29
	v_mad_u32 v28, v32, v23, v28
	ds_load_2addr_b32 v[22:23], v26 offset0:96 offset1:112
	s_wait_dscnt 0x4
	v_mad_u32 v30, v19, v44, v31
	v_mad_u32 v31, v19, v45, v18
	v_mad_u32 v29, v33, v44, v29
	v_mad_u32 v28, v33, v45, v28
	ds_load_2addr_b32 v[18:19], v26 offset0:128 offset1:144
	s_wait_dscnt 0x3
	v_mad_u32 v30, v20, v46, v30
	v_mad_u32 v20, v20, v47, v31
	;; [unrolled: 6-line block ×4, first 2 shown]
	v_mad_u32 v22, v40, v18, v22
	v_mad_u32 v23, v40, v19, v23
	ds_load_2addr_b32 v[18:19], v26 offset0:224 offset1:240
	s_wait_dscnt 0x0
	s_barrier_signal -1
	s_barrier_wait -1
	v_mad_u32 v30, v37, v28, v30
	v_mad_u32 v31, v37, v29, v31
	;; [unrolled: 1-line block ×4, first 2 shown]
	s_delay_alu instid0(VALU_DEP_4) | instskip(NEXT) | instid1(VALU_DEP_4)
	v_mad_u32 v28, v38, v20, v30
	v_mad_u32 v29, v38, v21, v31
	s_delay_alu instid0(VALU_DEP_4) | instskip(NEXT) | instid1(VALU_DEP_4)
	v_mad_u32 v20, v42, v20, v22
	v_mad_u32 v21, v42, v21, v23
	;; [unrolled: 3-line block ×4, first 2 shown]
	s_cbranch_vccz .LBB494_11
.LBB494_7:                              ;   Parent Loop BB494_4 Depth=1
                                        ; =>  This Inner Loop Header: Depth=2
	v_add_nc_u64_e32 v[18:19], s[14:15], v[2:3]
	s_delay_alu instid0(VALU_DEP_1) | instskip(SKIP_2) | instid1(SALU_CYCLE_1)
	v_cmp_gt_i64_e32 vcc_lo, s[36:37], v[18:19]
	v_mov_b32_e32 v18, 0
	s_and_b32 s18, s0, vcc_lo
	s_and_saveexec_b32 s17, s18
	s_cbranch_execz .LBB494_9
; %bb.8:                                ;   in Loop: Header=BB494_7 Depth=2
	s_delay_alu instid0(VALU_DEP_4)
	v_add_nc_u64_e32 v[18:19], s[14:15], v[16:17]
	global_load_i8 v18, v[18:19], off
.LBB494_9:                              ;   in Loop: Header=BB494_7 Depth=2
	s_wait_xcnt 0x0
	s_or_b32 exec_lo, exec_lo, s17
	v_add_nc_u64_e32 v[20:21], s[14:15], v[0:1]
	v_mov_b32_e32 v19, 0
	s_wait_loadcnt 0x0
	ds_store_b32 v24, v18
	v_cmp_gt_i64_e32 vcc_lo, s[36:37], v[20:21]
	s_and_b32 s18, vcc_lo, s1
	s_delay_alu instid0(SALU_CYCLE_1)
	s_and_saveexec_b32 s17, s18
	s_cbranch_execz .LBB494_6
; %bb.10:                               ;   in Loop: Header=BB494_7 Depth=2
	global_load_i8 v19, v[14:15], off
	s_branch .LBB494_6
.LBB494_11:                             ;   in Loop: Header=BB494_4 Depth=1
	s_mul_u64 s[14:15], s[30:31], s[34:35]
	s_and_not1_b32 vcc_lo, exec_lo, s40
	s_lshl_b64 s[14:15], s[14:15], 2
	s_delay_alu instid0(SALU_CYCLE_1)
	s_add_nc_u64 s[14:15], s[22:23], s[14:15]
	s_cbranch_vccnz .LBB494_16
; %bb.12:                               ;   in Loop: Header=BB494_4 Depth=1
	s_and_saveexec_b32 s17, s2
	s_cbranch_execz .LBB494_23
; %bb.13:                               ;   in Loop: Header=BB494_4 Depth=1
	s_mul_u64 s[18:19], s[20:21], s[34:35]
	v_lshlrev_b64_e32 v[14:15], 2, v[6:7]
	v_lshl_add_u64 v[16:17], s[18:19], 2, v[8:9]
	v_lshl_add_u64 v[18:19], v[4:5], 2, s[14:15]
	s_delay_alu instid0(VALU_DEP_2) | instskip(NEXT) | instid1(VALU_DEP_2)
	v_add_nc_u64_e32 v[22:23], v[16:17], v[14:15]
	v_add_nc_u64_e32 v[20:21], v[18:19], v[14:15]
	s_and_saveexec_b32 s18, s3
	s_cbranch_execnz .LBB494_17
; %bb.14:                               ;   in Loop: Header=BB494_4 Depth=1
	s_or_b32 exec_lo, exec_lo, s18
	s_and_saveexec_b32 s18, s4
	s_cbranch_execnz .LBB494_18
.LBB494_15:                             ;   in Loop: Header=BB494_4 Depth=1
	s_or_b32 exec_lo, exec_lo, s18
	s_delay_alu instid0(SALU_CYCLE_1)
	s_and_b32 exec_lo, exec_lo, s5
	s_cbranch_execnz .LBB494_19
	s_branch .LBB494_23
.LBB494_16:                             ;   in Loop: Header=BB494_4 Depth=1
	s_branch .LBB494_24
.LBB494_17:                             ;   in Loop: Header=BB494_4 Depth=1
	global_load_b32 v32, v[22:23], off
	v_mul_lo_u32 v33, v31, s38
	s_wait_loadcnt 0x0
	s_delay_alu instid0(VALU_DEP_1)
	v_mad_u32 v32, v32, s39, v33
	global_store_b32 v[20:21], v32, off
	s_wait_xcnt 0x0
	s_or_b32 exec_lo, exec_lo, s18
	s_and_saveexec_b32 s18, s4
	s_cbranch_execz .LBB494_15
.LBB494_18:                             ;   in Loop: Header=BB494_4 Depth=1
	global_load_b32 v22, v[22:23], off offset:64
	s_wait_xcnt 0x0
	v_mul_lo_u32 v23, v30, s38
	s_wait_loadcnt 0x0
	s_delay_alu instid0(VALU_DEP_1) | instskip(SKIP_3) | instid1(SALU_CYCLE_1)
	v_mad_u32 v22, v22, s39, v23
	global_store_b32 v[20:21], v22, off offset:64
	s_wait_xcnt 0x0
	s_or_b32 exec_lo, exec_lo, s18
	s_and_b32 exec_lo, exec_lo, s5
	s_cbranch_execz .LBB494_23
.LBB494_19:                             ;   in Loop: Header=BB494_4 Depth=1
	v_lshl_add_u64 v[16:17], s[6:7], 2, v[16:17]
	v_lshl_add_u64 v[18:19], s[8:9], 2, v[18:19]
	s_delay_alu instid0(VALU_DEP_2) | instskip(NEXT) | instid1(VALU_DEP_2)
	v_add_nc_u64_e32 v[16:17], v[16:17], v[14:15]
	v_add_nc_u64_e32 v[14:15], v[18:19], v[14:15]
	s_and_saveexec_b32 s18, s3
	s_cbranch_execz .LBB494_21
; %bb.20:                               ;   in Loop: Header=BB494_4 Depth=1
	global_load_b32 v18, v[16:17], off
	v_mul_lo_u32 v19, v29, s38
	s_wait_loadcnt 0x0
	s_delay_alu instid0(VALU_DEP_1)
	v_mad_u32 v18, v18, s39, v19
	global_store_b32 v[14:15], v18, off
.LBB494_21:                             ;   in Loop: Header=BB494_4 Depth=1
	s_wait_xcnt 0x0
	s_or_b32 exec_lo, exec_lo, s18
	s_delay_alu instid0(SALU_CYCLE_1)
	s_and_b32 exec_lo, exec_lo, s4
	s_cbranch_execz .LBB494_23
; %bb.22:                               ;   in Loop: Header=BB494_4 Depth=1
	global_load_b32 v16, v[16:17], off offset:64
	s_wait_xcnt 0x0
	v_mul_lo_u32 v17, v28, s38
	s_wait_loadcnt 0x0
	s_delay_alu instid0(VALU_DEP_1)
	v_mad_u32 v16, v16, s39, v17
	global_store_b32 v[14:15], v16, off offset:64
.LBB494_23:                             ;   in Loop: Header=BB494_4 Depth=1
	s_wait_xcnt 0x0
	s_or_b32 exec_lo, exec_lo, s17
	s_cbranch_execnz .LBB494_3
.LBB494_24:                             ;   in Loop: Header=BB494_4 Depth=1
	s_and_saveexec_b32 s17, s2
	s_cbranch_execz .LBB494_2
; %bb.25:                               ;   in Loop: Header=BB494_4 Depth=1
	v_lshl_add_u64 v[14:15], v[4:5], 2, s[14:15]
	s_delay_alu instid0(VALU_DEP_1)
	v_lshl_add_u64 v[16:17], v[6:7], 2, v[14:15]
	s_and_saveexec_b32 s14, s3
	s_cbranch_execnz .LBB494_28
; %bb.26:                               ;   in Loop: Header=BB494_4 Depth=1
	s_or_b32 exec_lo, exec_lo, s14
	s_and_saveexec_b32 s14, s4
	s_cbranch_execnz .LBB494_29
.LBB494_27:                             ;   in Loop: Header=BB494_4 Depth=1
	s_or_b32 exec_lo, exec_lo, s14
	s_delay_alu instid0(SALU_CYCLE_1)
	s_and_b32 exec_lo, exec_lo, s5
	s_cbranch_execz .LBB494_2
	s_branch .LBB494_30
.LBB494_28:                             ;   in Loop: Header=BB494_4 Depth=1
	v_mul_lo_u32 v18, v31, s38
	global_store_b32 v[16:17], v18, off
	s_wait_xcnt 0x0
	s_or_b32 exec_lo, exec_lo, s14
	s_and_saveexec_b32 s14, s4
	s_cbranch_execz .LBB494_27
.LBB494_29:                             ;   in Loop: Header=BB494_4 Depth=1
	v_mul_lo_u32 v18, v30, s38
	global_store_b32 v[16:17], v18, off offset:64
	s_wait_xcnt 0x0
	s_or_b32 exec_lo, exec_lo, s14
	s_delay_alu instid0(SALU_CYCLE_1)
	s_and_b32 exec_lo, exec_lo, s5
	s_cbranch_execz .LBB494_2
.LBB494_30:                             ;   in Loop: Header=BB494_4 Depth=1
	v_lshl_add_u64 v[14:15], s[8:9], 2, v[14:15]
	s_delay_alu instid0(VALU_DEP_1)
	v_lshl_add_u64 v[14:15], v[6:7], 2, v[14:15]
	s_and_saveexec_b32 s14, s3
	s_cbranch_execz .LBB494_32
; %bb.31:                               ;   in Loop: Header=BB494_4 Depth=1
	v_mul_lo_u32 v16, v29, s38
	global_store_b32 v[14:15], v16, off
.LBB494_32:                             ;   in Loop: Header=BB494_4 Depth=1
	s_wait_xcnt 0x0
	s_or_b32 exec_lo, exec_lo, s14
	s_delay_alu instid0(SALU_CYCLE_1)
	s_and_b32 exec_lo, exec_lo, s4
	s_cbranch_execz .LBB494_2
; %bb.33:                               ;   in Loop: Header=BB494_4 Depth=1
	v_mul_lo_u32 v16, v28, s38
	global_store_b32 v[14:15], v16, off offset:64
	s_branch .LBB494_2
.LBB494_34:
	s_endpgm
	.section	.rodata,"a",@progbits
	.p2align	6, 0x0
	.amdhsa_kernel _ZN12_GLOBAL__N_135rocblas_gemm_batched_general_kernelIiLi16ELi16ELi32ELi32ELi8ELi32ELi8ELi8ELi32ELc84ELc84EKaKiiEEvlllT_PT11_llS5_llS3_PT12_llPT13_lli
		.amdhsa_group_segment_fixed_size 2048
		.amdhsa_private_segment_fixed_size 0
		.amdhsa_kernarg_size 140
		.amdhsa_user_sgpr_count 2
		.amdhsa_user_sgpr_dispatch_ptr 0
		.amdhsa_user_sgpr_queue_ptr 0
		.amdhsa_user_sgpr_kernarg_segment_ptr 1
		.amdhsa_user_sgpr_dispatch_id 0
		.amdhsa_user_sgpr_kernarg_preload_length 0
		.amdhsa_user_sgpr_kernarg_preload_offset 0
		.amdhsa_user_sgpr_private_segment_size 0
		.amdhsa_wavefront_size32 1
		.amdhsa_uses_dynamic_stack 0
		.amdhsa_enable_private_segment 0
		.amdhsa_system_sgpr_workgroup_id_x 1
		.amdhsa_system_sgpr_workgroup_id_y 1
		.amdhsa_system_sgpr_workgroup_id_z 1
		.amdhsa_system_sgpr_workgroup_info 0
		.amdhsa_system_vgpr_workitem_id 1
		.amdhsa_next_free_vgpr 48
		.amdhsa_next_free_sgpr 44
		.amdhsa_named_barrier_count 0
		.amdhsa_reserve_vcc 1
		.amdhsa_float_round_mode_32 0
		.amdhsa_float_round_mode_16_64 0
		.amdhsa_float_denorm_mode_32 3
		.amdhsa_float_denorm_mode_16_64 3
		.amdhsa_fp16_overflow 0
		.amdhsa_memory_ordered 1
		.amdhsa_forward_progress 1
		.amdhsa_inst_pref_size 15
		.amdhsa_round_robin_scheduling 0
		.amdhsa_exception_fp_ieee_invalid_op 0
		.amdhsa_exception_fp_denorm_src 0
		.amdhsa_exception_fp_ieee_div_zero 0
		.amdhsa_exception_fp_ieee_overflow 0
		.amdhsa_exception_fp_ieee_underflow 0
		.amdhsa_exception_fp_ieee_inexact 0
		.amdhsa_exception_int_div_zero 0
	.end_amdhsa_kernel
	.section	.text._ZN12_GLOBAL__N_135rocblas_gemm_batched_general_kernelIiLi16ELi16ELi32ELi32ELi8ELi32ELi8ELi8ELi32ELc84ELc84EKaKiiEEvlllT_PT11_llS5_llS3_PT12_llPT13_lli,"axG",@progbits,_ZN12_GLOBAL__N_135rocblas_gemm_batched_general_kernelIiLi16ELi16ELi32ELi32ELi8ELi32ELi8ELi8ELi32ELc84ELc84EKaKiiEEvlllT_PT11_llS5_llS3_PT12_llPT13_lli,comdat
.Lfunc_end494:
	.size	_ZN12_GLOBAL__N_135rocblas_gemm_batched_general_kernelIiLi16ELi16ELi32ELi32ELi8ELi32ELi8ELi8ELi32ELc84ELc84EKaKiiEEvlllT_PT11_llS5_llS3_PT12_llPT13_lli, .Lfunc_end494-_ZN12_GLOBAL__N_135rocblas_gemm_batched_general_kernelIiLi16ELi16ELi32ELi32ELi8ELi32ELi8ELi8ELi32ELc84ELc84EKaKiiEEvlllT_PT11_llS5_llS3_PT12_llPT13_lli
                                        ; -- End function
	.set _ZN12_GLOBAL__N_135rocblas_gemm_batched_general_kernelIiLi16ELi16ELi32ELi32ELi8ELi32ELi8ELi8ELi32ELc84ELc84EKaKiiEEvlllT_PT11_llS5_llS3_PT12_llPT13_lli.num_vgpr, 48
	.set _ZN12_GLOBAL__N_135rocblas_gemm_batched_general_kernelIiLi16ELi16ELi32ELi32ELi8ELi32ELi8ELi8ELi32ELc84ELc84EKaKiiEEvlllT_PT11_llS5_llS3_PT12_llPT13_lli.num_agpr, 0
	.set _ZN12_GLOBAL__N_135rocblas_gemm_batched_general_kernelIiLi16ELi16ELi32ELi32ELi8ELi32ELi8ELi8ELi32ELc84ELc84EKaKiiEEvlllT_PT11_llS5_llS3_PT12_llPT13_lli.numbered_sgpr, 44
	.set _ZN12_GLOBAL__N_135rocblas_gemm_batched_general_kernelIiLi16ELi16ELi32ELi32ELi8ELi32ELi8ELi8ELi32ELc84ELc84EKaKiiEEvlllT_PT11_llS5_llS3_PT12_llPT13_lli.num_named_barrier, 0
	.set _ZN12_GLOBAL__N_135rocblas_gemm_batched_general_kernelIiLi16ELi16ELi32ELi32ELi8ELi32ELi8ELi8ELi32ELc84ELc84EKaKiiEEvlllT_PT11_llS5_llS3_PT12_llPT13_lli.private_seg_size, 0
	.set _ZN12_GLOBAL__N_135rocblas_gemm_batched_general_kernelIiLi16ELi16ELi32ELi32ELi8ELi32ELi8ELi8ELi32ELc84ELc84EKaKiiEEvlllT_PT11_llS5_llS3_PT12_llPT13_lli.uses_vcc, 1
	.set _ZN12_GLOBAL__N_135rocblas_gemm_batched_general_kernelIiLi16ELi16ELi32ELi32ELi8ELi32ELi8ELi8ELi32ELc84ELc84EKaKiiEEvlllT_PT11_llS5_llS3_PT12_llPT13_lli.uses_flat_scratch, 0
	.set _ZN12_GLOBAL__N_135rocblas_gemm_batched_general_kernelIiLi16ELi16ELi32ELi32ELi8ELi32ELi8ELi8ELi32ELc84ELc84EKaKiiEEvlllT_PT11_llS5_llS3_PT12_llPT13_lli.has_dyn_sized_stack, 0
	.set _ZN12_GLOBAL__N_135rocblas_gemm_batched_general_kernelIiLi16ELi16ELi32ELi32ELi8ELi32ELi8ELi8ELi32ELc84ELc84EKaKiiEEvlllT_PT11_llS5_llS3_PT12_llPT13_lli.has_recursion, 0
	.set _ZN12_GLOBAL__N_135rocblas_gemm_batched_general_kernelIiLi16ELi16ELi32ELi32ELi8ELi32ELi8ELi8ELi32ELc84ELc84EKaKiiEEvlllT_PT11_llS5_llS3_PT12_llPT13_lli.has_indirect_call, 0
	.section	.AMDGPU.csdata,"",@progbits
; Kernel info:
; codeLenInByte = 1876
; TotalNumSgprs: 46
; NumVgprs: 48
; ScratchSize: 0
; MemoryBound: 0
; FloatMode: 240
; IeeeMode: 1
; LDSByteSize: 2048 bytes/workgroup (compile time only)
; SGPRBlocks: 0
; VGPRBlocks: 2
; NumSGPRsForWavesPerEU: 46
; NumVGPRsForWavesPerEU: 48
; NamedBarCnt: 0
; Occupancy: 16
; WaveLimiterHint : 0
; COMPUTE_PGM_RSRC2:SCRATCH_EN: 0
; COMPUTE_PGM_RSRC2:USER_SGPR: 2
; COMPUTE_PGM_RSRC2:TRAP_HANDLER: 0
; COMPUTE_PGM_RSRC2:TGID_X_EN: 1
; COMPUTE_PGM_RSRC2:TGID_Y_EN: 1
; COMPUTE_PGM_RSRC2:TGID_Z_EN: 1
; COMPUTE_PGM_RSRC2:TIDIG_COMP_CNT: 1
	.section	.text._ZN12_GLOBAL__N_135rocblas_gemm_batched_general_kernelIiLi16ELi16ELi32ELi32ELi8ELi32ELi8ELi8ELi32ELc67ELc67EKaKiiEEvlllT_PT11_llS5_llS3_PT12_llPT13_lli,"axG",@progbits,_ZN12_GLOBAL__N_135rocblas_gemm_batched_general_kernelIiLi16ELi16ELi32ELi32ELi8ELi32ELi8ELi8ELi32ELc67ELc67EKaKiiEEvlllT_PT11_llS5_llS3_PT12_llPT13_lli,comdat
	.globl	_ZN12_GLOBAL__N_135rocblas_gemm_batched_general_kernelIiLi16ELi16ELi32ELi32ELi8ELi32ELi8ELi8ELi32ELc67ELc67EKaKiiEEvlllT_PT11_llS5_llS3_PT12_llPT13_lli ; -- Begin function _ZN12_GLOBAL__N_135rocblas_gemm_batched_general_kernelIiLi16ELi16ELi32ELi32ELi8ELi32ELi8ELi8ELi32ELc67ELc67EKaKiiEEvlllT_PT11_llS5_llS3_PT12_llPT13_lli
	.p2align	8
	.type	_ZN12_GLOBAL__N_135rocblas_gemm_batched_general_kernelIiLi16ELi16ELi32ELi32ELi8ELi32ELi8ELi8ELi32ELc67ELc67EKaKiiEEvlllT_PT11_llS5_llS3_PT12_llPT13_lli,@function
_ZN12_GLOBAL__N_135rocblas_gemm_batched_general_kernelIiLi16ELi16ELi32ELi32ELi8ELi32ELi8ELi8ELi32ELc67ELc67EKaKiiEEvlllT_PT11_llS5_llS3_PT12_llPT13_lli: ; @_ZN12_GLOBAL__N_135rocblas_gemm_batched_general_kernelIiLi16ELi16ELi32ELi32ELi8ELi32ELi8ELi8ELi32ELc67ELc67EKaKiiEEvlllT_PT11_llS5_llS3_PT12_llPT13_lli
; %bb.0:
	s_load_b32 s33, s[0:1], 0x88
	s_bfe_u32 s2, ttmp6, 0x40014
	s_lshr_b32 s3, ttmp7, 16
	s_add_co_i32 s2, s2, 1
	s_bfe_u32 s5, ttmp6, 0x40008
	s_mul_i32 s4, s3, s2
	s_getreg_b32 s2, hwreg(HW_REG_IB_STS2, 6, 4)
	s_add_co_i32 s5, s5, s4
	s_cmp_eq_u32 s2, 0
	s_mov_b32 s35, 0
	s_cselect_b32 s34, s3, s5
	s_wait_kmcnt 0x0
	s_cmp_ge_i32 s34, s33
	s_cbranch_scc1 .LBB495_34
; %bb.1:
	v_bfe_u32 v8, v0, 10, 10
	v_and_b32_e32 v10, 0x3ff, v0
	s_bfe_u32 s3, ttmp6, 0x4000c
	s_bfe_u32 s37, ttmp6, 0x40010
	s_clause 0x4
	s_load_b128 s[4:7], s[0:1], 0x0
	s_load_b256 s[8:15], s[0:1], 0x20
	s_load_b128 s[24:27], s[0:1], 0x40
	s_load_b128 s[28:31], s[0:1], 0x78
	s_load_b256 s[16:23], s[0:1], 0x58
	s_add_co_i32 s3, s3, 1
	s_and_b32 s38, ttmp7, 0xffff
	s_add_co_i32 s37, s37, 1
	s_and_b32 s36, ttmp6, 15
	s_mul_i32 s3, ttmp9, s3
	s_mul_i32 s37, s38, s37
	s_bfe_u32 s39, ttmp6, 0x40004
	v_lshl_add_u32 v1, v8, 4, v10
	s_add_co_i32 s36, s36, s3
	s_add_co_i32 s39, s39, s37
	s_cmp_eq_u32 s2, 0
	s_delay_alu instid0(VALU_DEP_1)
	v_dual_mov_b32 v9, 0 :: v_dual_bitop2_b32 v4, 31, v1 bitop3:0x40
	s_cselect_b32 s3, s38, s39
	s_cselect_b32 s2, ttmp9, s36
	s_lshl_b32 s42, s3, 5
	s_ashr_i32 s3, s2, 31
	s_mov_b32 s43, s35
	s_lshl_b64 s[2:3], s[2:3], 5
	v_add_nc_u64_e32 v[12:13], s[42:43], v[8:9]
	v_dual_mov_b32 v3, v9 :: v_dual_lshrrev_b32 v2, 5, v1
	v_dual_lshrrev_b32 v6, 3, v1 :: v_dual_bitop2_b32 v14, s2, v4 bitop3:0x54
	v_dual_mov_b32 v7, v9 :: v_dual_bitop2_b32 v0, 7, v0 bitop3:0x40
	s_wait_kmcnt 0x0
	s_delay_alu instid0(VALU_DEP_4) | instskip(NEXT) | instid1(VALU_DEP_3)
	v_mul_u64_e32 v[16:17], s[18:19], v[12:13]
	v_mad_nc_u64_u32 v[18:19], s10, v14, v[2:3]
	v_dual_mov_b32 v15, s3 :: v_dual_lshlrev_b32 v24, 2, v4
	v_mul_u64_e32 v[4:5], s[28:29], v[12:13]
	v_mad_nc_u64_u32 v[22:23], s24, v0, v[6:7]
	v_dual_mov_b32 v11, v9 :: v_dual_lshlrev_b32 v1, 2, v0
	s_clause 0x1
	s_load_b96 s[36:38], s[0:1], 0x10
	s_load_b32 s39, s[0:1], 0x50
	v_add_nc_u64_e32 v[20:21], s[42:43], v[6:7]
	s_wait_xcnt 0x0
	v_cmp_gt_i64_e64 s0, s[4:5], v[14:15]
	v_mad_u32 v19, s11, v14, v19
	v_lshl_or_b32 v25, v6, 5, v1
	v_add_nc_u64_e32 v[6:7], s[2:3], v[10:11]
	v_dual_mov_b32 v1, v9 :: v_dual_lshlrev_b32 v26, 2, v10
	v_mad_u32 v23, s25, v0, v23
	v_add_nc_u64_e32 v[14:15], 16, v[12:13]
	v_cmp_gt_i64_e64 s1, s[6:7], v[20:21]
	v_cmp_gt_i64_e64 s2, s[6:7], v[12:13]
	v_add_nc_u64_e32 v[10:11], 16, v[6:7]
	v_lshl_add_u32 v27, v8, 5, 0x400
	v_mad_u32 v19, s10, s3, v19
	v_cmp_gt_i64_e64 s3, s[4:5], v[6:7]
	v_lshl_or_b32 v24, v2, 7, v24
	v_add_nc_u32_e32 v25, 0x400, v25
	v_cmp_gt_i64_e64 s4, s[4:5], v[10:11]
	v_cmp_gt_i64_e64 s5, s[6:7], v[14:15]
	s_add_nc_u64 s[6:7], s[14:15], s[42:43]
	s_wait_kmcnt 0x0
	s_cmp_lg_u32 s39, 0
	v_lshl_add_u64 v[8:9], v[16:17], 2, s[16:17]
	v_add_nc_u64_e32 v[10:11], s[6:7], v[22:23]
	v_add_nc_u64_e32 v[12:13], s[8:9], v[18:19]
	v_cmp_gt_i64_e64 s16, s[36:37], 0
	s_cselect_b32 s40, -1, 0
	s_lshl_b64 s[6:7], s[18:19], 4
	s_lshl_b64 s[8:9], s[28:29], 4
	;; [unrolled: 1-line block ×3, first 2 shown]
	s_branch .LBB495_4
.LBB495_2:                              ;   in Loop: Header=BB495_4 Depth=1
	s_wait_xcnt 0x0
	s_or_b32 exec_lo, exec_lo, s17
.LBB495_3:                              ;   in Loop: Header=BB495_4 Depth=1
	s_add_co_i32 s34, s34, 0x10000
	s_delay_alu instid0(SALU_CYCLE_1)
	s_cmp_lt_i32 s34, s33
	s_cbranch_scc0 .LBB495_34
.LBB495_4:                              ; =>This Loop Header: Depth=1
                                        ;     Child Loop BB495_7 Depth 2
	v_dual_mov_b32 v30, 0 :: v_dual_mov_b32 v31, 0
	v_dual_mov_b32 v28, 0 :: v_dual_mov_b32 v29, 0
	s_and_not1_b32 vcc_lo, exec_lo, s16
	s_cbranch_vccnz .LBB495_11
; %bb.5:                                ;   in Loop: Header=BB495_4 Depth=1
	v_mad_nc_u64_u32 v[14:15], s26, s34, v[10:11]
	v_mad_nc_u64_u32 v[16:17], s12, s34, v[12:13]
	v_dual_mov_b32 v31, 0 :: v_dual_mov_b32 v30, 0
	v_dual_mov_b32 v29, 0 :: v_dual_mov_b32 v28, 0
	s_mov_b64 s[14:15], 0
	s_delay_alu instid0(VALU_DEP_4) | instskip(NEXT) | instid1(VALU_DEP_4)
	v_mad_u32 v15, s27, s34, v15
	v_mad_u32 v17, s13, s34, v17
	s_branch .LBB495_7
.LBB495_6:                              ;   in Loop: Header=BB495_7 Depth=2
	s_wait_xcnt 0x0
	s_or_b32 exec_lo, exec_lo, s17
	s_wait_loadcnt 0x0
	ds_store_b32 v25, v19
	s_wait_dscnt 0x0
	s_barrier_signal -1
	s_barrier_wait -1
	ds_load_b128 v[18:21], v27
	ds_load_2addr_b32 v[22:23], v26 offset1:16
	ds_load_b128 v[32:35], v27 offset:512
	ds_load_2addr_b32 v[44:45], v26 offset0:32 offset1:48
	ds_load_b128 v[36:39], v27 offset:16
	ds_load_2addr_b32 v[46:47], v26 offset0:64 offset1:80
	ds_load_b128 v[40:43], v27 offset:528
	s_add_nc_u64 s[14:15], s[14:15], 8
	v_add_nc_u64_e32 v[14:15], s[10:11], v[14:15]
	v_cmp_lt_i64_e64 s17, s[14:15], s[36:37]
	s_and_b32 vcc_lo, exec_lo, s17
	s_wait_dscnt 0x5
	v_mad_u32 v31, v18, v22, v31
	v_mad_u32 v18, v18, v23, v30
	s_wait_dscnt 0x4
	v_mad_u32 v29, v32, v22, v29
	v_mad_u32 v28, v32, v23, v28
	ds_load_2addr_b32 v[22:23], v26 offset0:96 offset1:112
	s_wait_dscnt 0x4
	v_mad_u32 v30, v19, v44, v31
	v_mad_u32 v31, v19, v45, v18
	v_mad_u32 v29, v33, v44, v29
	v_mad_u32 v28, v33, v45, v28
	ds_load_2addr_b32 v[18:19], v26 offset0:128 offset1:144
	s_wait_dscnt 0x3
	v_mad_u32 v30, v20, v46, v30
	v_mad_u32 v20, v20, v47, v31
	;; [unrolled: 6-line block ×4, first 2 shown]
	v_mad_u32 v22, v40, v18, v22
	v_mad_u32 v23, v40, v19, v23
	ds_load_2addr_b32 v[18:19], v26 offset0:224 offset1:240
	s_wait_dscnt 0x0
	s_barrier_signal -1
	s_barrier_wait -1
	v_mad_u32 v30, v37, v28, v30
	v_mad_u32 v31, v37, v29, v31
	;; [unrolled: 1-line block ×4, first 2 shown]
	s_delay_alu instid0(VALU_DEP_4) | instskip(NEXT) | instid1(VALU_DEP_4)
	v_mad_u32 v28, v38, v20, v30
	v_mad_u32 v29, v38, v21, v31
	s_delay_alu instid0(VALU_DEP_4) | instskip(NEXT) | instid1(VALU_DEP_4)
	v_mad_u32 v20, v42, v20, v22
	v_mad_u32 v21, v42, v21, v23
	;; [unrolled: 3-line block ×4, first 2 shown]
	s_cbranch_vccz .LBB495_11
.LBB495_7:                              ;   Parent Loop BB495_4 Depth=1
                                        ; =>  This Inner Loop Header: Depth=2
	v_add_nc_u64_e32 v[18:19], s[14:15], v[2:3]
	s_delay_alu instid0(VALU_DEP_1) | instskip(SKIP_2) | instid1(SALU_CYCLE_1)
	v_cmp_gt_i64_e32 vcc_lo, s[36:37], v[18:19]
	v_mov_b32_e32 v18, 0
	s_and_b32 s18, s0, vcc_lo
	s_and_saveexec_b32 s17, s18
	s_cbranch_execz .LBB495_9
; %bb.8:                                ;   in Loop: Header=BB495_7 Depth=2
	s_delay_alu instid0(VALU_DEP_4)
	v_add_nc_u64_e32 v[18:19], s[14:15], v[16:17]
	global_load_i8 v18, v[18:19], off
.LBB495_9:                              ;   in Loop: Header=BB495_7 Depth=2
	s_wait_xcnt 0x0
	s_or_b32 exec_lo, exec_lo, s17
	v_add_nc_u64_e32 v[20:21], s[14:15], v[0:1]
	v_mov_b32_e32 v19, 0
	s_wait_loadcnt 0x0
	ds_store_b32 v24, v18
	v_cmp_gt_i64_e32 vcc_lo, s[36:37], v[20:21]
	s_and_b32 s18, vcc_lo, s1
	s_delay_alu instid0(SALU_CYCLE_1)
	s_and_saveexec_b32 s17, s18
	s_cbranch_execz .LBB495_6
; %bb.10:                               ;   in Loop: Header=BB495_7 Depth=2
	global_load_i8 v19, v[14:15], off
	s_branch .LBB495_6
.LBB495_11:                             ;   in Loop: Header=BB495_4 Depth=1
	s_mul_u64 s[14:15], s[30:31], s[34:35]
	s_and_not1_b32 vcc_lo, exec_lo, s40
	s_lshl_b64 s[14:15], s[14:15], 2
	s_delay_alu instid0(SALU_CYCLE_1)
	s_add_nc_u64 s[14:15], s[22:23], s[14:15]
	s_cbranch_vccnz .LBB495_16
; %bb.12:                               ;   in Loop: Header=BB495_4 Depth=1
	s_and_saveexec_b32 s17, s2
	s_cbranch_execz .LBB495_23
; %bb.13:                               ;   in Loop: Header=BB495_4 Depth=1
	s_mul_u64 s[18:19], s[20:21], s[34:35]
	v_lshlrev_b64_e32 v[14:15], 2, v[6:7]
	v_lshl_add_u64 v[16:17], s[18:19], 2, v[8:9]
	v_lshl_add_u64 v[18:19], v[4:5], 2, s[14:15]
	s_delay_alu instid0(VALU_DEP_2) | instskip(NEXT) | instid1(VALU_DEP_2)
	v_add_nc_u64_e32 v[22:23], v[16:17], v[14:15]
	v_add_nc_u64_e32 v[20:21], v[18:19], v[14:15]
	s_and_saveexec_b32 s18, s3
	s_cbranch_execnz .LBB495_17
; %bb.14:                               ;   in Loop: Header=BB495_4 Depth=1
	s_or_b32 exec_lo, exec_lo, s18
	s_and_saveexec_b32 s18, s4
	s_cbranch_execnz .LBB495_18
.LBB495_15:                             ;   in Loop: Header=BB495_4 Depth=1
	s_or_b32 exec_lo, exec_lo, s18
	s_delay_alu instid0(SALU_CYCLE_1)
	s_and_b32 exec_lo, exec_lo, s5
	s_cbranch_execnz .LBB495_19
	s_branch .LBB495_23
.LBB495_16:                             ;   in Loop: Header=BB495_4 Depth=1
	s_branch .LBB495_24
.LBB495_17:                             ;   in Loop: Header=BB495_4 Depth=1
	global_load_b32 v32, v[22:23], off
	v_mul_lo_u32 v33, v31, s38
	s_wait_loadcnt 0x0
	s_delay_alu instid0(VALU_DEP_1)
	v_mad_u32 v32, v32, s39, v33
	global_store_b32 v[20:21], v32, off
	s_wait_xcnt 0x0
	s_or_b32 exec_lo, exec_lo, s18
	s_and_saveexec_b32 s18, s4
	s_cbranch_execz .LBB495_15
.LBB495_18:                             ;   in Loop: Header=BB495_4 Depth=1
	global_load_b32 v22, v[22:23], off offset:64
	s_wait_xcnt 0x0
	v_mul_lo_u32 v23, v30, s38
	s_wait_loadcnt 0x0
	s_delay_alu instid0(VALU_DEP_1) | instskip(SKIP_3) | instid1(SALU_CYCLE_1)
	v_mad_u32 v22, v22, s39, v23
	global_store_b32 v[20:21], v22, off offset:64
	s_wait_xcnt 0x0
	s_or_b32 exec_lo, exec_lo, s18
	s_and_b32 exec_lo, exec_lo, s5
	s_cbranch_execz .LBB495_23
.LBB495_19:                             ;   in Loop: Header=BB495_4 Depth=1
	v_lshl_add_u64 v[16:17], s[6:7], 2, v[16:17]
	v_lshl_add_u64 v[18:19], s[8:9], 2, v[18:19]
	s_delay_alu instid0(VALU_DEP_2) | instskip(NEXT) | instid1(VALU_DEP_2)
	v_add_nc_u64_e32 v[16:17], v[16:17], v[14:15]
	v_add_nc_u64_e32 v[14:15], v[18:19], v[14:15]
	s_and_saveexec_b32 s18, s3
	s_cbranch_execz .LBB495_21
; %bb.20:                               ;   in Loop: Header=BB495_4 Depth=1
	global_load_b32 v18, v[16:17], off
	v_mul_lo_u32 v19, v29, s38
	s_wait_loadcnt 0x0
	s_delay_alu instid0(VALU_DEP_1)
	v_mad_u32 v18, v18, s39, v19
	global_store_b32 v[14:15], v18, off
.LBB495_21:                             ;   in Loop: Header=BB495_4 Depth=1
	s_wait_xcnt 0x0
	s_or_b32 exec_lo, exec_lo, s18
	s_delay_alu instid0(SALU_CYCLE_1)
	s_and_b32 exec_lo, exec_lo, s4
	s_cbranch_execz .LBB495_23
; %bb.22:                               ;   in Loop: Header=BB495_4 Depth=1
	global_load_b32 v16, v[16:17], off offset:64
	s_wait_xcnt 0x0
	v_mul_lo_u32 v17, v28, s38
	s_wait_loadcnt 0x0
	s_delay_alu instid0(VALU_DEP_1)
	v_mad_u32 v16, v16, s39, v17
	global_store_b32 v[14:15], v16, off offset:64
.LBB495_23:                             ;   in Loop: Header=BB495_4 Depth=1
	s_wait_xcnt 0x0
	s_or_b32 exec_lo, exec_lo, s17
	s_cbranch_execnz .LBB495_3
.LBB495_24:                             ;   in Loop: Header=BB495_4 Depth=1
	s_and_saveexec_b32 s17, s2
	s_cbranch_execz .LBB495_2
; %bb.25:                               ;   in Loop: Header=BB495_4 Depth=1
	v_lshl_add_u64 v[14:15], v[4:5], 2, s[14:15]
	s_delay_alu instid0(VALU_DEP_1)
	v_lshl_add_u64 v[16:17], v[6:7], 2, v[14:15]
	s_and_saveexec_b32 s14, s3
	s_cbranch_execnz .LBB495_28
; %bb.26:                               ;   in Loop: Header=BB495_4 Depth=1
	s_or_b32 exec_lo, exec_lo, s14
	s_and_saveexec_b32 s14, s4
	s_cbranch_execnz .LBB495_29
.LBB495_27:                             ;   in Loop: Header=BB495_4 Depth=1
	s_or_b32 exec_lo, exec_lo, s14
	s_delay_alu instid0(SALU_CYCLE_1)
	s_and_b32 exec_lo, exec_lo, s5
	s_cbranch_execz .LBB495_2
	s_branch .LBB495_30
.LBB495_28:                             ;   in Loop: Header=BB495_4 Depth=1
	v_mul_lo_u32 v18, v31, s38
	global_store_b32 v[16:17], v18, off
	s_wait_xcnt 0x0
	s_or_b32 exec_lo, exec_lo, s14
	s_and_saveexec_b32 s14, s4
	s_cbranch_execz .LBB495_27
.LBB495_29:                             ;   in Loop: Header=BB495_4 Depth=1
	v_mul_lo_u32 v18, v30, s38
	global_store_b32 v[16:17], v18, off offset:64
	s_wait_xcnt 0x0
	s_or_b32 exec_lo, exec_lo, s14
	s_delay_alu instid0(SALU_CYCLE_1)
	s_and_b32 exec_lo, exec_lo, s5
	s_cbranch_execz .LBB495_2
.LBB495_30:                             ;   in Loop: Header=BB495_4 Depth=1
	v_lshl_add_u64 v[14:15], s[8:9], 2, v[14:15]
	s_delay_alu instid0(VALU_DEP_1)
	v_lshl_add_u64 v[14:15], v[6:7], 2, v[14:15]
	s_and_saveexec_b32 s14, s3
	s_cbranch_execz .LBB495_32
; %bb.31:                               ;   in Loop: Header=BB495_4 Depth=1
	v_mul_lo_u32 v16, v29, s38
	global_store_b32 v[14:15], v16, off
.LBB495_32:                             ;   in Loop: Header=BB495_4 Depth=1
	s_wait_xcnt 0x0
	s_or_b32 exec_lo, exec_lo, s14
	s_delay_alu instid0(SALU_CYCLE_1)
	s_and_b32 exec_lo, exec_lo, s4
	s_cbranch_execz .LBB495_2
; %bb.33:                               ;   in Loop: Header=BB495_4 Depth=1
	v_mul_lo_u32 v16, v28, s38
	global_store_b32 v[14:15], v16, off offset:64
	s_branch .LBB495_2
.LBB495_34:
	s_endpgm
	.section	.rodata,"a",@progbits
	.p2align	6, 0x0
	.amdhsa_kernel _ZN12_GLOBAL__N_135rocblas_gemm_batched_general_kernelIiLi16ELi16ELi32ELi32ELi8ELi32ELi8ELi8ELi32ELc67ELc67EKaKiiEEvlllT_PT11_llS5_llS3_PT12_llPT13_lli
		.amdhsa_group_segment_fixed_size 2048
		.amdhsa_private_segment_fixed_size 0
		.amdhsa_kernarg_size 140
		.amdhsa_user_sgpr_count 2
		.amdhsa_user_sgpr_dispatch_ptr 0
		.amdhsa_user_sgpr_queue_ptr 0
		.amdhsa_user_sgpr_kernarg_segment_ptr 1
		.amdhsa_user_sgpr_dispatch_id 0
		.amdhsa_user_sgpr_kernarg_preload_length 0
		.amdhsa_user_sgpr_kernarg_preload_offset 0
		.amdhsa_user_sgpr_private_segment_size 0
		.amdhsa_wavefront_size32 1
		.amdhsa_uses_dynamic_stack 0
		.amdhsa_enable_private_segment 0
		.amdhsa_system_sgpr_workgroup_id_x 1
		.amdhsa_system_sgpr_workgroup_id_y 1
		.amdhsa_system_sgpr_workgroup_id_z 1
		.amdhsa_system_sgpr_workgroup_info 0
		.amdhsa_system_vgpr_workitem_id 1
		.amdhsa_next_free_vgpr 48
		.amdhsa_next_free_sgpr 44
		.amdhsa_named_barrier_count 0
		.amdhsa_reserve_vcc 1
		.amdhsa_float_round_mode_32 0
		.amdhsa_float_round_mode_16_64 0
		.amdhsa_float_denorm_mode_32 3
		.amdhsa_float_denorm_mode_16_64 3
		.amdhsa_fp16_overflow 0
		.amdhsa_memory_ordered 1
		.amdhsa_forward_progress 1
		.amdhsa_inst_pref_size 15
		.amdhsa_round_robin_scheduling 0
		.amdhsa_exception_fp_ieee_invalid_op 0
		.amdhsa_exception_fp_denorm_src 0
		.amdhsa_exception_fp_ieee_div_zero 0
		.amdhsa_exception_fp_ieee_overflow 0
		.amdhsa_exception_fp_ieee_underflow 0
		.amdhsa_exception_fp_ieee_inexact 0
		.amdhsa_exception_int_div_zero 0
	.end_amdhsa_kernel
	.section	.text._ZN12_GLOBAL__N_135rocblas_gemm_batched_general_kernelIiLi16ELi16ELi32ELi32ELi8ELi32ELi8ELi8ELi32ELc67ELc67EKaKiiEEvlllT_PT11_llS5_llS3_PT12_llPT13_lli,"axG",@progbits,_ZN12_GLOBAL__N_135rocblas_gemm_batched_general_kernelIiLi16ELi16ELi32ELi32ELi8ELi32ELi8ELi8ELi32ELc67ELc67EKaKiiEEvlllT_PT11_llS5_llS3_PT12_llPT13_lli,comdat
.Lfunc_end495:
	.size	_ZN12_GLOBAL__N_135rocblas_gemm_batched_general_kernelIiLi16ELi16ELi32ELi32ELi8ELi32ELi8ELi8ELi32ELc67ELc67EKaKiiEEvlllT_PT11_llS5_llS3_PT12_llPT13_lli, .Lfunc_end495-_ZN12_GLOBAL__N_135rocblas_gemm_batched_general_kernelIiLi16ELi16ELi32ELi32ELi8ELi32ELi8ELi8ELi32ELc67ELc67EKaKiiEEvlllT_PT11_llS5_llS3_PT12_llPT13_lli
                                        ; -- End function
	.set _ZN12_GLOBAL__N_135rocblas_gemm_batched_general_kernelIiLi16ELi16ELi32ELi32ELi8ELi32ELi8ELi8ELi32ELc67ELc67EKaKiiEEvlllT_PT11_llS5_llS3_PT12_llPT13_lli.num_vgpr, 48
	.set _ZN12_GLOBAL__N_135rocblas_gemm_batched_general_kernelIiLi16ELi16ELi32ELi32ELi8ELi32ELi8ELi8ELi32ELc67ELc67EKaKiiEEvlllT_PT11_llS5_llS3_PT12_llPT13_lli.num_agpr, 0
	.set _ZN12_GLOBAL__N_135rocblas_gemm_batched_general_kernelIiLi16ELi16ELi32ELi32ELi8ELi32ELi8ELi8ELi32ELc67ELc67EKaKiiEEvlllT_PT11_llS5_llS3_PT12_llPT13_lli.numbered_sgpr, 44
	.set _ZN12_GLOBAL__N_135rocblas_gemm_batched_general_kernelIiLi16ELi16ELi32ELi32ELi8ELi32ELi8ELi8ELi32ELc67ELc67EKaKiiEEvlllT_PT11_llS5_llS3_PT12_llPT13_lli.num_named_barrier, 0
	.set _ZN12_GLOBAL__N_135rocblas_gemm_batched_general_kernelIiLi16ELi16ELi32ELi32ELi8ELi32ELi8ELi8ELi32ELc67ELc67EKaKiiEEvlllT_PT11_llS5_llS3_PT12_llPT13_lli.private_seg_size, 0
	.set _ZN12_GLOBAL__N_135rocblas_gemm_batched_general_kernelIiLi16ELi16ELi32ELi32ELi8ELi32ELi8ELi8ELi32ELc67ELc67EKaKiiEEvlllT_PT11_llS5_llS3_PT12_llPT13_lli.uses_vcc, 1
	.set _ZN12_GLOBAL__N_135rocblas_gemm_batched_general_kernelIiLi16ELi16ELi32ELi32ELi8ELi32ELi8ELi8ELi32ELc67ELc67EKaKiiEEvlllT_PT11_llS5_llS3_PT12_llPT13_lli.uses_flat_scratch, 0
	.set _ZN12_GLOBAL__N_135rocblas_gemm_batched_general_kernelIiLi16ELi16ELi32ELi32ELi8ELi32ELi8ELi8ELi32ELc67ELc67EKaKiiEEvlllT_PT11_llS5_llS3_PT12_llPT13_lli.has_dyn_sized_stack, 0
	.set _ZN12_GLOBAL__N_135rocblas_gemm_batched_general_kernelIiLi16ELi16ELi32ELi32ELi8ELi32ELi8ELi8ELi32ELc67ELc67EKaKiiEEvlllT_PT11_llS5_llS3_PT12_llPT13_lli.has_recursion, 0
	.set _ZN12_GLOBAL__N_135rocblas_gemm_batched_general_kernelIiLi16ELi16ELi32ELi32ELi8ELi32ELi8ELi8ELi32ELc67ELc67EKaKiiEEvlllT_PT11_llS5_llS3_PT12_llPT13_lli.has_indirect_call, 0
	.section	.AMDGPU.csdata,"",@progbits
; Kernel info:
; codeLenInByte = 1876
; TotalNumSgprs: 46
; NumVgprs: 48
; ScratchSize: 0
; MemoryBound: 0
; FloatMode: 240
; IeeeMode: 1
; LDSByteSize: 2048 bytes/workgroup (compile time only)
; SGPRBlocks: 0
; VGPRBlocks: 2
; NumSGPRsForWavesPerEU: 46
; NumVGPRsForWavesPerEU: 48
; NamedBarCnt: 0
; Occupancy: 16
; WaveLimiterHint : 0
; COMPUTE_PGM_RSRC2:SCRATCH_EN: 0
; COMPUTE_PGM_RSRC2:USER_SGPR: 2
; COMPUTE_PGM_RSRC2:TRAP_HANDLER: 0
; COMPUTE_PGM_RSRC2:TGID_X_EN: 1
; COMPUTE_PGM_RSRC2:TGID_Y_EN: 1
; COMPUTE_PGM_RSRC2:TGID_Z_EN: 1
; COMPUTE_PGM_RSRC2:TIDIG_COMP_CNT: 1
	.section	.text._ZN12_GLOBAL__N_135rocblas_gemm_batched_general_kernelIiLi16ELi16ELi32ELi32ELi8ELi32ELi8ELi8ELi32ELc67ELc78EKaKiiEEvlllT_PT11_llS5_llS3_PT12_llPT13_lli,"axG",@progbits,_ZN12_GLOBAL__N_135rocblas_gemm_batched_general_kernelIiLi16ELi16ELi32ELi32ELi8ELi32ELi8ELi8ELi32ELc67ELc78EKaKiiEEvlllT_PT11_llS5_llS3_PT12_llPT13_lli,comdat
	.globl	_ZN12_GLOBAL__N_135rocblas_gemm_batched_general_kernelIiLi16ELi16ELi32ELi32ELi8ELi32ELi8ELi8ELi32ELc67ELc78EKaKiiEEvlllT_PT11_llS5_llS3_PT12_llPT13_lli ; -- Begin function _ZN12_GLOBAL__N_135rocblas_gemm_batched_general_kernelIiLi16ELi16ELi32ELi32ELi8ELi32ELi8ELi8ELi32ELc67ELc78EKaKiiEEvlllT_PT11_llS5_llS3_PT12_llPT13_lli
	.p2align	8
	.type	_ZN12_GLOBAL__N_135rocblas_gemm_batched_general_kernelIiLi16ELi16ELi32ELi32ELi8ELi32ELi8ELi8ELi32ELc67ELc78EKaKiiEEvlllT_PT11_llS5_llS3_PT12_llPT13_lli,@function
_ZN12_GLOBAL__N_135rocblas_gemm_batched_general_kernelIiLi16ELi16ELi32ELi32ELi8ELi32ELi8ELi8ELi32ELc67ELc78EKaKiiEEvlllT_PT11_llS5_llS3_PT12_llPT13_lli: ; @_ZN12_GLOBAL__N_135rocblas_gemm_batched_general_kernelIiLi16ELi16ELi32ELi32ELi8ELi32ELi8ELi8ELi32ELc67ELc78EKaKiiEEvlllT_PT11_llS5_llS3_PT12_llPT13_lli
; %bb.0:
	s_load_b32 s31, s[0:1], 0x88
	s_bfe_u32 s2, ttmp6, 0x40014
	s_lshr_b32 s3, ttmp7, 16
	s_add_co_i32 s2, s2, 1
	s_bfe_u32 s5, ttmp6, 0x40008
	s_mul_i32 s4, s3, s2
	s_getreg_b32 s2, hwreg(HW_REG_IB_STS2, 6, 4)
	s_add_co_i32 s5, s5, s4
	s_cmp_eq_u32 s2, 0
	s_mov_b32 s35, 0
	s_cselect_b32 s34, s3, s5
	s_wait_kmcnt 0x0
	s_cmp_ge_i32 s34, s31
	s_cbranch_scc1 .LBB496_34
; %bb.1:
	v_bfe_u32 v8, v0, 10, 10
	v_and_b32_e32 v10, 0x3ff, v0
	s_load_b256 s[8:15], s[0:1], 0x20
	s_bfe_u32 s3, ttmp6, 0x4000c
	s_bfe_u32 s29, ttmp6, 0x40010
	s_clause 0x2
	s_load_b128 s[4:7], s[0:1], 0x40
	s_load_b128 s[24:27], s[0:1], 0x78
	s_load_b256 s[16:23], s[0:1], 0x58
	s_add_co_i32 s3, s3, 1
	s_and_b32 s30, ttmp7, 0xffff
	s_add_co_i32 s29, s29, 1
	v_lshl_add_u32 v1, v8, 4, v10
	v_mov_b32_e32 v9, 0
	s_and_b32 s28, ttmp6, 15
	s_mul_i32 s3, ttmp9, s3
	s_mul_i32 s29, s30, s29
	s_bfe_u32 s33, ttmp6, 0x40004
	s_add_co_i32 s28, s28, s3
	s_add_co_i32 s33, s33, s29
	s_cmp_eq_u32 s2, 0
	v_and_b32_e32 v6, 31, v1
	v_dual_lshrrev_b32 v12, 3, v1 :: v_dual_bitop2_b32 v0, 7, v0 bitop3:0x40
	v_mov_b32_e32 v13, v9
	s_cselect_b32 s3, s30, s33
	s_cselect_b32 s2, ttmp9, s28
	s_lshl_b32 s28, s3, 5
	s_mov_b32 s29, s35
	s_ashr_i32 s3, s2, 31
	v_dual_mov_b32 v3, v9 :: v_dual_lshrrev_b32 v2, 5, v1
	s_lshl_b64 s[2:3], s[2:3], 5
	v_mov_b32_e32 v1, v9
	v_add_nc_u64_e32 v[16:17], s[28:29], v[12:13]
	v_add_nc_u64_e32 v[14:15], s[28:29], v[8:9]
	v_dual_mov_b32 v11, v9 :: v_dual_bitop2_b32 v18, s2, v6 bitop3:0x54
	s_clause 0x2
	s_load_b128 s[36:39], s[0:1], 0x0
	s_load_b32 s33, s[0:1], 0x50
	s_load_b96 s[28:30], s[0:1], 0x10
	v_lshlrev_b32_e32 v13, 2, v6
	s_wait_kmcnt 0x0
	v_mad_nc_u64_u32 v[22:23], s4, v16, v[0:1]
	v_mad_nc_u64_u32 v[28:29], s10, v18, v[2:3]
	v_mul_u64_e32 v[20:21], s[18:19], v[14:15]
	v_mul_u64_e32 v[4:5], s[24:25], v[14:15]
	v_add_nc_u64_e32 v[6:7], s[2:3], v[10:11]
	v_dual_mov_b32 v19, s3 :: v_dual_lshlrev_b32 v9, 2, v0
	v_lshl_or_b32 v24, v2, 7, v13
	v_lshl_add_u32 v27, v8, 5, 0x400
	v_mad_u32 v23, s5, v16, v23
	v_mad_u32 v26, s11, v18, v29
	v_lshl_or_b32 v9, v12, 5, v9
	v_add_nc_u64_e32 v[12:13], 16, v[6:7]
	v_cmp_gt_i64_e64 s1, s[38:39], v[16:17]
	v_cmp_gt_i64_e64 s0, s[36:37], v[18:19]
	s_delay_alu instid0(VALU_DEP_4)
	v_add_nc_u32_e32 v25, 0x400, v9
	v_cmp_gt_i64_e64 s2, s[38:39], v[14:15]
	s_cmp_lg_u32 s33, 0
	v_mad_u32 v23, s4, v17, v23
	v_mad_u32 v29, s10, s3, v26
	v_add_nc_u64_e32 v[16:17], 16, v[14:15]
	v_lshlrev_b32_e32 v26, 2, v10
	v_cmp_gt_i64_e64 s3, s[36:37], v[6:7]
	v_cmp_gt_i64_e64 s4, s[36:37], v[12:13]
	s_delay_alu instid0(VALU_DEP_4)
	v_cmp_gt_i64_e64 s5, s[38:39], v[16:17]
	v_add_nc_u64_e32 v[10:11], s[14:15], v[22:23]
	v_lshl_add_u64 v[8:9], v[20:21], 2, s[16:17]
	v_add_nc_u64_e32 v[12:13], s[8:9], v[28:29]
	v_cmp_gt_i64_e64 s16, s[28:29], 0
	s_cselect_b32 s17, -1, 0
	s_lshl_b64 s[8:9], s[18:19], 4
	s_lshl_b64 s[10:11], s[24:25], 4
	s_branch .LBB496_4
.LBB496_2:                              ;   in Loop: Header=BB496_4 Depth=1
	s_wait_xcnt 0x0
	s_or_b32 exec_lo, exec_lo, s18
.LBB496_3:                              ;   in Loop: Header=BB496_4 Depth=1
	s_add_co_i32 s34, s34, 0x10000
	s_delay_alu instid0(SALU_CYCLE_1)
	s_cmp_lt_i32 s34, s31
	s_cbranch_scc0 .LBB496_34
.LBB496_4:                              ; =>This Loop Header: Depth=1
                                        ;     Child Loop BB496_7 Depth 2
	v_dual_mov_b32 v30, 0 :: v_dual_mov_b32 v31, 0
	v_dual_mov_b32 v28, 0 :: v_dual_mov_b32 v29, 0
	s_and_not1_b32 vcc_lo, exec_lo, s16
	s_cbranch_vccnz .LBB496_11
; %bb.5:                                ;   in Loop: Header=BB496_4 Depth=1
	v_mad_nc_u64_u32 v[14:15], s6, s34, v[10:11]
	v_mad_nc_u64_u32 v[16:17], s12, s34, v[12:13]
	v_dual_mov_b32 v31, 0 :: v_dual_mov_b32 v30, 0
	v_dual_mov_b32 v29, 0 :: v_dual_mov_b32 v28, 0
	s_mov_b64 s[14:15], 0
	s_delay_alu instid0(VALU_DEP_4) | instskip(NEXT) | instid1(VALU_DEP_4)
	v_mad_u32 v15, s7, s34, v15
	v_mad_u32 v17, s13, s34, v17
	s_branch .LBB496_7
.LBB496_6:                              ;   in Loop: Header=BB496_7 Depth=2
	s_wait_xcnt 0x0
	s_or_b32 exec_lo, exec_lo, s18
	s_wait_loadcnt 0x0
	ds_store_b32 v25, v19
	s_wait_dscnt 0x0
	s_barrier_signal -1
	s_barrier_wait -1
	ds_load_b128 v[18:21], v27
	ds_load_2addr_b32 v[22:23], v26 offset1:16
	ds_load_b128 v[32:35], v27 offset:512
	ds_load_2addr_b32 v[44:45], v26 offset0:32 offset1:48
	ds_load_b128 v[36:39], v27 offset:16
	ds_load_2addr_b32 v[46:47], v26 offset0:64 offset1:80
	ds_load_b128 v[40:43], v27 offset:528
	s_add_nc_u64 s[14:15], s[14:15], 8
	s_delay_alu instid0(SALU_CYCLE_1)
	v_cmp_lt_i64_e64 s18, s[14:15], s[28:29]
	s_and_b32 vcc_lo, exec_lo, s18
	s_wait_dscnt 0x5
	v_mad_u32 v31, v18, v22, v31
	v_mad_u32 v18, v18, v23, v30
	s_wait_dscnt 0x4
	v_mad_u32 v29, v32, v22, v29
	v_mad_u32 v28, v32, v23, v28
	ds_load_2addr_b32 v[22:23], v26 offset0:96 offset1:112
	s_wait_dscnt 0x4
	v_mad_u32 v30, v19, v44, v31
	v_mad_u32 v31, v19, v45, v18
	v_mad_u32 v29, v33, v44, v29
	v_mad_u32 v28, v33, v45, v28
	ds_load_2addr_b32 v[18:19], v26 offset0:128 offset1:144
	s_wait_dscnt 0x3
	v_mad_u32 v30, v20, v46, v30
	v_mad_u32 v20, v20, v47, v31
	;; [unrolled: 6-line block ×4, first 2 shown]
	v_mad_u32 v22, v40, v18, v22
	v_mad_u32 v23, v40, v19, v23
	ds_load_2addr_b32 v[18:19], v26 offset0:224 offset1:240
	s_wait_dscnt 0x0
	s_barrier_signal -1
	s_barrier_wait -1
	v_mad_u32 v30, v37, v28, v30
	v_mad_u32 v31, v37, v29, v31
	;; [unrolled: 1-line block ×4, first 2 shown]
	s_delay_alu instid0(VALU_DEP_4) | instskip(NEXT) | instid1(VALU_DEP_4)
	v_mad_u32 v28, v38, v20, v30
	v_mad_u32 v29, v38, v21, v31
	s_delay_alu instid0(VALU_DEP_4) | instskip(NEXT) | instid1(VALU_DEP_4)
	v_mad_u32 v20, v42, v20, v22
	v_mad_u32 v21, v42, v21, v23
	;; [unrolled: 3-line block ×4, first 2 shown]
	s_cbranch_vccz .LBB496_11
.LBB496_7:                              ;   Parent Loop BB496_4 Depth=1
                                        ; =>  This Inner Loop Header: Depth=2
	v_add_nc_u64_e32 v[18:19], s[14:15], v[2:3]
	s_delay_alu instid0(VALU_DEP_1) | instskip(SKIP_2) | instid1(SALU_CYCLE_1)
	v_cmp_gt_i64_e32 vcc_lo, s[28:29], v[18:19]
	v_mov_b32_e32 v18, 0
	s_and_b32 s19, s0, vcc_lo
	s_and_saveexec_b32 s18, s19
	s_cbranch_execz .LBB496_9
; %bb.8:                                ;   in Loop: Header=BB496_7 Depth=2
	s_delay_alu instid0(VALU_DEP_4)
	v_add_nc_u64_e32 v[18:19], s[14:15], v[16:17]
	global_load_i8 v18, v[18:19], off
.LBB496_9:                              ;   in Loop: Header=BB496_7 Depth=2
	s_wait_xcnt 0x0
	s_or_b32 exec_lo, exec_lo, s18
	v_add_nc_u64_e32 v[20:21], s[14:15], v[0:1]
	v_mov_b32_e32 v19, 0
	s_wait_loadcnt 0x0
	ds_store_b32 v24, v18
	v_cmp_gt_i64_e32 vcc_lo, s[28:29], v[20:21]
	s_and_b32 s19, vcc_lo, s1
	s_delay_alu instid0(SALU_CYCLE_1)
	s_and_saveexec_b32 s18, s19
	s_cbranch_execz .LBB496_6
; %bb.10:                               ;   in Loop: Header=BB496_7 Depth=2
	v_add_nc_u64_e32 v[18:19], s[14:15], v[14:15]
	global_load_i8 v19, v[18:19], off
	s_branch .LBB496_6
.LBB496_11:                             ;   in Loop: Header=BB496_4 Depth=1
	s_mul_u64 s[14:15], s[26:27], s[34:35]
	s_and_not1_b32 vcc_lo, exec_lo, s17
	s_lshl_b64 s[14:15], s[14:15], 2
	s_delay_alu instid0(SALU_CYCLE_1)
	s_add_nc_u64 s[14:15], s[22:23], s[14:15]
	s_cbranch_vccnz .LBB496_16
; %bb.12:                               ;   in Loop: Header=BB496_4 Depth=1
	s_and_saveexec_b32 s18, s2
	s_cbranch_execz .LBB496_23
; %bb.13:                               ;   in Loop: Header=BB496_4 Depth=1
	s_mul_u64 s[24:25], s[20:21], s[34:35]
	v_lshlrev_b64_e32 v[14:15], 2, v[6:7]
	v_lshl_add_u64 v[16:17], s[24:25], 2, v[8:9]
	v_lshl_add_u64 v[18:19], v[4:5], 2, s[14:15]
	s_delay_alu instid0(VALU_DEP_2) | instskip(NEXT) | instid1(VALU_DEP_2)
	v_add_nc_u64_e32 v[22:23], v[16:17], v[14:15]
	v_add_nc_u64_e32 v[20:21], v[18:19], v[14:15]
	s_and_saveexec_b32 s19, s3
	s_cbranch_execnz .LBB496_17
; %bb.14:                               ;   in Loop: Header=BB496_4 Depth=1
	s_or_b32 exec_lo, exec_lo, s19
	s_and_saveexec_b32 s19, s4
	s_cbranch_execnz .LBB496_18
.LBB496_15:                             ;   in Loop: Header=BB496_4 Depth=1
	s_or_b32 exec_lo, exec_lo, s19
	s_delay_alu instid0(SALU_CYCLE_1)
	s_and_b32 exec_lo, exec_lo, s5
	s_cbranch_execnz .LBB496_19
	s_branch .LBB496_23
.LBB496_16:                             ;   in Loop: Header=BB496_4 Depth=1
	s_branch .LBB496_24
.LBB496_17:                             ;   in Loop: Header=BB496_4 Depth=1
	global_load_b32 v32, v[22:23], off
	v_mul_lo_u32 v33, v31, s30
	s_wait_loadcnt 0x0
	s_delay_alu instid0(VALU_DEP_1)
	v_mad_u32 v32, v32, s33, v33
	global_store_b32 v[20:21], v32, off
	s_wait_xcnt 0x0
	s_or_b32 exec_lo, exec_lo, s19
	s_and_saveexec_b32 s19, s4
	s_cbranch_execz .LBB496_15
.LBB496_18:                             ;   in Loop: Header=BB496_4 Depth=1
	global_load_b32 v22, v[22:23], off offset:64
	s_wait_xcnt 0x0
	v_mul_lo_u32 v23, v30, s30
	s_wait_loadcnt 0x0
	s_delay_alu instid0(VALU_DEP_1) | instskip(SKIP_3) | instid1(SALU_CYCLE_1)
	v_mad_u32 v22, v22, s33, v23
	global_store_b32 v[20:21], v22, off offset:64
	s_wait_xcnt 0x0
	s_or_b32 exec_lo, exec_lo, s19
	s_and_b32 exec_lo, exec_lo, s5
	s_cbranch_execz .LBB496_23
.LBB496_19:                             ;   in Loop: Header=BB496_4 Depth=1
	v_lshl_add_u64 v[16:17], s[8:9], 2, v[16:17]
	v_lshl_add_u64 v[18:19], s[10:11], 2, v[18:19]
	s_delay_alu instid0(VALU_DEP_2) | instskip(NEXT) | instid1(VALU_DEP_2)
	v_add_nc_u64_e32 v[16:17], v[16:17], v[14:15]
	v_add_nc_u64_e32 v[14:15], v[18:19], v[14:15]
	s_and_saveexec_b32 s19, s3
	s_cbranch_execz .LBB496_21
; %bb.20:                               ;   in Loop: Header=BB496_4 Depth=1
	global_load_b32 v18, v[16:17], off
	v_mul_lo_u32 v19, v29, s30
	s_wait_loadcnt 0x0
	s_delay_alu instid0(VALU_DEP_1)
	v_mad_u32 v18, v18, s33, v19
	global_store_b32 v[14:15], v18, off
.LBB496_21:                             ;   in Loop: Header=BB496_4 Depth=1
	s_wait_xcnt 0x0
	s_or_b32 exec_lo, exec_lo, s19
	s_delay_alu instid0(SALU_CYCLE_1)
	s_and_b32 exec_lo, exec_lo, s4
	s_cbranch_execz .LBB496_23
; %bb.22:                               ;   in Loop: Header=BB496_4 Depth=1
	global_load_b32 v16, v[16:17], off offset:64
	s_wait_xcnt 0x0
	v_mul_lo_u32 v17, v28, s30
	s_wait_loadcnt 0x0
	s_delay_alu instid0(VALU_DEP_1)
	v_mad_u32 v16, v16, s33, v17
	global_store_b32 v[14:15], v16, off offset:64
.LBB496_23:                             ;   in Loop: Header=BB496_4 Depth=1
	s_wait_xcnt 0x0
	s_or_b32 exec_lo, exec_lo, s18
	s_cbranch_execnz .LBB496_3
.LBB496_24:                             ;   in Loop: Header=BB496_4 Depth=1
	s_and_saveexec_b32 s18, s2
	s_cbranch_execz .LBB496_2
; %bb.25:                               ;   in Loop: Header=BB496_4 Depth=1
	v_lshl_add_u64 v[14:15], v[4:5], 2, s[14:15]
	s_delay_alu instid0(VALU_DEP_1)
	v_lshl_add_u64 v[16:17], v[6:7], 2, v[14:15]
	s_and_saveexec_b32 s14, s3
	s_cbranch_execnz .LBB496_28
; %bb.26:                               ;   in Loop: Header=BB496_4 Depth=1
	s_or_b32 exec_lo, exec_lo, s14
	s_and_saveexec_b32 s14, s4
	s_cbranch_execnz .LBB496_29
.LBB496_27:                             ;   in Loop: Header=BB496_4 Depth=1
	s_or_b32 exec_lo, exec_lo, s14
	s_delay_alu instid0(SALU_CYCLE_1)
	s_and_b32 exec_lo, exec_lo, s5
	s_cbranch_execz .LBB496_2
	s_branch .LBB496_30
.LBB496_28:                             ;   in Loop: Header=BB496_4 Depth=1
	v_mul_lo_u32 v18, v31, s30
	global_store_b32 v[16:17], v18, off
	s_wait_xcnt 0x0
	s_or_b32 exec_lo, exec_lo, s14
	s_and_saveexec_b32 s14, s4
	s_cbranch_execz .LBB496_27
.LBB496_29:                             ;   in Loop: Header=BB496_4 Depth=1
	v_mul_lo_u32 v18, v30, s30
	global_store_b32 v[16:17], v18, off offset:64
	s_wait_xcnt 0x0
	s_or_b32 exec_lo, exec_lo, s14
	s_delay_alu instid0(SALU_CYCLE_1)
	s_and_b32 exec_lo, exec_lo, s5
	s_cbranch_execz .LBB496_2
.LBB496_30:                             ;   in Loop: Header=BB496_4 Depth=1
	v_lshl_add_u64 v[14:15], s[10:11], 2, v[14:15]
	s_delay_alu instid0(VALU_DEP_1)
	v_lshl_add_u64 v[14:15], v[6:7], 2, v[14:15]
	s_and_saveexec_b32 s14, s3
	s_cbranch_execz .LBB496_32
; %bb.31:                               ;   in Loop: Header=BB496_4 Depth=1
	v_mul_lo_u32 v16, v29, s30
	global_store_b32 v[14:15], v16, off
.LBB496_32:                             ;   in Loop: Header=BB496_4 Depth=1
	s_wait_xcnt 0x0
	s_or_b32 exec_lo, exec_lo, s14
	s_delay_alu instid0(SALU_CYCLE_1)
	s_and_b32 exec_lo, exec_lo, s4
	s_cbranch_execz .LBB496_2
; %bb.33:                               ;   in Loop: Header=BB496_4 Depth=1
	v_mul_lo_u32 v16, v28, s30
	global_store_b32 v[14:15], v16, off offset:64
	s_branch .LBB496_2
.LBB496_34:
	s_endpgm
	.section	.rodata,"a",@progbits
	.p2align	6, 0x0
	.amdhsa_kernel _ZN12_GLOBAL__N_135rocblas_gemm_batched_general_kernelIiLi16ELi16ELi32ELi32ELi8ELi32ELi8ELi8ELi32ELc67ELc78EKaKiiEEvlllT_PT11_llS5_llS3_PT12_llPT13_lli
		.amdhsa_group_segment_fixed_size 2048
		.amdhsa_private_segment_fixed_size 0
		.amdhsa_kernarg_size 140
		.amdhsa_user_sgpr_count 2
		.amdhsa_user_sgpr_dispatch_ptr 0
		.amdhsa_user_sgpr_queue_ptr 0
		.amdhsa_user_sgpr_kernarg_segment_ptr 1
		.amdhsa_user_sgpr_dispatch_id 0
		.amdhsa_user_sgpr_kernarg_preload_length 0
		.amdhsa_user_sgpr_kernarg_preload_offset 0
		.amdhsa_user_sgpr_private_segment_size 0
		.amdhsa_wavefront_size32 1
		.amdhsa_uses_dynamic_stack 0
		.amdhsa_enable_private_segment 0
		.amdhsa_system_sgpr_workgroup_id_x 1
		.amdhsa_system_sgpr_workgroup_id_y 1
		.amdhsa_system_sgpr_workgroup_id_z 1
		.amdhsa_system_sgpr_workgroup_info 0
		.amdhsa_system_vgpr_workitem_id 1
		.amdhsa_next_free_vgpr 48
		.amdhsa_next_free_sgpr 40
		.amdhsa_named_barrier_count 0
		.amdhsa_reserve_vcc 1
		.amdhsa_float_round_mode_32 0
		.amdhsa_float_round_mode_16_64 0
		.amdhsa_float_denorm_mode_32 3
		.amdhsa_float_denorm_mode_16_64 3
		.amdhsa_fp16_overflow 0
		.amdhsa_memory_ordered 1
		.amdhsa_forward_progress 1
		.amdhsa_inst_pref_size 15
		.amdhsa_round_robin_scheduling 0
		.amdhsa_exception_fp_ieee_invalid_op 0
		.amdhsa_exception_fp_denorm_src 0
		.amdhsa_exception_fp_ieee_div_zero 0
		.amdhsa_exception_fp_ieee_overflow 0
		.amdhsa_exception_fp_ieee_underflow 0
		.amdhsa_exception_fp_ieee_inexact 0
		.amdhsa_exception_int_div_zero 0
	.end_amdhsa_kernel
	.section	.text._ZN12_GLOBAL__N_135rocblas_gemm_batched_general_kernelIiLi16ELi16ELi32ELi32ELi8ELi32ELi8ELi8ELi32ELc67ELc78EKaKiiEEvlllT_PT11_llS5_llS3_PT12_llPT13_lli,"axG",@progbits,_ZN12_GLOBAL__N_135rocblas_gemm_batched_general_kernelIiLi16ELi16ELi32ELi32ELi8ELi32ELi8ELi8ELi32ELc67ELc78EKaKiiEEvlllT_PT11_llS5_llS3_PT12_llPT13_lli,comdat
.Lfunc_end496:
	.size	_ZN12_GLOBAL__N_135rocblas_gemm_batched_general_kernelIiLi16ELi16ELi32ELi32ELi8ELi32ELi8ELi8ELi32ELc67ELc78EKaKiiEEvlllT_PT11_llS5_llS3_PT12_llPT13_lli, .Lfunc_end496-_ZN12_GLOBAL__N_135rocblas_gemm_batched_general_kernelIiLi16ELi16ELi32ELi32ELi8ELi32ELi8ELi8ELi32ELc67ELc78EKaKiiEEvlllT_PT11_llS5_llS3_PT12_llPT13_lli
                                        ; -- End function
	.set _ZN12_GLOBAL__N_135rocblas_gemm_batched_general_kernelIiLi16ELi16ELi32ELi32ELi8ELi32ELi8ELi8ELi32ELc67ELc78EKaKiiEEvlllT_PT11_llS5_llS3_PT12_llPT13_lli.num_vgpr, 48
	.set _ZN12_GLOBAL__N_135rocblas_gemm_batched_general_kernelIiLi16ELi16ELi32ELi32ELi8ELi32ELi8ELi8ELi32ELc67ELc78EKaKiiEEvlllT_PT11_llS5_llS3_PT12_llPT13_lli.num_agpr, 0
	.set _ZN12_GLOBAL__N_135rocblas_gemm_batched_general_kernelIiLi16ELi16ELi32ELi32ELi8ELi32ELi8ELi8ELi32ELc67ELc78EKaKiiEEvlllT_PT11_llS5_llS3_PT12_llPT13_lli.numbered_sgpr, 40
	.set _ZN12_GLOBAL__N_135rocblas_gemm_batched_general_kernelIiLi16ELi16ELi32ELi32ELi8ELi32ELi8ELi8ELi32ELc67ELc78EKaKiiEEvlllT_PT11_llS5_llS3_PT12_llPT13_lli.num_named_barrier, 0
	.set _ZN12_GLOBAL__N_135rocblas_gemm_batched_general_kernelIiLi16ELi16ELi32ELi32ELi8ELi32ELi8ELi8ELi32ELc67ELc78EKaKiiEEvlllT_PT11_llS5_llS3_PT12_llPT13_lli.private_seg_size, 0
	.set _ZN12_GLOBAL__N_135rocblas_gemm_batched_general_kernelIiLi16ELi16ELi32ELi32ELi8ELi32ELi8ELi8ELi32ELc67ELc78EKaKiiEEvlllT_PT11_llS5_llS3_PT12_llPT13_lli.uses_vcc, 1
	.set _ZN12_GLOBAL__N_135rocblas_gemm_batched_general_kernelIiLi16ELi16ELi32ELi32ELi8ELi32ELi8ELi8ELi32ELc67ELc78EKaKiiEEvlllT_PT11_llS5_llS3_PT12_llPT13_lli.uses_flat_scratch, 0
	.set _ZN12_GLOBAL__N_135rocblas_gemm_batched_general_kernelIiLi16ELi16ELi32ELi32ELi8ELi32ELi8ELi8ELi32ELc67ELc78EKaKiiEEvlllT_PT11_llS5_llS3_PT12_llPT13_lli.has_dyn_sized_stack, 0
	.set _ZN12_GLOBAL__N_135rocblas_gemm_batched_general_kernelIiLi16ELi16ELi32ELi32ELi8ELi32ELi8ELi8ELi32ELc67ELc78EKaKiiEEvlllT_PT11_llS5_llS3_PT12_llPT13_lli.has_recursion, 0
	.set _ZN12_GLOBAL__N_135rocblas_gemm_batched_general_kernelIiLi16ELi16ELi32ELi32ELi8ELi32ELi8ELi8ELi32ELc67ELc78EKaKiiEEvlllT_PT11_llS5_llS3_PT12_llPT13_lli.has_indirect_call, 0
	.section	.AMDGPU.csdata,"",@progbits
; Kernel info:
; codeLenInByte = 1868
; TotalNumSgprs: 42
; NumVgprs: 48
; ScratchSize: 0
; MemoryBound: 0
; FloatMode: 240
; IeeeMode: 1
; LDSByteSize: 2048 bytes/workgroup (compile time only)
; SGPRBlocks: 0
; VGPRBlocks: 2
; NumSGPRsForWavesPerEU: 42
; NumVGPRsForWavesPerEU: 48
; NamedBarCnt: 0
; Occupancy: 16
; WaveLimiterHint : 0
; COMPUTE_PGM_RSRC2:SCRATCH_EN: 0
; COMPUTE_PGM_RSRC2:USER_SGPR: 2
; COMPUTE_PGM_RSRC2:TRAP_HANDLER: 0
; COMPUTE_PGM_RSRC2:TGID_X_EN: 1
; COMPUTE_PGM_RSRC2:TGID_Y_EN: 1
; COMPUTE_PGM_RSRC2:TGID_Z_EN: 1
; COMPUTE_PGM_RSRC2:TIDIG_COMP_CNT: 1
	.section	.text._ZN12_GLOBAL__N_135rocblas_gemm_batched_general_kernelIiLi16ELi16ELi32ELi32ELi8ELi32ELi8ELi8ELi32ELc67ELc84EKaKiiEEvlllT_PT11_llS5_llS3_PT12_llPT13_lli,"axG",@progbits,_ZN12_GLOBAL__N_135rocblas_gemm_batched_general_kernelIiLi16ELi16ELi32ELi32ELi8ELi32ELi8ELi8ELi32ELc67ELc84EKaKiiEEvlllT_PT11_llS5_llS3_PT12_llPT13_lli,comdat
	.globl	_ZN12_GLOBAL__N_135rocblas_gemm_batched_general_kernelIiLi16ELi16ELi32ELi32ELi8ELi32ELi8ELi8ELi32ELc67ELc84EKaKiiEEvlllT_PT11_llS5_llS3_PT12_llPT13_lli ; -- Begin function _ZN12_GLOBAL__N_135rocblas_gemm_batched_general_kernelIiLi16ELi16ELi32ELi32ELi8ELi32ELi8ELi8ELi32ELc67ELc84EKaKiiEEvlllT_PT11_llS5_llS3_PT12_llPT13_lli
	.p2align	8
	.type	_ZN12_GLOBAL__N_135rocblas_gemm_batched_general_kernelIiLi16ELi16ELi32ELi32ELi8ELi32ELi8ELi8ELi32ELc67ELc84EKaKiiEEvlllT_PT11_llS5_llS3_PT12_llPT13_lli,@function
_ZN12_GLOBAL__N_135rocblas_gemm_batched_general_kernelIiLi16ELi16ELi32ELi32ELi8ELi32ELi8ELi8ELi32ELc67ELc84EKaKiiEEvlllT_PT11_llS5_llS3_PT12_llPT13_lli: ; @_ZN12_GLOBAL__N_135rocblas_gemm_batched_general_kernelIiLi16ELi16ELi32ELi32ELi8ELi32ELi8ELi8ELi32ELc67ELc84EKaKiiEEvlllT_PT11_llS5_llS3_PT12_llPT13_lli
; %bb.0:
	s_load_b32 s33, s[0:1], 0x88
	s_bfe_u32 s2, ttmp6, 0x40014
	s_lshr_b32 s3, ttmp7, 16
	s_add_co_i32 s2, s2, 1
	s_bfe_u32 s5, ttmp6, 0x40008
	s_mul_i32 s4, s3, s2
	s_getreg_b32 s2, hwreg(HW_REG_IB_STS2, 6, 4)
	s_add_co_i32 s5, s5, s4
	s_cmp_eq_u32 s2, 0
	s_mov_b32 s35, 0
	s_cselect_b32 s34, s3, s5
	s_wait_kmcnt 0x0
	s_cmp_ge_i32 s34, s33
	s_cbranch_scc1 .LBB497_34
; %bb.1:
	v_bfe_u32 v8, v0, 10, 10
	v_and_b32_e32 v10, 0x3ff, v0
	s_bfe_u32 s3, ttmp6, 0x4000c
	s_bfe_u32 s37, ttmp6, 0x40010
	s_clause 0x4
	s_load_b128 s[4:7], s[0:1], 0x0
	s_load_b256 s[8:15], s[0:1], 0x20
	s_load_b128 s[24:27], s[0:1], 0x40
	s_load_b128 s[28:31], s[0:1], 0x78
	s_load_b256 s[16:23], s[0:1], 0x58
	s_add_co_i32 s3, s3, 1
	s_and_b32 s38, ttmp7, 0xffff
	s_add_co_i32 s37, s37, 1
	s_and_b32 s36, ttmp6, 15
	s_mul_i32 s3, ttmp9, s3
	s_mul_i32 s37, s38, s37
	s_bfe_u32 s39, ttmp6, 0x40004
	v_lshl_add_u32 v1, v8, 4, v10
	s_add_co_i32 s36, s36, s3
	s_add_co_i32 s39, s39, s37
	s_cmp_eq_u32 s2, 0
	s_delay_alu instid0(VALU_DEP_1)
	v_dual_mov_b32 v9, 0 :: v_dual_bitop2_b32 v4, 31, v1 bitop3:0x40
	s_cselect_b32 s3, s38, s39
	s_cselect_b32 s2, ttmp9, s36
	s_lshl_b32 s42, s3, 5
	s_ashr_i32 s3, s2, 31
	s_mov_b32 s43, s35
	s_lshl_b64 s[2:3], s[2:3], 5
	v_add_nc_u64_e32 v[12:13], s[42:43], v[8:9]
	v_dual_mov_b32 v3, v9 :: v_dual_lshrrev_b32 v2, 5, v1
	v_dual_lshrrev_b32 v6, 3, v1 :: v_dual_bitop2_b32 v14, s2, v4 bitop3:0x54
	v_dual_mov_b32 v7, v9 :: v_dual_bitop2_b32 v0, 7, v0 bitop3:0x40
	s_wait_kmcnt 0x0
	s_delay_alu instid0(VALU_DEP_4) | instskip(NEXT) | instid1(VALU_DEP_3)
	v_mul_u64_e32 v[16:17], s[18:19], v[12:13]
	v_mad_nc_u64_u32 v[18:19], s10, v14, v[2:3]
	v_dual_mov_b32 v15, s3 :: v_dual_lshlrev_b32 v24, 2, v4
	v_mul_u64_e32 v[4:5], s[28:29], v[12:13]
	v_mad_nc_u64_u32 v[22:23], s24, v0, v[6:7]
	v_dual_mov_b32 v11, v9 :: v_dual_lshlrev_b32 v1, 2, v0
	s_clause 0x1
	s_load_b96 s[36:38], s[0:1], 0x10
	s_load_b32 s39, s[0:1], 0x50
	v_add_nc_u64_e32 v[20:21], s[42:43], v[6:7]
	s_wait_xcnt 0x0
	v_cmp_gt_i64_e64 s0, s[4:5], v[14:15]
	v_mad_u32 v19, s11, v14, v19
	v_lshl_or_b32 v25, v6, 5, v1
	v_add_nc_u64_e32 v[6:7], s[2:3], v[10:11]
	v_dual_mov_b32 v1, v9 :: v_dual_lshlrev_b32 v26, 2, v10
	v_mad_u32 v23, s25, v0, v23
	v_add_nc_u64_e32 v[14:15], 16, v[12:13]
	v_cmp_gt_i64_e64 s1, s[6:7], v[20:21]
	v_cmp_gt_i64_e64 s2, s[6:7], v[12:13]
	v_add_nc_u64_e32 v[10:11], 16, v[6:7]
	v_lshl_add_u32 v27, v8, 5, 0x400
	v_mad_u32 v19, s10, s3, v19
	v_cmp_gt_i64_e64 s3, s[4:5], v[6:7]
	v_lshl_or_b32 v24, v2, 7, v24
	v_add_nc_u32_e32 v25, 0x400, v25
	v_cmp_gt_i64_e64 s4, s[4:5], v[10:11]
	v_cmp_gt_i64_e64 s5, s[6:7], v[14:15]
	s_add_nc_u64 s[6:7], s[14:15], s[42:43]
	s_wait_kmcnt 0x0
	s_cmp_lg_u32 s39, 0
	v_lshl_add_u64 v[8:9], v[16:17], 2, s[16:17]
	v_add_nc_u64_e32 v[10:11], s[6:7], v[22:23]
	v_add_nc_u64_e32 v[12:13], s[8:9], v[18:19]
	v_cmp_gt_i64_e64 s16, s[36:37], 0
	s_cselect_b32 s40, -1, 0
	s_lshl_b64 s[6:7], s[18:19], 4
	s_lshl_b64 s[8:9], s[28:29], 4
	;; [unrolled: 1-line block ×3, first 2 shown]
	s_branch .LBB497_4
.LBB497_2:                              ;   in Loop: Header=BB497_4 Depth=1
	s_wait_xcnt 0x0
	s_or_b32 exec_lo, exec_lo, s17
.LBB497_3:                              ;   in Loop: Header=BB497_4 Depth=1
	s_add_co_i32 s34, s34, 0x10000
	s_delay_alu instid0(SALU_CYCLE_1)
	s_cmp_lt_i32 s34, s33
	s_cbranch_scc0 .LBB497_34
.LBB497_4:                              ; =>This Loop Header: Depth=1
                                        ;     Child Loop BB497_7 Depth 2
	v_dual_mov_b32 v30, 0 :: v_dual_mov_b32 v31, 0
	v_dual_mov_b32 v28, 0 :: v_dual_mov_b32 v29, 0
	s_and_not1_b32 vcc_lo, exec_lo, s16
	s_cbranch_vccnz .LBB497_11
; %bb.5:                                ;   in Loop: Header=BB497_4 Depth=1
	v_mad_nc_u64_u32 v[14:15], s26, s34, v[10:11]
	v_mad_nc_u64_u32 v[16:17], s12, s34, v[12:13]
	v_dual_mov_b32 v31, 0 :: v_dual_mov_b32 v30, 0
	v_dual_mov_b32 v29, 0 :: v_dual_mov_b32 v28, 0
	s_mov_b64 s[14:15], 0
	s_delay_alu instid0(VALU_DEP_4) | instskip(NEXT) | instid1(VALU_DEP_4)
	v_mad_u32 v15, s27, s34, v15
	v_mad_u32 v17, s13, s34, v17
	s_branch .LBB497_7
.LBB497_6:                              ;   in Loop: Header=BB497_7 Depth=2
	s_wait_xcnt 0x0
	s_or_b32 exec_lo, exec_lo, s17
	s_wait_loadcnt 0x0
	ds_store_b32 v25, v19
	s_wait_dscnt 0x0
	s_barrier_signal -1
	s_barrier_wait -1
	ds_load_b128 v[18:21], v27
	ds_load_2addr_b32 v[22:23], v26 offset1:16
	ds_load_b128 v[32:35], v27 offset:512
	ds_load_2addr_b32 v[44:45], v26 offset0:32 offset1:48
	ds_load_b128 v[36:39], v27 offset:16
	ds_load_2addr_b32 v[46:47], v26 offset0:64 offset1:80
	ds_load_b128 v[40:43], v27 offset:528
	s_add_nc_u64 s[14:15], s[14:15], 8
	v_add_nc_u64_e32 v[14:15], s[10:11], v[14:15]
	v_cmp_lt_i64_e64 s17, s[14:15], s[36:37]
	s_and_b32 vcc_lo, exec_lo, s17
	s_wait_dscnt 0x5
	v_mad_u32 v31, v18, v22, v31
	v_mad_u32 v18, v18, v23, v30
	s_wait_dscnt 0x4
	v_mad_u32 v29, v32, v22, v29
	v_mad_u32 v28, v32, v23, v28
	ds_load_2addr_b32 v[22:23], v26 offset0:96 offset1:112
	s_wait_dscnt 0x4
	v_mad_u32 v30, v19, v44, v31
	v_mad_u32 v31, v19, v45, v18
	v_mad_u32 v29, v33, v44, v29
	v_mad_u32 v28, v33, v45, v28
	ds_load_2addr_b32 v[18:19], v26 offset0:128 offset1:144
	s_wait_dscnt 0x3
	v_mad_u32 v30, v20, v46, v30
	v_mad_u32 v20, v20, v47, v31
	;; [unrolled: 6-line block ×4, first 2 shown]
	v_mad_u32 v22, v40, v18, v22
	v_mad_u32 v23, v40, v19, v23
	ds_load_2addr_b32 v[18:19], v26 offset0:224 offset1:240
	s_wait_dscnt 0x0
	s_barrier_signal -1
	s_barrier_wait -1
	v_mad_u32 v30, v37, v28, v30
	v_mad_u32 v31, v37, v29, v31
	;; [unrolled: 1-line block ×4, first 2 shown]
	s_delay_alu instid0(VALU_DEP_4) | instskip(NEXT) | instid1(VALU_DEP_4)
	v_mad_u32 v28, v38, v20, v30
	v_mad_u32 v29, v38, v21, v31
	s_delay_alu instid0(VALU_DEP_4) | instskip(NEXT) | instid1(VALU_DEP_4)
	v_mad_u32 v20, v42, v20, v22
	v_mad_u32 v21, v42, v21, v23
	;; [unrolled: 3-line block ×4, first 2 shown]
	s_cbranch_vccz .LBB497_11
.LBB497_7:                              ;   Parent Loop BB497_4 Depth=1
                                        ; =>  This Inner Loop Header: Depth=2
	v_add_nc_u64_e32 v[18:19], s[14:15], v[2:3]
	s_delay_alu instid0(VALU_DEP_1) | instskip(SKIP_2) | instid1(SALU_CYCLE_1)
	v_cmp_gt_i64_e32 vcc_lo, s[36:37], v[18:19]
	v_mov_b32_e32 v18, 0
	s_and_b32 s18, s0, vcc_lo
	s_and_saveexec_b32 s17, s18
	s_cbranch_execz .LBB497_9
; %bb.8:                                ;   in Loop: Header=BB497_7 Depth=2
	s_delay_alu instid0(VALU_DEP_4)
	v_add_nc_u64_e32 v[18:19], s[14:15], v[16:17]
	global_load_i8 v18, v[18:19], off
.LBB497_9:                              ;   in Loop: Header=BB497_7 Depth=2
	s_wait_xcnt 0x0
	s_or_b32 exec_lo, exec_lo, s17
	v_add_nc_u64_e32 v[20:21], s[14:15], v[0:1]
	v_mov_b32_e32 v19, 0
	s_wait_loadcnt 0x0
	ds_store_b32 v24, v18
	v_cmp_gt_i64_e32 vcc_lo, s[36:37], v[20:21]
	s_and_b32 s18, vcc_lo, s1
	s_delay_alu instid0(SALU_CYCLE_1)
	s_and_saveexec_b32 s17, s18
	s_cbranch_execz .LBB497_6
; %bb.10:                               ;   in Loop: Header=BB497_7 Depth=2
	global_load_i8 v19, v[14:15], off
	s_branch .LBB497_6
.LBB497_11:                             ;   in Loop: Header=BB497_4 Depth=1
	s_mul_u64 s[14:15], s[30:31], s[34:35]
	s_and_not1_b32 vcc_lo, exec_lo, s40
	s_lshl_b64 s[14:15], s[14:15], 2
	s_delay_alu instid0(SALU_CYCLE_1)
	s_add_nc_u64 s[14:15], s[22:23], s[14:15]
	s_cbranch_vccnz .LBB497_16
; %bb.12:                               ;   in Loop: Header=BB497_4 Depth=1
	s_and_saveexec_b32 s17, s2
	s_cbranch_execz .LBB497_23
; %bb.13:                               ;   in Loop: Header=BB497_4 Depth=1
	s_mul_u64 s[18:19], s[20:21], s[34:35]
	v_lshlrev_b64_e32 v[14:15], 2, v[6:7]
	v_lshl_add_u64 v[16:17], s[18:19], 2, v[8:9]
	v_lshl_add_u64 v[18:19], v[4:5], 2, s[14:15]
	s_delay_alu instid0(VALU_DEP_2) | instskip(NEXT) | instid1(VALU_DEP_2)
	v_add_nc_u64_e32 v[22:23], v[16:17], v[14:15]
	v_add_nc_u64_e32 v[20:21], v[18:19], v[14:15]
	s_and_saveexec_b32 s18, s3
	s_cbranch_execnz .LBB497_17
; %bb.14:                               ;   in Loop: Header=BB497_4 Depth=1
	s_or_b32 exec_lo, exec_lo, s18
	s_and_saveexec_b32 s18, s4
	s_cbranch_execnz .LBB497_18
.LBB497_15:                             ;   in Loop: Header=BB497_4 Depth=1
	s_or_b32 exec_lo, exec_lo, s18
	s_delay_alu instid0(SALU_CYCLE_1)
	s_and_b32 exec_lo, exec_lo, s5
	s_cbranch_execnz .LBB497_19
	s_branch .LBB497_23
.LBB497_16:                             ;   in Loop: Header=BB497_4 Depth=1
	s_branch .LBB497_24
.LBB497_17:                             ;   in Loop: Header=BB497_4 Depth=1
	global_load_b32 v32, v[22:23], off
	v_mul_lo_u32 v33, v31, s38
	s_wait_loadcnt 0x0
	s_delay_alu instid0(VALU_DEP_1)
	v_mad_u32 v32, v32, s39, v33
	global_store_b32 v[20:21], v32, off
	s_wait_xcnt 0x0
	s_or_b32 exec_lo, exec_lo, s18
	s_and_saveexec_b32 s18, s4
	s_cbranch_execz .LBB497_15
.LBB497_18:                             ;   in Loop: Header=BB497_4 Depth=1
	global_load_b32 v22, v[22:23], off offset:64
	s_wait_xcnt 0x0
	v_mul_lo_u32 v23, v30, s38
	s_wait_loadcnt 0x0
	s_delay_alu instid0(VALU_DEP_1) | instskip(SKIP_3) | instid1(SALU_CYCLE_1)
	v_mad_u32 v22, v22, s39, v23
	global_store_b32 v[20:21], v22, off offset:64
	s_wait_xcnt 0x0
	s_or_b32 exec_lo, exec_lo, s18
	s_and_b32 exec_lo, exec_lo, s5
	s_cbranch_execz .LBB497_23
.LBB497_19:                             ;   in Loop: Header=BB497_4 Depth=1
	v_lshl_add_u64 v[16:17], s[6:7], 2, v[16:17]
	v_lshl_add_u64 v[18:19], s[8:9], 2, v[18:19]
	s_delay_alu instid0(VALU_DEP_2) | instskip(NEXT) | instid1(VALU_DEP_2)
	v_add_nc_u64_e32 v[16:17], v[16:17], v[14:15]
	v_add_nc_u64_e32 v[14:15], v[18:19], v[14:15]
	s_and_saveexec_b32 s18, s3
	s_cbranch_execz .LBB497_21
; %bb.20:                               ;   in Loop: Header=BB497_4 Depth=1
	global_load_b32 v18, v[16:17], off
	v_mul_lo_u32 v19, v29, s38
	s_wait_loadcnt 0x0
	s_delay_alu instid0(VALU_DEP_1)
	v_mad_u32 v18, v18, s39, v19
	global_store_b32 v[14:15], v18, off
.LBB497_21:                             ;   in Loop: Header=BB497_4 Depth=1
	s_wait_xcnt 0x0
	s_or_b32 exec_lo, exec_lo, s18
	s_delay_alu instid0(SALU_CYCLE_1)
	s_and_b32 exec_lo, exec_lo, s4
	s_cbranch_execz .LBB497_23
; %bb.22:                               ;   in Loop: Header=BB497_4 Depth=1
	global_load_b32 v16, v[16:17], off offset:64
	s_wait_xcnt 0x0
	v_mul_lo_u32 v17, v28, s38
	s_wait_loadcnt 0x0
	s_delay_alu instid0(VALU_DEP_1)
	v_mad_u32 v16, v16, s39, v17
	global_store_b32 v[14:15], v16, off offset:64
.LBB497_23:                             ;   in Loop: Header=BB497_4 Depth=1
	s_wait_xcnt 0x0
	s_or_b32 exec_lo, exec_lo, s17
	s_cbranch_execnz .LBB497_3
.LBB497_24:                             ;   in Loop: Header=BB497_4 Depth=1
	s_and_saveexec_b32 s17, s2
	s_cbranch_execz .LBB497_2
; %bb.25:                               ;   in Loop: Header=BB497_4 Depth=1
	v_lshl_add_u64 v[14:15], v[4:5], 2, s[14:15]
	s_delay_alu instid0(VALU_DEP_1)
	v_lshl_add_u64 v[16:17], v[6:7], 2, v[14:15]
	s_and_saveexec_b32 s14, s3
	s_cbranch_execnz .LBB497_28
; %bb.26:                               ;   in Loop: Header=BB497_4 Depth=1
	s_or_b32 exec_lo, exec_lo, s14
	s_and_saveexec_b32 s14, s4
	s_cbranch_execnz .LBB497_29
.LBB497_27:                             ;   in Loop: Header=BB497_4 Depth=1
	s_or_b32 exec_lo, exec_lo, s14
	s_delay_alu instid0(SALU_CYCLE_1)
	s_and_b32 exec_lo, exec_lo, s5
	s_cbranch_execz .LBB497_2
	s_branch .LBB497_30
.LBB497_28:                             ;   in Loop: Header=BB497_4 Depth=1
	v_mul_lo_u32 v18, v31, s38
	global_store_b32 v[16:17], v18, off
	s_wait_xcnt 0x0
	s_or_b32 exec_lo, exec_lo, s14
	s_and_saveexec_b32 s14, s4
	s_cbranch_execz .LBB497_27
.LBB497_29:                             ;   in Loop: Header=BB497_4 Depth=1
	v_mul_lo_u32 v18, v30, s38
	global_store_b32 v[16:17], v18, off offset:64
	s_wait_xcnt 0x0
	s_or_b32 exec_lo, exec_lo, s14
	s_delay_alu instid0(SALU_CYCLE_1)
	s_and_b32 exec_lo, exec_lo, s5
	s_cbranch_execz .LBB497_2
.LBB497_30:                             ;   in Loop: Header=BB497_4 Depth=1
	v_lshl_add_u64 v[14:15], s[8:9], 2, v[14:15]
	s_delay_alu instid0(VALU_DEP_1)
	v_lshl_add_u64 v[14:15], v[6:7], 2, v[14:15]
	s_and_saveexec_b32 s14, s3
	s_cbranch_execz .LBB497_32
; %bb.31:                               ;   in Loop: Header=BB497_4 Depth=1
	v_mul_lo_u32 v16, v29, s38
	global_store_b32 v[14:15], v16, off
.LBB497_32:                             ;   in Loop: Header=BB497_4 Depth=1
	s_wait_xcnt 0x0
	s_or_b32 exec_lo, exec_lo, s14
	s_delay_alu instid0(SALU_CYCLE_1)
	s_and_b32 exec_lo, exec_lo, s4
	s_cbranch_execz .LBB497_2
; %bb.33:                               ;   in Loop: Header=BB497_4 Depth=1
	v_mul_lo_u32 v16, v28, s38
	global_store_b32 v[14:15], v16, off offset:64
	s_branch .LBB497_2
.LBB497_34:
	s_endpgm
	.section	.rodata,"a",@progbits
	.p2align	6, 0x0
	.amdhsa_kernel _ZN12_GLOBAL__N_135rocblas_gemm_batched_general_kernelIiLi16ELi16ELi32ELi32ELi8ELi32ELi8ELi8ELi32ELc67ELc84EKaKiiEEvlllT_PT11_llS5_llS3_PT12_llPT13_lli
		.amdhsa_group_segment_fixed_size 2048
		.amdhsa_private_segment_fixed_size 0
		.amdhsa_kernarg_size 140
		.amdhsa_user_sgpr_count 2
		.amdhsa_user_sgpr_dispatch_ptr 0
		.amdhsa_user_sgpr_queue_ptr 0
		.amdhsa_user_sgpr_kernarg_segment_ptr 1
		.amdhsa_user_sgpr_dispatch_id 0
		.amdhsa_user_sgpr_kernarg_preload_length 0
		.amdhsa_user_sgpr_kernarg_preload_offset 0
		.amdhsa_user_sgpr_private_segment_size 0
		.amdhsa_wavefront_size32 1
		.amdhsa_uses_dynamic_stack 0
		.amdhsa_enable_private_segment 0
		.amdhsa_system_sgpr_workgroup_id_x 1
		.amdhsa_system_sgpr_workgroup_id_y 1
		.amdhsa_system_sgpr_workgroup_id_z 1
		.amdhsa_system_sgpr_workgroup_info 0
		.amdhsa_system_vgpr_workitem_id 1
		.amdhsa_next_free_vgpr 48
		.amdhsa_next_free_sgpr 44
		.amdhsa_named_barrier_count 0
		.amdhsa_reserve_vcc 1
		.amdhsa_float_round_mode_32 0
		.amdhsa_float_round_mode_16_64 0
		.amdhsa_float_denorm_mode_32 3
		.amdhsa_float_denorm_mode_16_64 3
		.amdhsa_fp16_overflow 0
		.amdhsa_memory_ordered 1
		.amdhsa_forward_progress 1
		.amdhsa_inst_pref_size 15
		.amdhsa_round_robin_scheduling 0
		.amdhsa_exception_fp_ieee_invalid_op 0
		.amdhsa_exception_fp_denorm_src 0
		.amdhsa_exception_fp_ieee_div_zero 0
		.amdhsa_exception_fp_ieee_overflow 0
		.amdhsa_exception_fp_ieee_underflow 0
		.amdhsa_exception_fp_ieee_inexact 0
		.amdhsa_exception_int_div_zero 0
	.end_amdhsa_kernel
	.section	.text._ZN12_GLOBAL__N_135rocblas_gemm_batched_general_kernelIiLi16ELi16ELi32ELi32ELi8ELi32ELi8ELi8ELi32ELc67ELc84EKaKiiEEvlllT_PT11_llS5_llS3_PT12_llPT13_lli,"axG",@progbits,_ZN12_GLOBAL__N_135rocblas_gemm_batched_general_kernelIiLi16ELi16ELi32ELi32ELi8ELi32ELi8ELi8ELi32ELc67ELc84EKaKiiEEvlllT_PT11_llS5_llS3_PT12_llPT13_lli,comdat
.Lfunc_end497:
	.size	_ZN12_GLOBAL__N_135rocblas_gemm_batched_general_kernelIiLi16ELi16ELi32ELi32ELi8ELi32ELi8ELi8ELi32ELc67ELc84EKaKiiEEvlllT_PT11_llS5_llS3_PT12_llPT13_lli, .Lfunc_end497-_ZN12_GLOBAL__N_135rocblas_gemm_batched_general_kernelIiLi16ELi16ELi32ELi32ELi8ELi32ELi8ELi8ELi32ELc67ELc84EKaKiiEEvlllT_PT11_llS5_llS3_PT12_llPT13_lli
                                        ; -- End function
	.set _ZN12_GLOBAL__N_135rocblas_gemm_batched_general_kernelIiLi16ELi16ELi32ELi32ELi8ELi32ELi8ELi8ELi32ELc67ELc84EKaKiiEEvlllT_PT11_llS5_llS3_PT12_llPT13_lli.num_vgpr, 48
	.set _ZN12_GLOBAL__N_135rocblas_gemm_batched_general_kernelIiLi16ELi16ELi32ELi32ELi8ELi32ELi8ELi8ELi32ELc67ELc84EKaKiiEEvlllT_PT11_llS5_llS3_PT12_llPT13_lli.num_agpr, 0
	.set _ZN12_GLOBAL__N_135rocblas_gemm_batched_general_kernelIiLi16ELi16ELi32ELi32ELi8ELi32ELi8ELi8ELi32ELc67ELc84EKaKiiEEvlllT_PT11_llS5_llS3_PT12_llPT13_lli.numbered_sgpr, 44
	.set _ZN12_GLOBAL__N_135rocblas_gemm_batched_general_kernelIiLi16ELi16ELi32ELi32ELi8ELi32ELi8ELi8ELi32ELc67ELc84EKaKiiEEvlllT_PT11_llS5_llS3_PT12_llPT13_lli.num_named_barrier, 0
	.set _ZN12_GLOBAL__N_135rocblas_gemm_batched_general_kernelIiLi16ELi16ELi32ELi32ELi8ELi32ELi8ELi8ELi32ELc67ELc84EKaKiiEEvlllT_PT11_llS5_llS3_PT12_llPT13_lli.private_seg_size, 0
	.set _ZN12_GLOBAL__N_135rocblas_gemm_batched_general_kernelIiLi16ELi16ELi32ELi32ELi8ELi32ELi8ELi8ELi32ELc67ELc84EKaKiiEEvlllT_PT11_llS5_llS3_PT12_llPT13_lli.uses_vcc, 1
	.set _ZN12_GLOBAL__N_135rocblas_gemm_batched_general_kernelIiLi16ELi16ELi32ELi32ELi8ELi32ELi8ELi8ELi32ELc67ELc84EKaKiiEEvlllT_PT11_llS5_llS3_PT12_llPT13_lli.uses_flat_scratch, 0
	.set _ZN12_GLOBAL__N_135rocblas_gemm_batched_general_kernelIiLi16ELi16ELi32ELi32ELi8ELi32ELi8ELi8ELi32ELc67ELc84EKaKiiEEvlllT_PT11_llS5_llS3_PT12_llPT13_lli.has_dyn_sized_stack, 0
	.set _ZN12_GLOBAL__N_135rocblas_gemm_batched_general_kernelIiLi16ELi16ELi32ELi32ELi8ELi32ELi8ELi8ELi32ELc67ELc84EKaKiiEEvlllT_PT11_llS5_llS3_PT12_llPT13_lli.has_recursion, 0
	.set _ZN12_GLOBAL__N_135rocblas_gemm_batched_general_kernelIiLi16ELi16ELi32ELi32ELi8ELi32ELi8ELi8ELi32ELc67ELc84EKaKiiEEvlllT_PT11_llS5_llS3_PT12_llPT13_lli.has_indirect_call, 0
	.section	.AMDGPU.csdata,"",@progbits
; Kernel info:
; codeLenInByte = 1876
; TotalNumSgprs: 46
; NumVgprs: 48
; ScratchSize: 0
; MemoryBound: 0
; FloatMode: 240
; IeeeMode: 1
; LDSByteSize: 2048 bytes/workgroup (compile time only)
; SGPRBlocks: 0
; VGPRBlocks: 2
; NumSGPRsForWavesPerEU: 46
; NumVGPRsForWavesPerEU: 48
; NamedBarCnt: 0
; Occupancy: 16
; WaveLimiterHint : 0
; COMPUTE_PGM_RSRC2:SCRATCH_EN: 0
; COMPUTE_PGM_RSRC2:USER_SGPR: 2
; COMPUTE_PGM_RSRC2:TRAP_HANDLER: 0
; COMPUTE_PGM_RSRC2:TGID_X_EN: 1
; COMPUTE_PGM_RSRC2:TGID_Y_EN: 1
; COMPUTE_PGM_RSRC2:TGID_Z_EN: 1
; COMPUTE_PGM_RSRC2:TIDIG_COMP_CNT: 1
	.section	.text._ZN12_GLOBAL__N_135rocblas_gemm_batched_general_kernelIiLi16ELi16ELi32ELi32ELi8ELi32ELi8ELi8ELi32ELc78ELc67EKaKiiEEvlllT_PT11_llS5_llS3_PT12_llPT13_lli,"axG",@progbits,_ZN12_GLOBAL__N_135rocblas_gemm_batched_general_kernelIiLi16ELi16ELi32ELi32ELi8ELi32ELi8ELi8ELi32ELc78ELc67EKaKiiEEvlllT_PT11_llS5_llS3_PT12_llPT13_lli,comdat
	.globl	_ZN12_GLOBAL__N_135rocblas_gemm_batched_general_kernelIiLi16ELi16ELi32ELi32ELi8ELi32ELi8ELi8ELi32ELc78ELc67EKaKiiEEvlllT_PT11_llS5_llS3_PT12_llPT13_lli ; -- Begin function _ZN12_GLOBAL__N_135rocblas_gemm_batched_general_kernelIiLi16ELi16ELi32ELi32ELi8ELi32ELi8ELi8ELi32ELc78ELc67EKaKiiEEvlllT_PT11_llS5_llS3_PT12_llPT13_lli
	.p2align	8
	.type	_ZN12_GLOBAL__N_135rocblas_gemm_batched_general_kernelIiLi16ELi16ELi32ELi32ELi8ELi32ELi8ELi8ELi32ELc78ELc67EKaKiiEEvlllT_PT11_llS5_llS3_PT12_llPT13_lli,@function
_ZN12_GLOBAL__N_135rocblas_gemm_batched_general_kernelIiLi16ELi16ELi32ELi32ELi8ELi32ELi8ELi8ELi32ELc78ELc67EKaKiiEEvlllT_PT11_llS5_llS3_PT12_llPT13_lli: ; @_ZN12_GLOBAL__N_135rocblas_gemm_batched_general_kernelIiLi16ELi16ELi32ELi32ELi8ELi32ELi8ELi8ELi32ELc78ELc67EKaKiiEEvlllT_PT11_llS5_llS3_PT12_llPT13_lli
; %bb.0:
	s_load_b32 s33, s[0:1], 0x88
	s_bfe_u32 s2, ttmp6, 0x40014
	s_lshr_b32 s3, ttmp7, 16
	s_add_co_i32 s2, s2, 1
	s_bfe_u32 s5, ttmp6, 0x40008
	s_mul_i32 s4, s3, s2
	s_getreg_b32 s2, hwreg(HW_REG_IB_STS2, 6, 4)
	s_add_co_i32 s5, s5, s4
	s_cmp_eq_u32 s2, 0
	s_mov_b32 s35, 0
	s_cselect_b32 s34, s3, s5
	s_wait_kmcnt 0x0
	s_cmp_ge_i32 s34, s33
	s_cbranch_scc1 .LBB498_34
; %bb.1:
	s_clause 0x6
	s_load_b128 s[4:7], s[0:1], 0x0
	s_load_b96 s[36:38], s[0:1], 0x10
	s_load_b256 s[8:15], s[0:1], 0x20
	s_load_b128 s[24:27], s[0:1], 0x40
	s_load_b32 s39, s[0:1], 0x50
	s_load_b128 s[28:31], s[0:1], 0x78
	s_load_b256 s[16:23], s[0:1], 0x58
	s_wait_xcnt 0x0
	s_bfe_u32 s0, ttmp6, 0x4000c
	s_bfe_u32 s3, ttmp6, 0x40010
	s_add_co_i32 s0, s0, 1
	s_and_b32 s40, ttmp7, 0xffff
	s_add_co_i32 s3, s3, 1
	v_bfe_u32 v8, v0, 10, 10
	v_and_b32_e32 v10, 0x3ff, v0
	s_and_b32 s1, ttmp6, 15
	s_mul_i32 s0, ttmp9, s0
	s_mul_i32 s3, s40, s3
	s_bfe_u32 s41, ttmp6, 0x40004
	s_add_co_i32 s1, s1, s0
	s_add_co_i32 s41, s41, s3
	s_cmp_eq_u32 s2, 0
	v_lshl_add_u32 v1, v8, 4, v10
	v_mov_b32_e32 v9, 0
	s_cselect_b32 s2, s40, s41
	s_cselect_b32 s0, ttmp9, s1
	s_lshl_b32 s42, s2, 5
	s_mov_b32 s43, s35
	v_and_b32_e32 v12, 31, v1
	v_add_nc_u64_e32 v[14:15], s[42:43], v[8:9]
	v_dual_mov_b32 v3, v9 :: v_dual_lshrrev_b32 v2, 5, v1
	s_ashr_i32 s1, s0, 31
	v_dual_lshrrev_b32 v6, 3, v1 :: v_dual_bitop2_b32 v0, 7, v0 bitop3:0x40
	s_lshl_b64 s[2:3], s[0:1], 5
	s_wait_kmcnt 0x0
	s_delay_alu instid0(VALU_DEP_3)
	v_mul_u64_e32 v[16:17], s[18:19], v[14:15]
	v_mad_nc_u64_u32 v[20:21], s10, v2, s[2:3]
	v_dual_mov_b32 v7, v9 :: v_dual_bitop2_b32 v18, s2, v12 bitop3:0x54
	v_dual_mov_b32 v19, s3 :: v_dual_mov_b32 v1, v9
	v_mul_u64_e32 v[4:5], s[28:29], v[14:15]
	v_dual_mov_b32 v11, v9 :: v_dual_mov_b32 v13, v9
	s_delay_alu instid0(VALU_DEP_3)
	v_cmp_gt_i64_e64 s0, s[4:5], v[18:19]
	v_mad_nc_u64_u32 v[18:19], s24, v0, v[6:7]
	v_dual_lshlrev_b32 v9, 2, v0 :: v_dual_lshlrev_b32 v26, 2, v10
	v_mad_u32 v21, s11, v2, v21
	v_add_nc_u64_e32 v[22:23], s[42:43], v[6:7]
	v_lshlrev_b32_e32 v24, 2, v12
	s_delay_alu instid0(VALU_DEP_4)
	v_lshl_or_b32 v9, v6, 5, v9
	v_add_nc_u64_e32 v[6:7], s[2:3], v[10:11]
	s_cmp_lg_u32 s39, 0
	s_add_nc_u64 s[14:15], s[14:15], s[42:43]
	s_cselect_b32 s40, -1, 0
	v_mad_u32 v19, s25, v0, v19
	v_cmp_gt_i64_e64 s1, s[6:7], v[22:23]
	v_add_nc_u64_e32 v[22:23], 16, v[14:15]
	v_add_nc_u64_e32 v[10:11], 16, v[6:7]
	v_add_nc_u64_e32 v[12:13], v[20:21], v[12:13]
	v_cmp_gt_i64_e64 s2, s[6:7], v[14:15]
	v_cmp_gt_i64_e64 s3, s[4:5], v[6:7]
	v_lshl_or_b32 v24, v2, 7, v24
	v_add_nc_u32_e32 v25, 0x400, v9
	v_lshl_add_u32 v27, v8, 5, 0x400
	v_cmp_gt_i64_e64 s4, s[4:5], v[10:11]
	v_cmp_gt_i64_e64 s5, s[6:7], v[22:23]
	s_lshl_b64 s[6:7], s[18:19], 4
	v_add_nc_u64_e32 v[10:11], s[14:15], v[18:19]
	v_add_nc_u64_e32 v[12:13], s[8:9], v[12:13]
	v_cmp_gt_i64_e64 s18, s[36:37], 0
	v_lshl_add_u64 v[8:9], v[16:17], 2, s[16:17]
	s_lshl_b64 s[8:9], s[28:29], 4
	s_lshl_b64 s[14:15], s[24:25], 3
	s_lshl_b64 s[10:11], s[10:11], 3
	s_branch .LBB498_4
.LBB498_2:                              ;   in Loop: Header=BB498_4 Depth=1
	s_wait_xcnt 0x0
	s_or_b32 exec_lo, exec_lo, s19
.LBB498_3:                              ;   in Loop: Header=BB498_4 Depth=1
	s_add_co_i32 s34, s34, 0x10000
	s_delay_alu instid0(SALU_CYCLE_1)
	s_cmp_lt_i32 s34, s33
	s_cbranch_scc0 .LBB498_34
.LBB498_4:                              ; =>This Loop Header: Depth=1
                                        ;     Child Loop BB498_7 Depth 2
	v_dual_mov_b32 v30, 0 :: v_dual_mov_b32 v31, 0
	v_dual_mov_b32 v28, 0 :: v_dual_mov_b32 v29, 0
	s_and_not1_b32 vcc_lo, exec_lo, s18
	s_cbranch_vccnz .LBB498_11
; %bb.5:                                ;   in Loop: Header=BB498_4 Depth=1
	v_mad_nc_u64_u32 v[14:15], s26, s34, v[10:11]
	v_mad_nc_u64_u32 v[16:17], s12, s34, v[12:13]
	v_dual_mov_b32 v31, 0 :: v_dual_mov_b32 v30, 0
	v_dual_mov_b32 v29, 0 :: v_dual_mov_b32 v28, 0
	s_mov_b64 s[16:17], 0
	s_delay_alu instid0(VALU_DEP_4) | instskip(NEXT) | instid1(VALU_DEP_4)
	v_mad_u32 v15, s27, s34, v15
	v_mad_u32 v17, s13, s34, v17
	s_branch .LBB498_7
.LBB498_6:                              ;   in Loop: Header=BB498_7 Depth=2
	s_wait_xcnt 0x0
	s_or_b32 exec_lo, exec_lo, s19
	s_wait_loadcnt 0x0
	ds_store_b32 v25, v19
	s_wait_dscnt 0x0
	s_barrier_signal -1
	s_barrier_wait -1
	ds_load_b128 v[18:21], v27
	ds_load_2addr_b32 v[22:23], v26 offset1:16
	ds_load_b128 v[32:35], v27 offset:512
	ds_load_2addr_b32 v[44:45], v26 offset0:32 offset1:48
	ds_load_b128 v[36:39], v27 offset:16
	ds_load_2addr_b32 v[46:47], v26 offset0:64 offset1:80
	ds_load_b128 v[40:43], v27 offset:528
	s_add_nc_u64 s[16:17], s[16:17], 8
	v_add_nc_u64_e32 v[14:15], s[14:15], v[14:15]
	v_cmp_lt_i64_e64 s19, s[16:17], s[36:37]
	v_add_nc_u64_e32 v[16:17], s[10:11], v[16:17]
	s_and_b32 vcc_lo, exec_lo, s19
	s_wait_dscnt 0x5
	v_mad_u32 v31, v18, v22, v31
	v_mad_u32 v18, v18, v23, v30
	s_wait_dscnt 0x4
	v_mad_u32 v29, v32, v22, v29
	v_mad_u32 v28, v32, v23, v28
	ds_load_2addr_b32 v[22:23], v26 offset0:96 offset1:112
	s_wait_dscnt 0x4
	v_mad_u32 v30, v19, v44, v31
	v_mad_u32 v31, v19, v45, v18
	v_mad_u32 v29, v33, v44, v29
	v_mad_u32 v28, v33, v45, v28
	ds_load_2addr_b32 v[18:19], v26 offset0:128 offset1:144
	s_wait_dscnt 0x3
	v_mad_u32 v30, v20, v46, v30
	v_mad_u32 v20, v20, v47, v31
	;; [unrolled: 6-line block ×4, first 2 shown]
	v_mad_u32 v22, v40, v18, v22
	v_mad_u32 v23, v40, v19, v23
	ds_load_2addr_b32 v[18:19], v26 offset0:224 offset1:240
	s_wait_dscnt 0x0
	s_barrier_signal -1
	s_barrier_wait -1
	v_mad_u32 v30, v37, v28, v30
	v_mad_u32 v31, v37, v29, v31
	;; [unrolled: 1-line block ×4, first 2 shown]
	s_delay_alu instid0(VALU_DEP_4) | instskip(NEXT) | instid1(VALU_DEP_4)
	v_mad_u32 v28, v38, v20, v30
	v_mad_u32 v29, v38, v21, v31
	s_delay_alu instid0(VALU_DEP_4) | instskip(NEXT) | instid1(VALU_DEP_4)
	v_mad_u32 v20, v42, v20, v22
	v_mad_u32 v21, v42, v21, v23
	;; [unrolled: 3-line block ×4, first 2 shown]
	s_cbranch_vccz .LBB498_11
.LBB498_7:                              ;   Parent Loop BB498_4 Depth=1
                                        ; =>  This Inner Loop Header: Depth=2
	v_add_nc_u64_e32 v[18:19], s[16:17], v[2:3]
	s_delay_alu instid0(VALU_DEP_1) | instskip(SKIP_2) | instid1(SALU_CYCLE_1)
	v_cmp_gt_i64_e32 vcc_lo, s[36:37], v[18:19]
	v_mov_b32_e32 v18, 0
	s_and_b32 s24, s0, vcc_lo
	s_and_saveexec_b32 s19, s24
	s_cbranch_execz .LBB498_9
; %bb.8:                                ;   in Loop: Header=BB498_7 Depth=2
	global_load_i8 v18, v[16:17], off
.LBB498_9:                              ;   in Loop: Header=BB498_7 Depth=2
	s_wait_xcnt 0x0
	s_or_b32 exec_lo, exec_lo, s19
	v_add_nc_u64_e32 v[20:21], s[16:17], v[0:1]
	v_mov_b32_e32 v19, 0
	s_wait_loadcnt 0x0
	ds_store_b32 v24, v18
	v_cmp_gt_i64_e32 vcc_lo, s[36:37], v[20:21]
	s_and_b32 s24, vcc_lo, s1
	s_delay_alu instid0(SALU_CYCLE_1)
	s_and_saveexec_b32 s19, s24
	s_cbranch_execz .LBB498_6
; %bb.10:                               ;   in Loop: Header=BB498_7 Depth=2
	global_load_i8 v19, v[14:15], off
	s_branch .LBB498_6
.LBB498_11:                             ;   in Loop: Header=BB498_4 Depth=1
	s_mul_u64 s[16:17], s[30:31], s[34:35]
	s_and_not1_b32 vcc_lo, exec_lo, s40
	s_lshl_b64 s[16:17], s[16:17], 2
	s_delay_alu instid0(SALU_CYCLE_1)
	s_add_nc_u64 s[16:17], s[22:23], s[16:17]
	s_cbranch_vccnz .LBB498_16
; %bb.12:                               ;   in Loop: Header=BB498_4 Depth=1
	s_and_saveexec_b32 s19, s2
	s_cbranch_execz .LBB498_23
; %bb.13:                               ;   in Loop: Header=BB498_4 Depth=1
	s_mul_u64 s[24:25], s[20:21], s[34:35]
	v_lshlrev_b64_e32 v[14:15], 2, v[6:7]
	v_lshl_add_u64 v[16:17], s[24:25], 2, v[8:9]
	v_lshl_add_u64 v[18:19], v[4:5], 2, s[16:17]
	s_delay_alu instid0(VALU_DEP_2) | instskip(NEXT) | instid1(VALU_DEP_2)
	v_add_nc_u64_e32 v[22:23], v[16:17], v[14:15]
	v_add_nc_u64_e32 v[20:21], v[18:19], v[14:15]
	s_and_saveexec_b32 s24, s3
	s_cbranch_execnz .LBB498_17
; %bb.14:                               ;   in Loop: Header=BB498_4 Depth=1
	s_or_b32 exec_lo, exec_lo, s24
	s_and_saveexec_b32 s24, s4
	s_cbranch_execnz .LBB498_18
.LBB498_15:                             ;   in Loop: Header=BB498_4 Depth=1
	s_or_b32 exec_lo, exec_lo, s24
	s_delay_alu instid0(SALU_CYCLE_1)
	s_and_b32 exec_lo, exec_lo, s5
	s_cbranch_execnz .LBB498_19
	s_branch .LBB498_23
.LBB498_16:                             ;   in Loop: Header=BB498_4 Depth=1
	s_branch .LBB498_24
.LBB498_17:                             ;   in Loop: Header=BB498_4 Depth=1
	global_load_b32 v32, v[22:23], off
	v_mul_lo_u32 v33, v31, s38
	s_wait_loadcnt 0x0
	s_delay_alu instid0(VALU_DEP_1)
	v_mad_u32 v32, v32, s39, v33
	global_store_b32 v[20:21], v32, off
	s_wait_xcnt 0x0
	s_or_b32 exec_lo, exec_lo, s24
	s_and_saveexec_b32 s24, s4
	s_cbranch_execz .LBB498_15
.LBB498_18:                             ;   in Loop: Header=BB498_4 Depth=1
	global_load_b32 v22, v[22:23], off offset:64
	s_wait_xcnt 0x0
	v_mul_lo_u32 v23, v30, s38
	s_wait_loadcnt 0x0
	s_delay_alu instid0(VALU_DEP_1) | instskip(SKIP_3) | instid1(SALU_CYCLE_1)
	v_mad_u32 v22, v22, s39, v23
	global_store_b32 v[20:21], v22, off offset:64
	s_wait_xcnt 0x0
	s_or_b32 exec_lo, exec_lo, s24
	s_and_b32 exec_lo, exec_lo, s5
	s_cbranch_execz .LBB498_23
.LBB498_19:                             ;   in Loop: Header=BB498_4 Depth=1
	v_lshl_add_u64 v[16:17], s[6:7], 2, v[16:17]
	v_lshl_add_u64 v[18:19], s[8:9], 2, v[18:19]
	s_delay_alu instid0(VALU_DEP_2) | instskip(NEXT) | instid1(VALU_DEP_2)
	v_add_nc_u64_e32 v[16:17], v[16:17], v[14:15]
	v_add_nc_u64_e32 v[14:15], v[18:19], v[14:15]
	s_and_saveexec_b32 s24, s3
	s_cbranch_execz .LBB498_21
; %bb.20:                               ;   in Loop: Header=BB498_4 Depth=1
	global_load_b32 v18, v[16:17], off
	v_mul_lo_u32 v19, v29, s38
	s_wait_loadcnt 0x0
	s_delay_alu instid0(VALU_DEP_1)
	v_mad_u32 v18, v18, s39, v19
	global_store_b32 v[14:15], v18, off
.LBB498_21:                             ;   in Loop: Header=BB498_4 Depth=1
	s_wait_xcnt 0x0
	s_or_b32 exec_lo, exec_lo, s24
	s_delay_alu instid0(SALU_CYCLE_1)
	s_and_b32 exec_lo, exec_lo, s4
	s_cbranch_execz .LBB498_23
; %bb.22:                               ;   in Loop: Header=BB498_4 Depth=1
	global_load_b32 v16, v[16:17], off offset:64
	s_wait_xcnt 0x0
	v_mul_lo_u32 v17, v28, s38
	s_wait_loadcnt 0x0
	s_delay_alu instid0(VALU_DEP_1)
	v_mad_u32 v16, v16, s39, v17
	global_store_b32 v[14:15], v16, off offset:64
.LBB498_23:                             ;   in Loop: Header=BB498_4 Depth=1
	s_wait_xcnt 0x0
	s_or_b32 exec_lo, exec_lo, s19
	s_cbranch_execnz .LBB498_3
.LBB498_24:                             ;   in Loop: Header=BB498_4 Depth=1
	s_and_saveexec_b32 s19, s2
	s_cbranch_execz .LBB498_2
; %bb.25:                               ;   in Loop: Header=BB498_4 Depth=1
	v_lshl_add_u64 v[14:15], v[4:5], 2, s[16:17]
	s_delay_alu instid0(VALU_DEP_1)
	v_lshl_add_u64 v[16:17], v[6:7], 2, v[14:15]
	s_and_saveexec_b32 s16, s3
	s_cbranch_execnz .LBB498_28
; %bb.26:                               ;   in Loop: Header=BB498_4 Depth=1
	s_or_b32 exec_lo, exec_lo, s16
	s_and_saveexec_b32 s16, s4
	s_cbranch_execnz .LBB498_29
.LBB498_27:                             ;   in Loop: Header=BB498_4 Depth=1
	s_or_b32 exec_lo, exec_lo, s16
	s_delay_alu instid0(SALU_CYCLE_1)
	s_and_b32 exec_lo, exec_lo, s5
	s_cbranch_execz .LBB498_2
	s_branch .LBB498_30
.LBB498_28:                             ;   in Loop: Header=BB498_4 Depth=1
	v_mul_lo_u32 v18, v31, s38
	global_store_b32 v[16:17], v18, off
	s_wait_xcnt 0x0
	s_or_b32 exec_lo, exec_lo, s16
	s_and_saveexec_b32 s16, s4
	s_cbranch_execz .LBB498_27
.LBB498_29:                             ;   in Loop: Header=BB498_4 Depth=1
	v_mul_lo_u32 v18, v30, s38
	global_store_b32 v[16:17], v18, off offset:64
	s_wait_xcnt 0x0
	s_or_b32 exec_lo, exec_lo, s16
	s_delay_alu instid0(SALU_CYCLE_1)
	s_and_b32 exec_lo, exec_lo, s5
	s_cbranch_execz .LBB498_2
.LBB498_30:                             ;   in Loop: Header=BB498_4 Depth=1
	v_lshl_add_u64 v[14:15], s[8:9], 2, v[14:15]
	s_delay_alu instid0(VALU_DEP_1)
	v_lshl_add_u64 v[14:15], v[6:7], 2, v[14:15]
	s_and_saveexec_b32 s16, s3
	s_cbranch_execz .LBB498_32
; %bb.31:                               ;   in Loop: Header=BB498_4 Depth=1
	v_mul_lo_u32 v16, v29, s38
	global_store_b32 v[14:15], v16, off
.LBB498_32:                             ;   in Loop: Header=BB498_4 Depth=1
	s_wait_xcnt 0x0
	s_or_b32 exec_lo, exec_lo, s16
	s_delay_alu instid0(SALU_CYCLE_1)
	s_and_b32 exec_lo, exec_lo, s4
	s_cbranch_execz .LBB498_2
; %bb.33:                               ;   in Loop: Header=BB498_4 Depth=1
	v_mul_lo_u32 v16, v28, s38
	global_store_b32 v[14:15], v16, off offset:64
	s_branch .LBB498_2
.LBB498_34:
	s_endpgm
	.section	.rodata,"a",@progbits
	.p2align	6, 0x0
	.amdhsa_kernel _ZN12_GLOBAL__N_135rocblas_gemm_batched_general_kernelIiLi16ELi16ELi32ELi32ELi8ELi32ELi8ELi8ELi32ELc78ELc67EKaKiiEEvlllT_PT11_llS5_llS3_PT12_llPT13_lli
		.amdhsa_group_segment_fixed_size 2048
		.amdhsa_private_segment_fixed_size 0
		.amdhsa_kernarg_size 140
		.amdhsa_user_sgpr_count 2
		.amdhsa_user_sgpr_dispatch_ptr 0
		.amdhsa_user_sgpr_queue_ptr 0
		.amdhsa_user_sgpr_kernarg_segment_ptr 1
		.amdhsa_user_sgpr_dispatch_id 0
		.amdhsa_user_sgpr_kernarg_preload_length 0
		.amdhsa_user_sgpr_kernarg_preload_offset 0
		.amdhsa_user_sgpr_private_segment_size 0
		.amdhsa_wavefront_size32 1
		.amdhsa_uses_dynamic_stack 0
		.amdhsa_enable_private_segment 0
		.amdhsa_system_sgpr_workgroup_id_x 1
		.amdhsa_system_sgpr_workgroup_id_y 1
		.amdhsa_system_sgpr_workgroup_id_z 1
		.amdhsa_system_sgpr_workgroup_info 0
		.amdhsa_system_vgpr_workitem_id 1
		.amdhsa_next_free_vgpr 48
		.amdhsa_next_free_sgpr 44
		.amdhsa_named_barrier_count 0
		.amdhsa_reserve_vcc 1
		.amdhsa_float_round_mode_32 0
		.amdhsa_float_round_mode_16_64 0
		.amdhsa_float_denorm_mode_32 3
		.amdhsa_float_denorm_mode_16_64 3
		.amdhsa_fp16_overflow 0
		.amdhsa_memory_ordered 1
		.amdhsa_forward_progress 1
		.amdhsa_inst_pref_size 15
		.amdhsa_round_robin_scheduling 0
		.amdhsa_exception_fp_ieee_invalid_op 0
		.amdhsa_exception_fp_denorm_src 0
		.amdhsa_exception_fp_ieee_div_zero 0
		.amdhsa_exception_fp_ieee_overflow 0
		.amdhsa_exception_fp_ieee_underflow 0
		.amdhsa_exception_fp_ieee_inexact 0
		.amdhsa_exception_int_div_zero 0
	.end_amdhsa_kernel
	.section	.text._ZN12_GLOBAL__N_135rocblas_gemm_batched_general_kernelIiLi16ELi16ELi32ELi32ELi8ELi32ELi8ELi8ELi32ELc78ELc67EKaKiiEEvlllT_PT11_llS5_llS3_PT12_llPT13_lli,"axG",@progbits,_ZN12_GLOBAL__N_135rocblas_gemm_batched_general_kernelIiLi16ELi16ELi32ELi32ELi8ELi32ELi8ELi8ELi32ELc78ELc67EKaKiiEEvlllT_PT11_llS5_llS3_PT12_llPT13_lli,comdat
.Lfunc_end498:
	.size	_ZN12_GLOBAL__N_135rocblas_gemm_batched_general_kernelIiLi16ELi16ELi32ELi32ELi8ELi32ELi8ELi8ELi32ELc78ELc67EKaKiiEEvlllT_PT11_llS5_llS3_PT12_llPT13_lli, .Lfunc_end498-_ZN12_GLOBAL__N_135rocblas_gemm_batched_general_kernelIiLi16ELi16ELi32ELi32ELi8ELi32ELi8ELi8ELi32ELc78ELc67EKaKiiEEvlllT_PT11_llS5_llS3_PT12_llPT13_lli
                                        ; -- End function
	.set _ZN12_GLOBAL__N_135rocblas_gemm_batched_general_kernelIiLi16ELi16ELi32ELi32ELi8ELi32ELi8ELi8ELi32ELc78ELc67EKaKiiEEvlllT_PT11_llS5_llS3_PT12_llPT13_lli.num_vgpr, 48
	.set _ZN12_GLOBAL__N_135rocblas_gemm_batched_general_kernelIiLi16ELi16ELi32ELi32ELi8ELi32ELi8ELi8ELi32ELc78ELc67EKaKiiEEvlllT_PT11_llS5_llS3_PT12_llPT13_lli.num_agpr, 0
	.set _ZN12_GLOBAL__N_135rocblas_gemm_batched_general_kernelIiLi16ELi16ELi32ELi32ELi8ELi32ELi8ELi8ELi32ELc78ELc67EKaKiiEEvlllT_PT11_llS5_llS3_PT12_llPT13_lli.numbered_sgpr, 44
	.set _ZN12_GLOBAL__N_135rocblas_gemm_batched_general_kernelIiLi16ELi16ELi32ELi32ELi8ELi32ELi8ELi8ELi32ELc78ELc67EKaKiiEEvlllT_PT11_llS5_llS3_PT12_llPT13_lli.num_named_barrier, 0
	.set _ZN12_GLOBAL__N_135rocblas_gemm_batched_general_kernelIiLi16ELi16ELi32ELi32ELi8ELi32ELi8ELi8ELi32ELc78ELc67EKaKiiEEvlllT_PT11_llS5_llS3_PT12_llPT13_lli.private_seg_size, 0
	.set _ZN12_GLOBAL__N_135rocblas_gemm_batched_general_kernelIiLi16ELi16ELi32ELi32ELi8ELi32ELi8ELi8ELi32ELc78ELc67EKaKiiEEvlllT_PT11_llS5_llS3_PT12_llPT13_lli.uses_vcc, 1
	.set _ZN12_GLOBAL__N_135rocblas_gemm_batched_general_kernelIiLi16ELi16ELi32ELi32ELi8ELi32ELi8ELi8ELi32ELc78ELc67EKaKiiEEvlllT_PT11_llS5_llS3_PT12_llPT13_lli.uses_flat_scratch, 0
	.set _ZN12_GLOBAL__N_135rocblas_gemm_batched_general_kernelIiLi16ELi16ELi32ELi32ELi8ELi32ELi8ELi8ELi32ELc78ELc67EKaKiiEEvlllT_PT11_llS5_llS3_PT12_llPT13_lli.has_dyn_sized_stack, 0
	.set _ZN12_GLOBAL__N_135rocblas_gemm_batched_general_kernelIiLi16ELi16ELi32ELi32ELi8ELi32ELi8ELi8ELi32ELc78ELc67EKaKiiEEvlllT_PT11_llS5_llS3_PT12_llPT13_lli.has_recursion, 0
	.set _ZN12_GLOBAL__N_135rocblas_gemm_batched_general_kernelIiLi16ELi16ELi32ELi32ELi8ELi32ELi8ELi8ELi32ELc78ELc67EKaKiiEEvlllT_PT11_llS5_llS3_PT12_llPT13_lli.has_indirect_call, 0
	.section	.AMDGPU.csdata,"",@progbits
; Kernel info:
; codeLenInByte = 1876
; TotalNumSgprs: 46
; NumVgprs: 48
; ScratchSize: 0
; MemoryBound: 0
; FloatMode: 240
; IeeeMode: 1
; LDSByteSize: 2048 bytes/workgroup (compile time only)
; SGPRBlocks: 0
; VGPRBlocks: 2
; NumSGPRsForWavesPerEU: 46
; NumVGPRsForWavesPerEU: 48
; NamedBarCnt: 0
; Occupancy: 16
; WaveLimiterHint : 0
; COMPUTE_PGM_RSRC2:SCRATCH_EN: 0
; COMPUTE_PGM_RSRC2:USER_SGPR: 2
; COMPUTE_PGM_RSRC2:TRAP_HANDLER: 0
; COMPUTE_PGM_RSRC2:TGID_X_EN: 1
; COMPUTE_PGM_RSRC2:TGID_Y_EN: 1
; COMPUTE_PGM_RSRC2:TGID_Z_EN: 1
; COMPUTE_PGM_RSRC2:TIDIG_COMP_CNT: 1
	.section	.text._ZN12_GLOBAL__N_135rocblas_gemm_batched_general_kernelIiLi16ELi16ELi32ELi32ELi8ELi32ELi8ELi8ELi32ELc84ELc67EKaKiiEEvlllT_PT11_llS5_llS3_PT12_llPT13_lli,"axG",@progbits,_ZN12_GLOBAL__N_135rocblas_gemm_batched_general_kernelIiLi16ELi16ELi32ELi32ELi8ELi32ELi8ELi8ELi32ELc84ELc67EKaKiiEEvlllT_PT11_llS5_llS3_PT12_llPT13_lli,comdat
	.globl	_ZN12_GLOBAL__N_135rocblas_gemm_batched_general_kernelIiLi16ELi16ELi32ELi32ELi8ELi32ELi8ELi8ELi32ELc84ELc67EKaKiiEEvlllT_PT11_llS5_llS3_PT12_llPT13_lli ; -- Begin function _ZN12_GLOBAL__N_135rocblas_gemm_batched_general_kernelIiLi16ELi16ELi32ELi32ELi8ELi32ELi8ELi8ELi32ELc84ELc67EKaKiiEEvlllT_PT11_llS5_llS3_PT12_llPT13_lli
	.p2align	8
	.type	_ZN12_GLOBAL__N_135rocblas_gemm_batched_general_kernelIiLi16ELi16ELi32ELi32ELi8ELi32ELi8ELi8ELi32ELc84ELc67EKaKiiEEvlllT_PT11_llS5_llS3_PT12_llPT13_lli,@function
_ZN12_GLOBAL__N_135rocblas_gemm_batched_general_kernelIiLi16ELi16ELi32ELi32ELi8ELi32ELi8ELi8ELi32ELc84ELc67EKaKiiEEvlllT_PT11_llS5_llS3_PT12_llPT13_lli: ; @_ZN12_GLOBAL__N_135rocblas_gemm_batched_general_kernelIiLi16ELi16ELi32ELi32ELi8ELi32ELi8ELi8ELi32ELc84ELc67EKaKiiEEvlllT_PT11_llS5_llS3_PT12_llPT13_lli
; %bb.0:
	s_load_b32 s33, s[0:1], 0x88
	s_bfe_u32 s2, ttmp6, 0x40014
	s_lshr_b32 s3, ttmp7, 16
	s_add_co_i32 s2, s2, 1
	s_bfe_u32 s5, ttmp6, 0x40008
	s_mul_i32 s4, s3, s2
	s_getreg_b32 s2, hwreg(HW_REG_IB_STS2, 6, 4)
	s_add_co_i32 s5, s5, s4
	s_cmp_eq_u32 s2, 0
	s_mov_b32 s35, 0
	s_cselect_b32 s34, s3, s5
	s_wait_kmcnt 0x0
	s_cmp_ge_i32 s34, s33
	s_cbranch_scc1 .LBB499_34
; %bb.1:
	v_bfe_u32 v8, v0, 10, 10
	v_and_b32_e32 v10, 0x3ff, v0
	s_bfe_u32 s3, ttmp6, 0x4000c
	s_bfe_u32 s37, ttmp6, 0x40010
	s_clause 0x4
	s_load_b128 s[4:7], s[0:1], 0x0
	s_load_b256 s[8:15], s[0:1], 0x20
	s_load_b128 s[24:27], s[0:1], 0x40
	s_load_b128 s[28:31], s[0:1], 0x78
	s_load_b256 s[16:23], s[0:1], 0x58
	s_add_co_i32 s3, s3, 1
	s_and_b32 s38, ttmp7, 0xffff
	s_add_co_i32 s37, s37, 1
	s_and_b32 s36, ttmp6, 15
	s_mul_i32 s3, ttmp9, s3
	s_mul_i32 s37, s38, s37
	s_bfe_u32 s39, ttmp6, 0x40004
	v_lshl_add_u32 v1, v8, 4, v10
	s_add_co_i32 s36, s36, s3
	s_add_co_i32 s39, s39, s37
	s_cmp_eq_u32 s2, 0
	s_delay_alu instid0(VALU_DEP_1)
	v_dual_mov_b32 v9, 0 :: v_dual_bitop2_b32 v4, 31, v1 bitop3:0x40
	s_cselect_b32 s3, s38, s39
	s_cselect_b32 s2, ttmp9, s36
	s_lshl_b32 s42, s3, 5
	s_ashr_i32 s3, s2, 31
	s_mov_b32 s43, s35
	s_lshl_b64 s[2:3], s[2:3], 5
	v_add_nc_u64_e32 v[12:13], s[42:43], v[8:9]
	v_dual_mov_b32 v3, v9 :: v_dual_lshrrev_b32 v2, 5, v1
	v_dual_lshrrev_b32 v6, 3, v1 :: v_dual_bitop2_b32 v14, s2, v4 bitop3:0x54
	v_dual_mov_b32 v7, v9 :: v_dual_bitop2_b32 v0, 7, v0 bitop3:0x40
	s_wait_kmcnt 0x0
	s_delay_alu instid0(VALU_DEP_4) | instskip(NEXT) | instid1(VALU_DEP_3)
	v_mul_u64_e32 v[16:17], s[18:19], v[12:13]
	v_mad_nc_u64_u32 v[18:19], s10, v14, v[2:3]
	v_dual_mov_b32 v15, s3 :: v_dual_lshlrev_b32 v24, 2, v4
	v_mul_u64_e32 v[4:5], s[28:29], v[12:13]
	v_mad_nc_u64_u32 v[22:23], s24, v0, v[6:7]
	v_dual_mov_b32 v11, v9 :: v_dual_lshlrev_b32 v1, 2, v0
	s_clause 0x1
	s_load_b96 s[36:38], s[0:1], 0x10
	s_load_b32 s39, s[0:1], 0x50
	v_add_nc_u64_e32 v[20:21], s[42:43], v[6:7]
	s_wait_xcnt 0x0
	v_cmp_gt_i64_e64 s0, s[4:5], v[14:15]
	v_mad_u32 v19, s11, v14, v19
	v_lshl_or_b32 v25, v6, 5, v1
	v_add_nc_u64_e32 v[6:7], s[2:3], v[10:11]
	v_dual_mov_b32 v1, v9 :: v_dual_lshlrev_b32 v26, 2, v10
	v_mad_u32 v23, s25, v0, v23
	v_add_nc_u64_e32 v[14:15], 16, v[12:13]
	v_cmp_gt_i64_e64 s1, s[6:7], v[20:21]
	v_cmp_gt_i64_e64 s2, s[6:7], v[12:13]
	v_add_nc_u64_e32 v[10:11], 16, v[6:7]
	v_lshl_add_u32 v27, v8, 5, 0x400
	v_mad_u32 v19, s10, s3, v19
	v_cmp_gt_i64_e64 s3, s[4:5], v[6:7]
	v_lshl_or_b32 v24, v2, 7, v24
	v_add_nc_u32_e32 v25, 0x400, v25
	v_cmp_gt_i64_e64 s4, s[4:5], v[10:11]
	v_cmp_gt_i64_e64 s5, s[6:7], v[14:15]
	s_add_nc_u64 s[6:7], s[14:15], s[42:43]
	s_wait_kmcnt 0x0
	s_cmp_lg_u32 s39, 0
	v_lshl_add_u64 v[8:9], v[16:17], 2, s[16:17]
	v_add_nc_u64_e32 v[10:11], s[6:7], v[22:23]
	v_add_nc_u64_e32 v[12:13], s[8:9], v[18:19]
	v_cmp_gt_i64_e64 s16, s[36:37], 0
	s_cselect_b32 s40, -1, 0
	s_lshl_b64 s[6:7], s[18:19], 4
	s_lshl_b64 s[8:9], s[28:29], 4
	;; [unrolled: 1-line block ×3, first 2 shown]
	s_branch .LBB499_4
.LBB499_2:                              ;   in Loop: Header=BB499_4 Depth=1
	s_wait_xcnt 0x0
	s_or_b32 exec_lo, exec_lo, s17
.LBB499_3:                              ;   in Loop: Header=BB499_4 Depth=1
	s_add_co_i32 s34, s34, 0x10000
	s_delay_alu instid0(SALU_CYCLE_1)
	s_cmp_lt_i32 s34, s33
	s_cbranch_scc0 .LBB499_34
.LBB499_4:                              ; =>This Loop Header: Depth=1
                                        ;     Child Loop BB499_7 Depth 2
	v_dual_mov_b32 v30, 0 :: v_dual_mov_b32 v31, 0
	v_dual_mov_b32 v28, 0 :: v_dual_mov_b32 v29, 0
	s_and_not1_b32 vcc_lo, exec_lo, s16
	s_cbranch_vccnz .LBB499_11
; %bb.5:                                ;   in Loop: Header=BB499_4 Depth=1
	v_mad_nc_u64_u32 v[14:15], s26, s34, v[10:11]
	v_mad_nc_u64_u32 v[16:17], s12, s34, v[12:13]
	v_dual_mov_b32 v31, 0 :: v_dual_mov_b32 v30, 0
	v_dual_mov_b32 v29, 0 :: v_dual_mov_b32 v28, 0
	s_mov_b64 s[14:15], 0
	s_delay_alu instid0(VALU_DEP_4) | instskip(NEXT) | instid1(VALU_DEP_4)
	v_mad_u32 v15, s27, s34, v15
	v_mad_u32 v17, s13, s34, v17
	s_branch .LBB499_7
.LBB499_6:                              ;   in Loop: Header=BB499_7 Depth=2
	s_wait_xcnt 0x0
	s_or_b32 exec_lo, exec_lo, s17
	s_wait_loadcnt 0x0
	ds_store_b32 v25, v19
	s_wait_dscnt 0x0
	s_barrier_signal -1
	s_barrier_wait -1
	ds_load_b128 v[18:21], v27
	ds_load_2addr_b32 v[22:23], v26 offset1:16
	ds_load_b128 v[32:35], v27 offset:512
	ds_load_2addr_b32 v[44:45], v26 offset0:32 offset1:48
	ds_load_b128 v[36:39], v27 offset:16
	ds_load_2addr_b32 v[46:47], v26 offset0:64 offset1:80
	ds_load_b128 v[40:43], v27 offset:528
	s_add_nc_u64 s[14:15], s[14:15], 8
	v_add_nc_u64_e32 v[14:15], s[10:11], v[14:15]
	v_cmp_lt_i64_e64 s17, s[14:15], s[36:37]
	s_and_b32 vcc_lo, exec_lo, s17
	s_wait_dscnt 0x5
	v_mad_u32 v31, v18, v22, v31
	v_mad_u32 v18, v18, v23, v30
	s_wait_dscnt 0x4
	v_mad_u32 v29, v32, v22, v29
	v_mad_u32 v28, v32, v23, v28
	ds_load_2addr_b32 v[22:23], v26 offset0:96 offset1:112
	s_wait_dscnt 0x4
	v_mad_u32 v30, v19, v44, v31
	v_mad_u32 v31, v19, v45, v18
	v_mad_u32 v29, v33, v44, v29
	v_mad_u32 v28, v33, v45, v28
	ds_load_2addr_b32 v[18:19], v26 offset0:128 offset1:144
	s_wait_dscnt 0x3
	v_mad_u32 v30, v20, v46, v30
	v_mad_u32 v20, v20, v47, v31
	;; [unrolled: 6-line block ×4, first 2 shown]
	v_mad_u32 v22, v40, v18, v22
	v_mad_u32 v23, v40, v19, v23
	ds_load_2addr_b32 v[18:19], v26 offset0:224 offset1:240
	s_wait_dscnt 0x0
	s_barrier_signal -1
	s_barrier_wait -1
	v_mad_u32 v30, v37, v28, v30
	v_mad_u32 v31, v37, v29, v31
	;; [unrolled: 1-line block ×4, first 2 shown]
	s_delay_alu instid0(VALU_DEP_4) | instskip(NEXT) | instid1(VALU_DEP_4)
	v_mad_u32 v28, v38, v20, v30
	v_mad_u32 v29, v38, v21, v31
	s_delay_alu instid0(VALU_DEP_4) | instskip(NEXT) | instid1(VALU_DEP_4)
	v_mad_u32 v20, v42, v20, v22
	v_mad_u32 v21, v42, v21, v23
	s_delay_alu instid0(VALU_DEP_4) | instskip(NEXT) | instid1(VALU_DEP_4)
	v_mad_u32 v31, v39, v18, v28
	v_mad_u32 v30, v39, v19, v29
	s_delay_alu instid0(VALU_DEP_4) | instskip(NEXT) | instid1(VALU_DEP_4)
	v_mad_u32 v29, v43, v18, v20
	v_mad_u32 v28, v43, v19, v21
	s_cbranch_vccz .LBB499_11
.LBB499_7:                              ;   Parent Loop BB499_4 Depth=1
                                        ; =>  This Inner Loop Header: Depth=2
	v_add_nc_u64_e32 v[18:19], s[14:15], v[2:3]
	s_delay_alu instid0(VALU_DEP_1) | instskip(SKIP_2) | instid1(SALU_CYCLE_1)
	v_cmp_gt_i64_e32 vcc_lo, s[36:37], v[18:19]
	v_mov_b32_e32 v18, 0
	s_and_b32 s18, s0, vcc_lo
	s_and_saveexec_b32 s17, s18
	s_cbranch_execz .LBB499_9
; %bb.8:                                ;   in Loop: Header=BB499_7 Depth=2
	s_delay_alu instid0(VALU_DEP_4)
	v_add_nc_u64_e32 v[18:19], s[14:15], v[16:17]
	global_load_i8 v18, v[18:19], off
.LBB499_9:                              ;   in Loop: Header=BB499_7 Depth=2
	s_wait_xcnt 0x0
	s_or_b32 exec_lo, exec_lo, s17
	v_add_nc_u64_e32 v[20:21], s[14:15], v[0:1]
	v_mov_b32_e32 v19, 0
	s_wait_loadcnt 0x0
	ds_store_b32 v24, v18
	v_cmp_gt_i64_e32 vcc_lo, s[36:37], v[20:21]
	s_and_b32 s18, vcc_lo, s1
	s_delay_alu instid0(SALU_CYCLE_1)
	s_and_saveexec_b32 s17, s18
	s_cbranch_execz .LBB499_6
; %bb.10:                               ;   in Loop: Header=BB499_7 Depth=2
	global_load_i8 v19, v[14:15], off
	s_branch .LBB499_6
.LBB499_11:                             ;   in Loop: Header=BB499_4 Depth=1
	s_mul_u64 s[14:15], s[30:31], s[34:35]
	s_and_not1_b32 vcc_lo, exec_lo, s40
	s_lshl_b64 s[14:15], s[14:15], 2
	s_delay_alu instid0(SALU_CYCLE_1)
	s_add_nc_u64 s[14:15], s[22:23], s[14:15]
	s_cbranch_vccnz .LBB499_16
; %bb.12:                               ;   in Loop: Header=BB499_4 Depth=1
	s_and_saveexec_b32 s17, s2
	s_cbranch_execz .LBB499_23
; %bb.13:                               ;   in Loop: Header=BB499_4 Depth=1
	s_mul_u64 s[18:19], s[20:21], s[34:35]
	v_lshlrev_b64_e32 v[14:15], 2, v[6:7]
	v_lshl_add_u64 v[16:17], s[18:19], 2, v[8:9]
	v_lshl_add_u64 v[18:19], v[4:5], 2, s[14:15]
	s_delay_alu instid0(VALU_DEP_2) | instskip(NEXT) | instid1(VALU_DEP_2)
	v_add_nc_u64_e32 v[22:23], v[16:17], v[14:15]
	v_add_nc_u64_e32 v[20:21], v[18:19], v[14:15]
	s_and_saveexec_b32 s18, s3
	s_cbranch_execnz .LBB499_17
; %bb.14:                               ;   in Loop: Header=BB499_4 Depth=1
	s_or_b32 exec_lo, exec_lo, s18
	s_and_saveexec_b32 s18, s4
	s_cbranch_execnz .LBB499_18
.LBB499_15:                             ;   in Loop: Header=BB499_4 Depth=1
	s_or_b32 exec_lo, exec_lo, s18
	s_delay_alu instid0(SALU_CYCLE_1)
	s_and_b32 exec_lo, exec_lo, s5
	s_cbranch_execnz .LBB499_19
	s_branch .LBB499_23
.LBB499_16:                             ;   in Loop: Header=BB499_4 Depth=1
	s_branch .LBB499_24
.LBB499_17:                             ;   in Loop: Header=BB499_4 Depth=1
	global_load_b32 v32, v[22:23], off
	v_mul_lo_u32 v33, v31, s38
	s_wait_loadcnt 0x0
	s_delay_alu instid0(VALU_DEP_1)
	v_mad_u32 v32, v32, s39, v33
	global_store_b32 v[20:21], v32, off
	s_wait_xcnt 0x0
	s_or_b32 exec_lo, exec_lo, s18
	s_and_saveexec_b32 s18, s4
	s_cbranch_execz .LBB499_15
.LBB499_18:                             ;   in Loop: Header=BB499_4 Depth=1
	global_load_b32 v22, v[22:23], off offset:64
	s_wait_xcnt 0x0
	v_mul_lo_u32 v23, v30, s38
	s_wait_loadcnt 0x0
	s_delay_alu instid0(VALU_DEP_1) | instskip(SKIP_3) | instid1(SALU_CYCLE_1)
	v_mad_u32 v22, v22, s39, v23
	global_store_b32 v[20:21], v22, off offset:64
	s_wait_xcnt 0x0
	s_or_b32 exec_lo, exec_lo, s18
	s_and_b32 exec_lo, exec_lo, s5
	s_cbranch_execz .LBB499_23
.LBB499_19:                             ;   in Loop: Header=BB499_4 Depth=1
	v_lshl_add_u64 v[16:17], s[6:7], 2, v[16:17]
	v_lshl_add_u64 v[18:19], s[8:9], 2, v[18:19]
	s_delay_alu instid0(VALU_DEP_2) | instskip(NEXT) | instid1(VALU_DEP_2)
	v_add_nc_u64_e32 v[16:17], v[16:17], v[14:15]
	v_add_nc_u64_e32 v[14:15], v[18:19], v[14:15]
	s_and_saveexec_b32 s18, s3
	s_cbranch_execz .LBB499_21
; %bb.20:                               ;   in Loop: Header=BB499_4 Depth=1
	global_load_b32 v18, v[16:17], off
	v_mul_lo_u32 v19, v29, s38
	s_wait_loadcnt 0x0
	s_delay_alu instid0(VALU_DEP_1)
	v_mad_u32 v18, v18, s39, v19
	global_store_b32 v[14:15], v18, off
.LBB499_21:                             ;   in Loop: Header=BB499_4 Depth=1
	s_wait_xcnt 0x0
	s_or_b32 exec_lo, exec_lo, s18
	s_delay_alu instid0(SALU_CYCLE_1)
	s_and_b32 exec_lo, exec_lo, s4
	s_cbranch_execz .LBB499_23
; %bb.22:                               ;   in Loop: Header=BB499_4 Depth=1
	global_load_b32 v16, v[16:17], off offset:64
	s_wait_xcnt 0x0
	v_mul_lo_u32 v17, v28, s38
	s_wait_loadcnt 0x0
	s_delay_alu instid0(VALU_DEP_1)
	v_mad_u32 v16, v16, s39, v17
	global_store_b32 v[14:15], v16, off offset:64
.LBB499_23:                             ;   in Loop: Header=BB499_4 Depth=1
	s_wait_xcnt 0x0
	s_or_b32 exec_lo, exec_lo, s17
	s_cbranch_execnz .LBB499_3
.LBB499_24:                             ;   in Loop: Header=BB499_4 Depth=1
	s_and_saveexec_b32 s17, s2
	s_cbranch_execz .LBB499_2
; %bb.25:                               ;   in Loop: Header=BB499_4 Depth=1
	v_lshl_add_u64 v[14:15], v[4:5], 2, s[14:15]
	s_delay_alu instid0(VALU_DEP_1)
	v_lshl_add_u64 v[16:17], v[6:7], 2, v[14:15]
	s_and_saveexec_b32 s14, s3
	s_cbranch_execnz .LBB499_28
; %bb.26:                               ;   in Loop: Header=BB499_4 Depth=1
	s_or_b32 exec_lo, exec_lo, s14
	s_and_saveexec_b32 s14, s4
	s_cbranch_execnz .LBB499_29
.LBB499_27:                             ;   in Loop: Header=BB499_4 Depth=1
	s_or_b32 exec_lo, exec_lo, s14
	s_delay_alu instid0(SALU_CYCLE_1)
	s_and_b32 exec_lo, exec_lo, s5
	s_cbranch_execz .LBB499_2
	s_branch .LBB499_30
.LBB499_28:                             ;   in Loop: Header=BB499_4 Depth=1
	v_mul_lo_u32 v18, v31, s38
	global_store_b32 v[16:17], v18, off
	s_wait_xcnt 0x0
	s_or_b32 exec_lo, exec_lo, s14
	s_and_saveexec_b32 s14, s4
	s_cbranch_execz .LBB499_27
.LBB499_29:                             ;   in Loop: Header=BB499_4 Depth=1
	v_mul_lo_u32 v18, v30, s38
	global_store_b32 v[16:17], v18, off offset:64
	s_wait_xcnt 0x0
	s_or_b32 exec_lo, exec_lo, s14
	s_delay_alu instid0(SALU_CYCLE_1)
	s_and_b32 exec_lo, exec_lo, s5
	s_cbranch_execz .LBB499_2
.LBB499_30:                             ;   in Loop: Header=BB499_4 Depth=1
	v_lshl_add_u64 v[14:15], s[8:9], 2, v[14:15]
	s_delay_alu instid0(VALU_DEP_1)
	v_lshl_add_u64 v[14:15], v[6:7], 2, v[14:15]
	s_and_saveexec_b32 s14, s3
	s_cbranch_execz .LBB499_32
; %bb.31:                               ;   in Loop: Header=BB499_4 Depth=1
	v_mul_lo_u32 v16, v29, s38
	global_store_b32 v[14:15], v16, off
.LBB499_32:                             ;   in Loop: Header=BB499_4 Depth=1
	s_wait_xcnt 0x0
	s_or_b32 exec_lo, exec_lo, s14
	s_delay_alu instid0(SALU_CYCLE_1)
	s_and_b32 exec_lo, exec_lo, s4
	s_cbranch_execz .LBB499_2
; %bb.33:                               ;   in Loop: Header=BB499_4 Depth=1
	v_mul_lo_u32 v16, v28, s38
	global_store_b32 v[14:15], v16, off offset:64
	s_branch .LBB499_2
.LBB499_34:
	s_endpgm
	.section	.rodata,"a",@progbits
	.p2align	6, 0x0
	.amdhsa_kernel _ZN12_GLOBAL__N_135rocblas_gemm_batched_general_kernelIiLi16ELi16ELi32ELi32ELi8ELi32ELi8ELi8ELi32ELc84ELc67EKaKiiEEvlllT_PT11_llS5_llS3_PT12_llPT13_lli
		.amdhsa_group_segment_fixed_size 2048
		.amdhsa_private_segment_fixed_size 0
		.amdhsa_kernarg_size 140
		.amdhsa_user_sgpr_count 2
		.amdhsa_user_sgpr_dispatch_ptr 0
		.amdhsa_user_sgpr_queue_ptr 0
		.amdhsa_user_sgpr_kernarg_segment_ptr 1
		.amdhsa_user_sgpr_dispatch_id 0
		.amdhsa_user_sgpr_kernarg_preload_length 0
		.amdhsa_user_sgpr_kernarg_preload_offset 0
		.amdhsa_user_sgpr_private_segment_size 0
		.amdhsa_wavefront_size32 1
		.amdhsa_uses_dynamic_stack 0
		.amdhsa_enable_private_segment 0
		.amdhsa_system_sgpr_workgroup_id_x 1
		.amdhsa_system_sgpr_workgroup_id_y 1
		.amdhsa_system_sgpr_workgroup_id_z 1
		.amdhsa_system_sgpr_workgroup_info 0
		.amdhsa_system_vgpr_workitem_id 1
		.amdhsa_next_free_vgpr 48
		.amdhsa_next_free_sgpr 44
		.amdhsa_named_barrier_count 0
		.amdhsa_reserve_vcc 1
		.amdhsa_float_round_mode_32 0
		.amdhsa_float_round_mode_16_64 0
		.amdhsa_float_denorm_mode_32 3
		.amdhsa_float_denorm_mode_16_64 3
		.amdhsa_fp16_overflow 0
		.amdhsa_memory_ordered 1
		.amdhsa_forward_progress 1
		.amdhsa_inst_pref_size 15
		.amdhsa_round_robin_scheduling 0
		.amdhsa_exception_fp_ieee_invalid_op 0
		.amdhsa_exception_fp_denorm_src 0
		.amdhsa_exception_fp_ieee_div_zero 0
		.amdhsa_exception_fp_ieee_overflow 0
		.amdhsa_exception_fp_ieee_underflow 0
		.amdhsa_exception_fp_ieee_inexact 0
		.amdhsa_exception_int_div_zero 0
	.end_amdhsa_kernel
	.section	.text._ZN12_GLOBAL__N_135rocblas_gemm_batched_general_kernelIiLi16ELi16ELi32ELi32ELi8ELi32ELi8ELi8ELi32ELc84ELc67EKaKiiEEvlllT_PT11_llS5_llS3_PT12_llPT13_lli,"axG",@progbits,_ZN12_GLOBAL__N_135rocblas_gemm_batched_general_kernelIiLi16ELi16ELi32ELi32ELi8ELi32ELi8ELi8ELi32ELc84ELc67EKaKiiEEvlllT_PT11_llS5_llS3_PT12_llPT13_lli,comdat
.Lfunc_end499:
	.size	_ZN12_GLOBAL__N_135rocblas_gemm_batched_general_kernelIiLi16ELi16ELi32ELi32ELi8ELi32ELi8ELi8ELi32ELc84ELc67EKaKiiEEvlllT_PT11_llS5_llS3_PT12_llPT13_lli, .Lfunc_end499-_ZN12_GLOBAL__N_135rocblas_gemm_batched_general_kernelIiLi16ELi16ELi32ELi32ELi8ELi32ELi8ELi8ELi32ELc84ELc67EKaKiiEEvlllT_PT11_llS5_llS3_PT12_llPT13_lli
                                        ; -- End function
	.set _ZN12_GLOBAL__N_135rocblas_gemm_batched_general_kernelIiLi16ELi16ELi32ELi32ELi8ELi32ELi8ELi8ELi32ELc84ELc67EKaKiiEEvlllT_PT11_llS5_llS3_PT12_llPT13_lli.num_vgpr, 48
	.set _ZN12_GLOBAL__N_135rocblas_gemm_batched_general_kernelIiLi16ELi16ELi32ELi32ELi8ELi32ELi8ELi8ELi32ELc84ELc67EKaKiiEEvlllT_PT11_llS5_llS3_PT12_llPT13_lli.num_agpr, 0
	.set _ZN12_GLOBAL__N_135rocblas_gemm_batched_general_kernelIiLi16ELi16ELi32ELi32ELi8ELi32ELi8ELi8ELi32ELc84ELc67EKaKiiEEvlllT_PT11_llS5_llS3_PT12_llPT13_lli.numbered_sgpr, 44
	.set _ZN12_GLOBAL__N_135rocblas_gemm_batched_general_kernelIiLi16ELi16ELi32ELi32ELi8ELi32ELi8ELi8ELi32ELc84ELc67EKaKiiEEvlllT_PT11_llS5_llS3_PT12_llPT13_lli.num_named_barrier, 0
	.set _ZN12_GLOBAL__N_135rocblas_gemm_batched_general_kernelIiLi16ELi16ELi32ELi32ELi8ELi32ELi8ELi8ELi32ELc84ELc67EKaKiiEEvlllT_PT11_llS5_llS3_PT12_llPT13_lli.private_seg_size, 0
	.set _ZN12_GLOBAL__N_135rocblas_gemm_batched_general_kernelIiLi16ELi16ELi32ELi32ELi8ELi32ELi8ELi8ELi32ELc84ELc67EKaKiiEEvlllT_PT11_llS5_llS3_PT12_llPT13_lli.uses_vcc, 1
	.set _ZN12_GLOBAL__N_135rocblas_gemm_batched_general_kernelIiLi16ELi16ELi32ELi32ELi8ELi32ELi8ELi8ELi32ELc84ELc67EKaKiiEEvlllT_PT11_llS5_llS3_PT12_llPT13_lli.uses_flat_scratch, 0
	.set _ZN12_GLOBAL__N_135rocblas_gemm_batched_general_kernelIiLi16ELi16ELi32ELi32ELi8ELi32ELi8ELi8ELi32ELc84ELc67EKaKiiEEvlllT_PT11_llS5_llS3_PT12_llPT13_lli.has_dyn_sized_stack, 0
	.set _ZN12_GLOBAL__N_135rocblas_gemm_batched_general_kernelIiLi16ELi16ELi32ELi32ELi8ELi32ELi8ELi8ELi32ELc84ELc67EKaKiiEEvlllT_PT11_llS5_llS3_PT12_llPT13_lli.has_recursion, 0
	.set _ZN12_GLOBAL__N_135rocblas_gemm_batched_general_kernelIiLi16ELi16ELi32ELi32ELi8ELi32ELi8ELi8ELi32ELc84ELc67EKaKiiEEvlllT_PT11_llS5_llS3_PT12_llPT13_lli.has_indirect_call, 0
	.section	.AMDGPU.csdata,"",@progbits
; Kernel info:
; codeLenInByte = 1876
; TotalNumSgprs: 46
; NumVgprs: 48
; ScratchSize: 0
; MemoryBound: 0
; FloatMode: 240
; IeeeMode: 1
; LDSByteSize: 2048 bytes/workgroup (compile time only)
; SGPRBlocks: 0
; VGPRBlocks: 2
; NumSGPRsForWavesPerEU: 46
; NumVGPRsForWavesPerEU: 48
; NamedBarCnt: 0
; Occupancy: 16
; WaveLimiterHint : 0
; COMPUTE_PGM_RSRC2:SCRATCH_EN: 0
; COMPUTE_PGM_RSRC2:USER_SGPR: 2
; COMPUTE_PGM_RSRC2:TRAP_HANDLER: 0
; COMPUTE_PGM_RSRC2:TGID_X_EN: 1
; COMPUTE_PGM_RSRC2:TGID_Y_EN: 1
; COMPUTE_PGM_RSRC2:TGID_Z_EN: 1
; COMPUTE_PGM_RSRC2:TIDIG_COMP_CNT: 1
	.section	.text._ZN12_GLOBAL__N_120gemm_ex_scale_kernelILi32ELi32E19rocblas_complex_numIfEPKS2_PS2_EEviiT1_T2_lllT3_llli,"axG",@progbits,_ZN12_GLOBAL__N_120gemm_ex_scale_kernelILi32ELi32E19rocblas_complex_numIfEPKS2_PS2_EEviiT1_T2_lllT3_llli,comdat
	.globl	_ZN12_GLOBAL__N_120gemm_ex_scale_kernelILi32ELi32E19rocblas_complex_numIfEPKS2_PS2_EEviiT1_T2_lllT3_llli ; -- Begin function _ZN12_GLOBAL__N_120gemm_ex_scale_kernelILi32ELi32E19rocblas_complex_numIfEPKS2_PS2_EEviiT1_T2_lllT3_llli
	.p2align	8
	.type	_ZN12_GLOBAL__N_120gemm_ex_scale_kernelILi32ELi32E19rocblas_complex_numIfEPKS2_PS2_EEviiT1_T2_lllT3_llli,@function
_ZN12_GLOBAL__N_120gemm_ex_scale_kernelILi32ELi32E19rocblas_complex_numIfEPKS2_PS2_EEviiT1_T2_lllT3_llli: ; @_ZN12_GLOBAL__N_120gemm_ex_scale_kernelILi32ELi32E19rocblas_complex_numIfEPKS2_PS2_EEviiT1_T2_lllT3_llli
; %bb.0:
	s_load_b32 s22, s[0:1], 0x50
	s_bfe_u32 s2, ttmp6, 0x40014
	s_lshr_b32 s3, ttmp7, 16
	s_add_co_i32 s2, s2, 1
	s_bfe_u32 s5, ttmp6, 0x40008
	s_mul_i32 s4, s3, s2
	s_getreg_b32 s2, hwreg(HW_REG_IB_STS2, 6, 4)
	s_add_co_i32 s5, s5, s4
	s_cmp_eq_u32 s2, 0
	s_mov_b32 s21, 0
	s_cselect_b32 s20, s3, s5
	s_wait_kmcnt 0x0
	s_cmp_ge_u32 s20, s22
	s_cbranch_scc1 .LBB500_7
; %bb.1:
	s_load_b512 s[4:19], s[0:1], 0x10
	s_bfe_u32 s23, ttmp6, 0x40010
	s_bfe_u32 s26, ttmp6, 0x4000c
	s_and_b32 s3, ttmp7, 0xffff
	s_add_co_i32 s23, s23, 1
	s_add_co_i32 s26, s26, 1
	s_bfe_u32 s24, ttmp6, 0x40004
	s_and_b32 s25, ttmp6, 15
	s_mul_i32 s23, s3, s23
	s_mul_i32 s26, ttmp9, s26
	v_bfe_u32 v1, v0, 10, 10
	s_add_co_i32 s24, s24, s23
	s_add_co_i32 s25, s25, s26
	v_mov_b32_e32 v3, 0
	v_and_b32_e32 v0, 0x3ff, v0
	s_wait_kmcnt 0x0
	s_lshl_b64 s[14:15], s[14:15], 3
	s_lshl_b64 s[6:7], s[6:7], 3
	s_cmp_eq_u32 s2, 0
	s_add_nc_u64 s[4:5], s[4:5], s[6:7]
	s_cselect_b32 s2, s3, s24
	s_delay_alu instid0(SALU_CYCLE_1) | instskip(SKIP_2) | instid1(VALU_DEP_2)
	v_lshl_add_u32 v2, s2, 5, v1
	s_load_b128 s[0:3], s[0:1], 0x0
	v_mov_b32_e32 v1, v3
	v_mul_u64_e32 v[4:5], s[8:9], v[2:3]
	v_mul_u64_e32 v[6:7], s[16:17], v[2:3]
	s_cselect_b32 s8, ttmp9, s25
	s_delay_alu instid0(SALU_CYCLE_1) | instskip(SKIP_2) | instid1(VALU_DEP_1)
	v_lshl_add_u32 v0, s8, 5, v0
	s_add_nc_u64 s[8:9], s[12:13], s[14:15]
	s_wait_kmcnt 0x0
	v_cmp_gt_u32_e32 vcc_lo, s0, v0
	v_cmp_gt_u32_e64 s0, s1, v2
	v_lshlrev_b64_e32 v[2:3], 3, v[0:1]
	s_or_b32 s1, s2, s3
	s_delay_alu instid0(SALU_CYCLE_1)
	s_bitset0_b32 s1, 31
	v_lshl_add_u64 v[0:1], v[4:5], 3, s[4:5]
	v_lshl_add_u64 v[4:5], v[6:7], 3, s[8:9]
	s_and_b32 s4, vcc_lo, s0
	s_cmp_lg_u32 s1, 0
	s_mov_b32 s0, s2
	v_add_nc_u64_e32 v[0:1], v[0:1], v[2:3]
	v_add_nc_u64_e32 v[2:3], v[4:5], v[2:3]
	s_cselect_b32 s5, -1, 0
	s_mov_b32 s1, s2
	s_mov_b32 s2, s3
	s_branch .LBB500_4
.LBB500_2:                              ;   in Loop: Header=BB500_4 Depth=1
	s_mul_u64 s[8:9], s[18:19], s[20:21]
	s_delay_alu instid0(SALU_CYCLE_1)
	v_lshl_add_u64 v[6:7], s[8:9], 3, v[2:3]
	global_store_b64 v[6:7], v[4:5], off
.LBB500_3:                              ;   in Loop: Header=BB500_4 Depth=1
	s_wait_xcnt 0x0
	s_or_b32 exec_lo, exec_lo, s6
	s_add_co_i32 s20, s20, 0x10000
	s_delay_alu instid0(SALU_CYCLE_1)
	s_cmp_lt_u32 s20, s22
	s_cbranch_scc0 .LBB500_7
.LBB500_4:                              ; =>This Inner Loop Header: Depth=1
	s_and_saveexec_b32 s6, s4
	s_cbranch_execz .LBB500_3
; %bb.5:                                ;   in Loop: Header=BB500_4 Depth=1
	v_dual_mov_b32 v4, 0 :: v_dual_mov_b32 v5, 0
	s_and_not1_b32 vcc_lo, exec_lo, s5
	s_cbranch_vccnz .LBB500_2
; %bb.6:                                ;   in Loop: Header=BB500_4 Depth=1
	s_mul_u64 s[8:9], s[10:11], s[20:21]
	v_mov_b64_e32 v[6:7], s[2:3]
	v_lshl_add_u64 v[4:5], s[8:9], 3, v[0:1]
	v_mov_b64_e32 v[8:9], s[0:1]
	global_load_b64 v[4:5], v[4:5], off
	s_wait_loadcnt 0x0
	v_pk_mul_f32 v[6:7], v[4:5], v[6:7] op_sel:[1,0] op_sel_hi:[0,1]
	s_delay_alu instid0(VALU_DEP_1) | instskip(SKIP_2) | instid1(VALU_DEP_2)
	v_pk_fma_f32 v[10:11], v[4:5], v[8:9], v[6:7]
	s_wait_xcnt 0x0
	v_pk_fma_f32 v[4:5], v[4:5], v[8:9], v[6:7] neg_lo:[0,0,1] neg_hi:[0,0,1]
	v_mov_b32_e32 v5, v11
	s_branch .LBB500_2
.LBB500_7:
	s_endpgm
	.section	.rodata,"a",@progbits
	.p2align	6, 0x0
	.amdhsa_kernel _ZN12_GLOBAL__N_120gemm_ex_scale_kernelILi32ELi32E19rocblas_complex_numIfEPKS2_PS2_EEviiT1_T2_lllT3_llli
		.amdhsa_group_segment_fixed_size 0
		.amdhsa_private_segment_fixed_size 0
		.amdhsa_kernarg_size 84
		.amdhsa_user_sgpr_count 2
		.amdhsa_user_sgpr_dispatch_ptr 0
		.amdhsa_user_sgpr_queue_ptr 0
		.amdhsa_user_sgpr_kernarg_segment_ptr 1
		.amdhsa_user_sgpr_dispatch_id 0
		.amdhsa_user_sgpr_kernarg_preload_length 0
		.amdhsa_user_sgpr_kernarg_preload_offset 0
		.amdhsa_user_sgpr_private_segment_size 0
		.amdhsa_wavefront_size32 1
		.amdhsa_uses_dynamic_stack 0
		.amdhsa_enable_private_segment 0
		.amdhsa_system_sgpr_workgroup_id_x 1
		.amdhsa_system_sgpr_workgroup_id_y 1
		.amdhsa_system_sgpr_workgroup_id_z 1
		.amdhsa_system_sgpr_workgroup_info 0
		.amdhsa_system_vgpr_workitem_id 1
		.amdhsa_next_free_vgpr 12
		.amdhsa_next_free_sgpr 27
		.amdhsa_named_barrier_count 0
		.amdhsa_reserve_vcc 1
		.amdhsa_float_round_mode_32 0
		.amdhsa_float_round_mode_16_64 0
		.amdhsa_float_denorm_mode_32 3
		.amdhsa_float_denorm_mode_16_64 3
		.amdhsa_fp16_overflow 0
		.amdhsa_memory_ordered 1
		.amdhsa_forward_progress 1
		.amdhsa_inst_pref_size 4
		.amdhsa_round_robin_scheduling 0
		.amdhsa_exception_fp_ieee_invalid_op 0
		.amdhsa_exception_fp_denorm_src 0
		.amdhsa_exception_fp_ieee_div_zero 0
		.amdhsa_exception_fp_ieee_overflow 0
		.amdhsa_exception_fp_ieee_underflow 0
		.amdhsa_exception_fp_ieee_inexact 0
		.amdhsa_exception_int_div_zero 0
	.end_amdhsa_kernel
	.section	.text._ZN12_GLOBAL__N_120gemm_ex_scale_kernelILi32ELi32E19rocblas_complex_numIfEPKS2_PS2_EEviiT1_T2_lllT3_llli,"axG",@progbits,_ZN12_GLOBAL__N_120gemm_ex_scale_kernelILi32ELi32E19rocblas_complex_numIfEPKS2_PS2_EEviiT1_T2_lllT3_llli,comdat
.Lfunc_end500:
	.size	_ZN12_GLOBAL__N_120gemm_ex_scale_kernelILi32ELi32E19rocblas_complex_numIfEPKS2_PS2_EEviiT1_T2_lllT3_llli, .Lfunc_end500-_ZN12_GLOBAL__N_120gemm_ex_scale_kernelILi32ELi32E19rocblas_complex_numIfEPKS2_PS2_EEviiT1_T2_lllT3_llli
                                        ; -- End function
	.set _ZN12_GLOBAL__N_120gemm_ex_scale_kernelILi32ELi32E19rocblas_complex_numIfEPKS2_PS2_EEviiT1_T2_lllT3_llli.num_vgpr, 12
	.set _ZN12_GLOBAL__N_120gemm_ex_scale_kernelILi32ELi32E19rocblas_complex_numIfEPKS2_PS2_EEviiT1_T2_lllT3_llli.num_agpr, 0
	.set _ZN12_GLOBAL__N_120gemm_ex_scale_kernelILi32ELi32E19rocblas_complex_numIfEPKS2_PS2_EEviiT1_T2_lllT3_llli.numbered_sgpr, 27
	.set _ZN12_GLOBAL__N_120gemm_ex_scale_kernelILi32ELi32E19rocblas_complex_numIfEPKS2_PS2_EEviiT1_T2_lllT3_llli.num_named_barrier, 0
	.set _ZN12_GLOBAL__N_120gemm_ex_scale_kernelILi32ELi32E19rocblas_complex_numIfEPKS2_PS2_EEviiT1_T2_lllT3_llli.private_seg_size, 0
	.set _ZN12_GLOBAL__N_120gemm_ex_scale_kernelILi32ELi32E19rocblas_complex_numIfEPKS2_PS2_EEviiT1_T2_lllT3_llli.uses_vcc, 1
	.set _ZN12_GLOBAL__N_120gemm_ex_scale_kernelILi32ELi32E19rocblas_complex_numIfEPKS2_PS2_EEviiT1_T2_lllT3_llli.uses_flat_scratch, 0
	.set _ZN12_GLOBAL__N_120gemm_ex_scale_kernelILi32ELi32E19rocblas_complex_numIfEPKS2_PS2_EEviiT1_T2_lllT3_llli.has_dyn_sized_stack, 0
	.set _ZN12_GLOBAL__N_120gemm_ex_scale_kernelILi32ELi32E19rocblas_complex_numIfEPKS2_PS2_EEviiT1_T2_lllT3_llli.has_recursion, 0
	.set _ZN12_GLOBAL__N_120gemm_ex_scale_kernelILi32ELi32E19rocblas_complex_numIfEPKS2_PS2_EEviiT1_T2_lllT3_llli.has_indirect_call, 0
	.section	.AMDGPU.csdata,"",@progbits
; Kernel info:
; codeLenInByte = 476
; TotalNumSgprs: 29
; NumVgprs: 12
; ScratchSize: 0
; MemoryBound: 0
; FloatMode: 240
; IeeeMode: 1
; LDSByteSize: 0 bytes/workgroup (compile time only)
; SGPRBlocks: 0
; VGPRBlocks: 0
; NumSGPRsForWavesPerEU: 29
; NumVGPRsForWavesPerEU: 12
; NamedBarCnt: 0
; Occupancy: 16
; WaveLimiterHint : 0
; COMPUTE_PGM_RSRC2:SCRATCH_EN: 0
; COMPUTE_PGM_RSRC2:USER_SGPR: 2
; COMPUTE_PGM_RSRC2:TRAP_HANDLER: 0
; COMPUTE_PGM_RSRC2:TGID_X_EN: 1
; COMPUTE_PGM_RSRC2:TGID_Y_EN: 1
; COMPUTE_PGM_RSRC2:TGID_Z_EN: 1
; COMPUTE_PGM_RSRC2:TIDIG_COMP_CNT: 1
	.section	.text._ZN12_GLOBAL__N_127rocblas_gemm_batched_kernelI19rocblas_complex_numIfELi16ELi16ELi64ELi64ELi4ELi64ELi4ELi4ELi64ELc78ELc78EKS2_S3_S2_EEvlllT_PT11_llS6_llS4_PT12_llPT13_lli,"axG",@progbits,_ZN12_GLOBAL__N_127rocblas_gemm_batched_kernelI19rocblas_complex_numIfELi16ELi16ELi64ELi64ELi4ELi64ELi4ELi4ELi64ELc78ELc78EKS2_S3_S2_EEvlllT_PT11_llS6_llS4_PT12_llPT13_lli,comdat
	.globl	_ZN12_GLOBAL__N_127rocblas_gemm_batched_kernelI19rocblas_complex_numIfELi16ELi16ELi64ELi64ELi4ELi64ELi4ELi4ELi64ELc78ELc78EKS2_S3_S2_EEvlllT_PT11_llS6_llS4_PT12_llPT13_lli ; -- Begin function _ZN12_GLOBAL__N_127rocblas_gemm_batched_kernelI19rocblas_complex_numIfELi16ELi16ELi64ELi64ELi4ELi64ELi4ELi4ELi64ELc78ELc78EKS2_S3_S2_EEvlllT_PT11_llS6_llS4_PT12_llPT13_lli
	.p2align	8
	.type	_ZN12_GLOBAL__N_127rocblas_gemm_batched_kernelI19rocblas_complex_numIfELi16ELi16ELi64ELi64ELi4ELi64ELi4ELi4ELi64ELc78ELc78EKS2_S3_S2_EEvlllT_PT11_llS6_llS4_PT12_llPT13_lli,@function
_ZN12_GLOBAL__N_127rocblas_gemm_batched_kernelI19rocblas_complex_numIfELi16ELi16ELi64ELi64ELi4ELi64ELi4ELi4ELi64ELc78ELc78EKS2_S3_S2_EEvlllT_PT11_llS6_llS4_PT12_llPT13_lli: ; @_ZN12_GLOBAL__N_127rocblas_gemm_batched_kernelI19rocblas_complex_numIfELi16ELi16ELi64ELi64ELi4ELi64ELi4ELi4ELi64ELc78ELc78EKS2_S3_S2_EEvlllT_PT11_llS6_llS4_PT12_llPT13_lli
; %bb.0:
	s_load_b32 s33, s[0:1], 0x88
	s_bfe_u32 s2, ttmp6, 0x40014
	s_lshr_b32 s3, ttmp7, 16
	s_add_co_i32 s2, s2, 1
	s_bfe_u32 s4, ttmp6, 0x40008
	s_mul_i32 s2, s3, s2
	s_getreg_b32 s24, hwreg(HW_REG_IB_STS2, 6, 4)
	s_add_co_i32 s4, s4, s2
	s_cmp_eq_u32 s24, 0
	s_cselect_b32 s2, s3, s4
	s_mov_b32 s3, 0
	s_wait_kmcnt 0x0
	s_cmp_ge_i32 s2, s33
	s_cbranch_scc1 .LBB501_10
; %bb.1:
	v_bfe_u32 v2, v0, 10, 10
	v_and_b32_e32 v4, 0x3ff, v0
	s_bfe_u32 s25, ttmp6, 0x4000c
	s_bfe_u32 s27, ttmp6, 0x40010
	s_clause 0x4
	s_load_b256 s[12:19], s[0:1], 0x20
	s_load_b128 s[20:23], s[0:1], 0x78
	s_load_b256 s[4:11], s[0:1], 0x58
	s_load_b128 s[28:31], s[0:1], 0x40
	s_load_b64 s[34:35], s[0:1], 0x50
	s_add_co_i32 s25, s25, 1
	s_and_b32 s36, ttmp7, 0xffff
	s_add_co_i32 s27, s27, 1
	v_lshl_add_u32 v1, v2, 4, v4
	v_mov_b32_e32 v3, 0
	s_and_b32 s26, ttmp6, 15
	s_mul_i32 s25, ttmp9, s25
	s_mul_i32 s27, s36, s27
	s_bfe_u32 s37, ttmp6, 0x40004
	s_add_co_i32 s26, s26, s25
	s_add_co_i32 s37, s37, s27
	s_cmp_eq_u32 s24, 0
	v_dual_mov_b32 v7, v3 :: v_dual_lshrrev_b32 v6, 2, v1
	v_and_b32_e32 v8, 63, v1
	s_cselect_b32 s24, s36, s37
	s_cselect_b32 s36, ttmp9, s26
	s_lshl_b32 s24, s24, 6
	s_mov_b32 s25, s3
	v_dual_mov_b32 v5, v3 :: v_dual_lshlrev_b32 v0, 3, v0
	v_add_nc_u64_e32 v[10:11], s[24:25], v[6:7]
	v_add_nc_u64_e32 v[12:13], s[24:25], v[2:3]
	v_dual_lshrrev_b32 v1, 6, v1 :: v_dual_lshlrev_b32 v7, 3, v8
	s_delay_alu instid0(VALU_DEP_4) | instskip(SKIP_2) | instid1(VALU_DEP_4)
	v_dual_mov_b32 v9, v3 :: v_dual_bitop2_b32 v0, 24, v0 bitop3:0x40
	s_ashr_i32 s37, s36, 31
	s_wait_kmcnt 0x0
	v_mul_u64_e32 v[10:11], s[28:29], v[10:11]
	s_load_b128 s[24:27], s[0:1], 0x10
	v_mul_u64_e32 v[14:15], s[6:7], v[12:13]
	s_lshl_b64 s[28:29], s[36:37], 6
	v_lshl_or_b32 v16, v6, 5, v0
	v_lshl_or_b32 v33, v1, 9, v7
	v_mad_nc_u64_u32 v[6:7], s14, v1, s[28:29]
	v_mul_u64_e32 v[20:21], s[20:21], v[12:13]
	s_wait_xcnt 0x0
	s_or_b32 s0, s34, s35
	v_lshlrev_b32_e32 v37, 3, v4
	s_bitset0_b32 s0, 31
	v_lshl_add_u32 v39, v2, 5, 0x800
	s_cmp_eq_u32 s0, 0
	v_add_nc_u64_e32 v[22:23], s[28:29], v[4:5]
	v_add_nc_u32_e32 v35, 0x800, v16
	s_cselect_b32 s1, -1, 0
	s_lshl_b64 s[40:41], s[20:21], 4
	v_mad_u32 v7, s15, v1, v7
	v_mov_b32_e32 v1, v3
	s_lshl_b64 s[42:43], s[6:7], 4
	s_mov_b32 s7, s35
	s_wait_kmcnt 0x0
	v_cmp_gt_i64_e64 s0, s[24:25], 0
	s_mov_b32 s28, s27
	s_mov_b32 s29, s26
	;; [unrolled: 1-line block ×6, first 2 shown]
	v_add_nc_u64_e32 v[2:3], v[6:7], v[8:9]
	v_cndmask_b32_e64 v4, 0, 1, s0
	s_mov_b32 s37, s34
	s_mov_b32 s38, s35
	v_lshl_add_u64 v[0:1], v[10:11], 3, v[0:1]
	s_mov_b32 s39, s35
	v_lshl_add_u64 v[24:25], v[14:15], 3, s[4:5]
	v_lshl_add_u64 v[26:27], v[2:3], 3, s[12:13]
	v_cmp_ne_u32_e64 s0, 1, v4
	v_add_nc_u64_e32 v[28:29], s[18:19], v[0:1]
	s_lshl_b64 s[4:5], s[16:17], 3
	s_lshl_b64 s[12:13], s[14:15], 5
	;; [unrolled: 1-line block ×5, first 2 shown]
	s_branch .LBB501_3
.LBB501_2:                              ;   in Loop: Header=BB501_3 Depth=1
	s_add_co_i32 s2, s2, 0x10000
	global_store_b32 v[0:1], v2, off offset:4
	s_cmp_lt_i32 s2, s33
	s_cbranch_scc0 .LBB501_10
.LBB501_3:                              ; =>This Loop Header: Depth=1
                                        ;     Child Loop BB501_5 Depth 2
	v_dual_mov_b32 v31, 0 :: v_dual_mov_b32 v30, 0
	v_dual_mov_b32 v88, 0 :: v_dual_mov_b32 v90, 0
	;; [unrolled: 1-line block ×16, first 2 shown]
	s_and_b32 vcc_lo, exec_lo, s0
	s_cbranch_vccnz .LBB501_6
; %bb.4:                                ;   in Loop: Header=BB501_3 Depth=1
	v_mad_nc_u64_u32 v[92:93], s4, s2, v[26:27]
	v_mad_nc_u64_u32 v[94:95], s14, s2, v[28:29]
	v_dual_mov_b32 v34, 0 :: v_dual_mov_b32 v32, 0
	v_dual_mov_b32 v38, 0 :: v_dual_mov_b32 v36, 0
	;; [unrolled: 1-line block ×5, first 2 shown]
	v_mad_u32 v93, s5, s2, v93
	v_mad_u32 v95, s15, s2, v95
	v_dual_mov_b32 v54, 0 :: v_dual_mov_b32 v52, 0
	v_dual_mov_b32 v58, 0 :: v_dual_mov_b32 v56, 0
	;; [unrolled: 1-line block ×11, first 2 shown]
	s_mov_b64 s[30:31], 0
.LBB501_5:                              ;   Parent Loop BB501_3 Depth=1
                                        ; =>  This Inner Loop Header: Depth=2
	global_load_b64 v[0:1], v[92:93], off
	global_load_b64 v[2:3], v[94:95], off
	s_add_nc_u64 s[30:31], s[30:31], 4
	s_wait_xcnt 0x1
	v_add_nc_u64_e32 v[92:93], s[12:13], v[92:93]
	v_cmp_lt_i64_e64 s40, s[30:31], s[24:25]
	s_wait_xcnt 0x0
	v_add_nc_u64_e32 v[94:95], 32, v[94:95]
	s_wait_loadcnt 0x1
	ds_store_b64 v33, v[0:1]
	s_wait_loadcnt 0x0
	ds_store_b64 v35, v[2:3]
	s_wait_dscnt 0x0
	s_barrier_signal -1
	s_barrier_wait -1
	ds_load_2addr_b64 v[0:3], v37 offset1:16
	ds_load_b128 v[8:11], v39
	ds_load_2addr_b64 v[4:7], v37 offset0:32 offset1:48
	ds_load_2addr_b64 v[12:15], v37 offset0:64 offset1:80
	;; [unrolled: 1-line block ×3, first 2 shown]
	ds_load_b128 v[96:99], v39 offset:16
	ds_load_2addr_b64 v[100:103], v37 offset0:128 offset1:144
	ds_load_2addr_b64 v[104:107], v37 offset0:160 offset1:176
	;; [unrolled: 1-line block ×4, first 2 shown]
	ds_load_b128 v[116:119], v39 offset:512
	ds_load_b128 v[120:123], v39 offset:528
	;; [unrolled: 1-line block ×6, first 2 shown]
	s_and_b32 vcc_lo, exec_lo, s40
	s_wait_dscnt 0x0
	s_barrier_signal -1
	s_barrier_wait -1
	v_dual_mul_f32 v41, v9, v1 :: v_dual_mul_f32 v43, v8, v1
	v_dual_mul_f32 v45, v9, v3 :: v_dual_mul_f32 v47, v8, v3
	;; [unrolled: 1-line block ×27, first 2 shown]
	v_dual_fma_f32 v41, v8, v0, -v41 :: v_dual_fmac_f32 v43, v9, v0
	v_dual_fma_f32 v45, v8, v2, -v45 :: v_dual_fmac_f32 v47, v9, v2
	;; [unrolled: 1-line block ×8, first 2 shown]
	v_pk_mul_f32 v[8:9], v[132:133], v[6:7] op_sel:[1,1] op_sel_hi:[0,1]
	v_dual_mul_f32 v5, v135, v13 :: v_dual_mul_f32 v166, v134, v13
	v_dual_mov_b32 v10, v135 :: v_dual_mov_b32 v11, v134
	v_dual_fma_f32 v73, v116, v0, -v73 :: v_dual_fmac_f32 v75, v117, v0
	v_dual_fma_f32 v77, v116, v2, -v77 :: v_dual_fmac_f32 v79, v117, v2
	;; [unrolled: 1-line block ×19, first 2 shown]
	v_pk_fma_f32 v[0:1], v[132:133], v[6:7], v[8:9] neg_lo:[0,0,1] neg_hi:[0,0,1]
	v_pk_fma_f32 v[2:3], v[132:133], v[6:7], v[8:9] op_sel_hi:[1,0,1]
	v_dual_fma_f32 v133, v134, v12, -v5 :: v_dual_fmac_f32 v166, v135, v12
	v_pk_mul_f32 v[4:5], v[10:11], v[18:19] op_sel:[0,1]
	v_dual_mul_f32 v13, v135, v15 :: v_dual_mul_f32 v119, v134, v15
	v_dual_mul_f32 v15, v135, v17 :: v_dual_mul_f32 v17, v134, v17
	;; [unrolled: 1-line block ×4, first 2 shown]
	v_pk_fma_f32 v[6:7], v[134:135], v[18:19], v[4:5] neg_lo:[0,0,1] neg_hi:[0,0,1]
	v_pk_fma_f32 v[4:5], v[134:135], v[18:19], v[4:5] op_sel_hi:[1,0,1]
	v_dual_mul_f32 v127, v97, v101 :: v_dual_mul_f32 v150, v96, v101
	v_dual_mul_f32 v8, v97, v107 :: v_dual_mul_f32 v132, v96, v107
	v_dual_fma_f32 v162, v134, v14, -v13 :: v_dual_fmac_f32 v119, v135, v14
	v_dual_mul_f32 v9, v99, v109 :: v_dual_mul_f32 v167, v98, v109
	v_dual_fma_f32 v168, v134, v16, -v15 :: v_dual_fmac_f32 v17, v135, v16
	v_dual_mul_f32 v4, v99, v111 :: v_dual_mul_f32 v16, v98, v111
	v_dual_mul_f32 v7, v99, v113 :: v_dual_mul_f32 v18, v98, v113
	;; [unrolled: 1-line block ×3, first 2 shown]
	v_dual_fma_f32 v135, v96, v102, -v156 :: v_dual_fmac_f32 v158, v97, v102
	v_dual_fma_f32 v156, v96, v104, -v1 :: v_dual_fmac_f32 v2, v97, v104
	v_dual_mul_f32 v1, v121, v103 :: v_dual_mul_f32 v11, v121, v101
	v_mul_f32_e32 v134, v120, v101
	v_dual_fma_f32 v127, v96, v100, -v127 :: v_dual_fmac_f32 v150, v97, v100
	v_fma_f32 v96, v96, v106, -v8
	v_dual_fmac_f32 v132, v97, v106 :: v_dual_fmac_f32 v167, v99, v108
	v_dual_fma_f32 v97, v98, v108, -v9 :: v_dual_fma_f32 v4, v98, v110, -v4
	v_dual_fma_f32 v169, v98, v112, -v7 :: v_dual_fmac_f32 v16, v99, v110
	v_fmac_f32_e32 v18, v99, v112
	v_dual_fma_f32 v98, v98, v114, -v10 :: v_dual_fmac_f32 v19, v99, v114
	v_dual_mul_f32 v99, v120, v103 :: v_dual_mul_f32 v7, v121, v105
	v_dual_mul_f32 v170, v120, v105 :: v_dual_fma_f32 v172, v120, v102, -v1
	v_dual_mul_f32 v1, v121, v107 :: v_dual_fma_f32 v171, v120, v100, -v11
	v_fmac_f32_e32 v134, v121, v100
	s_delay_alu instid0(VALU_DEP_3) | instskip(NEXT) | instid1(VALU_DEP_3)
	v_dual_fma_f32 v173, v120, v104, -v7 :: v_dual_fmac_f32 v170, v121, v104
	v_dual_fma_f32 v174, v120, v106, -v1 :: v_dual_mul_f32 v120, v120, v107
	v_dual_mul_f32 v1, v123, v109 :: v_dual_mul_f32 v175, v122, v109
	v_dual_fmac_f32 v99, v121, v102 :: v_dual_mul_f32 v177, v122, v111
	s_delay_alu instid0(VALU_DEP_2) | instskip(NEXT) | instid1(VALU_DEP_3)
	v_dual_fmac_f32 v120, v121, v106 :: v_dual_fma_f32 v121, v122, v108, -v1
	v_dual_fmac_f32 v175, v123, v108 :: v_dual_mul_f32 v1, v123, v111
	s_delay_alu instid0(VALU_DEP_3) | instskip(SKIP_1) | instid1(VALU_DEP_3)
	v_dual_fmac_f32 v177, v123, v110 :: v_dual_mul_f32 v179, v122, v113
	v_dual_mul_f32 v181, v128, v101 :: v_dual_mul_f32 v183, v128, v103
	v_dual_fma_f32 v176, v122, v110, -v1 :: v_dual_mul_f32 v1, v123, v113
	s_delay_alu instid0(VALU_DEP_3) | instskip(NEXT) | instid1(VALU_DEP_3)
	v_fmac_f32_e32 v179, v123, v112
	v_dual_fmac_f32 v181, v129, v100 :: v_dual_mul_f32 v185, v128, v105
	s_delay_alu instid0(VALU_DEP_3) | instskip(SKIP_1) | instid1(VALU_DEP_3)
	v_dual_fmac_f32 v183, v129, v102 :: v_dual_fma_f32 v178, v122, v112, -v1
	v_dual_mul_f32 v1, v123, v115 :: v_dual_mul_f32 v187, v130, v109
	v_dual_fmac_f32 v185, v129, v104 :: v_dual_mul_f32 v189, v130, v111
	v_mul_f32_e32 v191, v130, v113
	s_delay_alu instid0(VALU_DEP_3) | instskip(NEXT) | instid1(VALU_DEP_3)
	v_dual_fma_f32 v180, v122, v114, -v1 :: v_dual_mul_f32 v122, v122, v115
	v_dual_mul_f32 v1, v129, v101 :: v_dual_fmac_f32 v189, v131, v110
	v_fmac_f32_e32 v187, v131, v108
	s_delay_alu instid0(VALU_DEP_4) | instskip(NEXT) | instid1(VALU_DEP_3)
	v_fmac_f32_e32 v191, v131, v112
	v_dual_fmac_f32 v122, v123, v114 :: v_dual_fma_f32 v123, v128, v100, -v1
	v_mul_f32_e32 v1, v129, v103
	v_pk_mul_f32 v[8:9], v[136:137], v[106:107] op_sel:[1,1] op_sel_hi:[0,1]
	v_dual_mov_b32 v12, v139 :: v_dual_mov_b32 v13, v138
	v_add_f32_e32 v36, v36, v154
	s_delay_alu instid0(VALU_DEP_4) | instskip(NEXT) | instid1(VALU_DEP_4)
	v_dual_fma_f32 v182, v128, v102, -v1 :: v_dual_mul_f32 v1, v129, v105
	v_pk_fma_f32 v[10:11], v[136:137], v[106:107], v[8:9] neg_lo:[0,0,1] neg_hi:[0,0,1]
	v_pk_fma_f32 v[8:9], v[136:137], v[106:107], v[8:9] op_sel_hi:[1,0,1]
	v_pk_mul_f32 v[12:13], v[12:13], v[114:115] op_sel:[0,1]
	v_add_f32_e32 v72, v72, v75
	v_dual_fma_f32 v184, v128, v104, -v1 :: v_dual_mul_f32 v1, v129, v107
	v_dual_add_f32 v68, v68, v77 :: v_dual_add_f32 v70, v70, v79
	s_delay_alu instid0(VALU_DEP_4) | instskip(SKIP_1) | instid1(VALU_DEP_4)
	v_pk_fma_f32 v[14:15], v[138:139], v[114:115], v[12:13] neg_lo:[0,0,1] neg_hi:[0,0,1]
	v_pk_fma_f32 v[12:13], v[138:139], v[114:115], v[12:13] op_sel_hi:[1,0,1]
	v_dual_fma_f32 v186, v128, v106, -v1 :: v_dual_mul_f32 v128, v128, v107
	v_dual_mul_f32 v1, v131, v109 :: v_dual_mul_f32 v107, v138, v111
	v_dual_add_f32 v12, v88, v41 :: v_dual_add_f32 v41, v90, v43
	s_delay_alu instid0(VALU_DEP_2) | instskip(SKIP_3) | instid1(VALU_DEP_3)
	v_dual_fmac_f32 v128, v129, v106 :: v_dual_fma_f32 v129, v130, v108, -v1
	v_dual_mul_f32 v1, v131, v111 :: v_dual_add_f32 v43, v84, v45
	v_add_f32_e32 v45, v86, v47
	v_dual_add_f32 v47, v82, v49 :: v_dual_add_f32 v49, v80, v51
	v_dual_fma_f32 v188, v130, v110, -v1 :: v_dual_mul_f32 v1, v131, v113
	v_dual_add_f32 v51, v76, v53 :: v_dual_add_f32 v53, v78, v55
	v_add_f32_e32 v55, v74, v73
	v_dual_add_f32 v64, v64, v81 :: v_dual_add_f32 v66, v66, v83
	s_delay_alu instid0(VALU_DEP_4) | instskip(SKIP_2) | instid1(VALU_DEP_3)
	v_dual_fma_f32 v190, v130, v112, -v1 :: v_dual_mul_f32 v1, v131, v115
	v_dual_add_f32 v60, v60, v85 :: v_dual_add_f32 v62, v62, v87
	v_dual_add_f32 v56, v56, v140 :: v_dual_add_f32 v58, v58, v147
	v_dual_fma_f32 v192, v130, v114, -v1 :: v_dual_mul_f32 v130, v130, v115
	v_dual_mul_f32 v1, v137, v101 :: v_dual_mul_f32 v101, v136, v101
	v_dual_add_f32 v52, v52, v142 :: v_dual_add_f32 v54, v54, v149
	s_delay_alu instid0(VALU_DEP_2) | instskip(NEXT) | instid1(VALU_DEP_3)
	v_dual_fmac_f32 v130, v131, v114 :: v_dual_fma_f32 v131, v136, v100, -v1
	v_dual_mul_f32 v1, v137, v103 :: v_dual_fmac_f32 v101, v137, v100
	v_mul_f32_e32 v103, v136, v103
	v_dual_add_f32 v48, v48, v144 :: v_dual_add_f32 v50, v50, v151
	s_delay_alu instid0(VALU_DEP_3) | instskip(NEXT) | instid1(VALU_DEP_3)
	v_dual_fma_f32 v100, v136, v102, -v1 :: v_dual_mul_f32 v1, v137, v105
	v_dual_mul_f32 v105, v136, v105 :: v_dual_fmac_f32 v103, v137, v102
	v_dual_add_f32 v44, v44, v124 :: v_dual_add_f32 v46, v46, v153
	s_delay_alu instid0(VALU_DEP_3) | instskip(NEXT) | instid1(VALU_DEP_3)
	v_dual_fma_f32 v102, v136, v104, -v1 :: v_dual_mul_f32 v1, v139, v109
	v_dual_fmac_f32 v105, v137, v104 :: v_dual_mul_f32 v104, v138, v109
	v_dual_mul_f32 v109, v138, v113 :: v_dual_add_f32 v40, v40, v152
	v_add_f32_e32 v42, v42, v163
	s_delay_alu instid0(VALU_DEP_3) | instskip(NEXT) | instid1(VALU_DEP_3)
	v_dual_fma_f32 v8, v138, v108, -v1 :: v_dual_fmac_f32 v104, v139, v108
	v_dual_mul_f32 v1, v139, v111 :: v_dual_fmac_f32 v109, v139, v112
	v_dual_add_f32 v32, v32, v160 :: v_dual_add_f32 v34, v34, v165
	v_dual_mov_b32 v7, v5 :: v_dual_mov_b32 v15, v13
	s_delay_alu instid0(VALU_DEP_3) | instskip(SKIP_3) | instid1(VALU_DEP_3)
	v_dual_fma_f32 v106, v138, v110, -v1 :: v_dual_fmac_f32 v107, v139, v110
	v_dual_mul_f32 v1, v139, v113 :: v_dual_mov_b32 v11, v9
	v_dual_add_f32 v5, v12, v57 :: v_dual_add_f32 v9, v41, v59
	v_dual_add_f32 v12, v43, v61 :: v_dual_add_f32 v13, v45, v63
	v_dual_fma_f32 v108, v138, v112, -v1 :: v_dual_mov_b32 v1, v3
	v_dual_add_f32 v3, v38, v164 :: v_dual_add_f32 v38, v51, v69
	v_dual_add_f32 v41, v53, v71 :: v_dual_add_f32 v43, v55, v89
	v_add_f32_e32 v45, v72, v91
	s_delay_alu instid0(VALU_DEP_4)
	v_pk_add_f32 v[0:1], v[30:31], v[0:1]
	v_dual_add_f32 v30, v47, v65 :: v_dual_add_f32 v31, v49, v67
	v_dual_add_f32 v47, v68, v116 :: v_dual_add_f32 v49, v70, v141
	;; [unrolled: 1-line block ×11, first 2 shown]
	v_pk_add_f32 v[0:1], v[0:1], v[6:7]
	v_add_f32_e32 v5, v5, v127
	v_dual_add_f32 v6, v9, v150 :: v_dual_add_f32 v7, v12, v135
	v_dual_add_f32 v9, v13, v158 :: v_dual_add_f32 v13, v38, v96
	;; [unrolled: 1-line block ×6, first 2 shown]
	v_add_f32_e32 v45, v53, v170
	v_dual_add_f32 v47, v55, v174 :: v_dual_add_f32 v49, v57, v120
	v_dual_add_f32 v51, v56, v123 :: v_dual_add_f32 v53, v58, v181
	;; [unrolled: 1-line block ×8, first 2 shown]
	v_pk_add_f32 v[0:1], v[0:1], v[10:11]
	v_dual_add_f32 v88, v5, v97 :: v_dual_add_f32 v90, v6, v167
	v_dual_add_f32 v84, v7, v4 :: v_dual_add_f32 v82, v12, v169
	;; [unrolled: 1-line block ×15, first 2 shown]
	v_pk_add_f32 v[30:31], v[0:1], v[14:15]
	s_cbranch_vccnz .LBB501_5
.LBB501_6:                              ;   in Loop: Header=BB501_3 Depth=1
	s_mul_u64 s[30:31], s[22:23], s[2:3]
	s_and_not1_b32 vcc_lo, exec_lo, s1
	s_lshl_b64 s[30:31], s[30:31], 3
	s_mov_b32 s40, -1
	s_add_nc_u64 s[30:31], s[10:11], s[30:31]
                                        ; implicit-def: $vgpr2
                                        ; implicit-def: $vgpr0_vgpr1
	s_cbranch_vccz .LBB501_8
; %bb.7:                                ;   in Loop: Header=BB501_3 Depth=1
	s_and_not1_b32 vcc_lo, exec_lo, s40
	s_cbranch_vccnz .LBB501_2
	s_branch .LBB501_9
.LBB501_8:                              ;   in Loop: Header=BB501_3 Depth=1
	s_wait_xcnt 0x0
	v_mov_b64_e32 v[0:1], s[28:29]
	v_mov_b64_e32 v[6:7], s[26:27]
	v_lshlrev_b64_e32 v[2:3], 3, v[22:23]
	v_lshl_add_u64 v[4:5], v[20:21], 3, s[30:31]
	s_delay_alu instid0(VALU_DEP_4)
	v_pk_mul_f32 v[8:9], v[90:91], v[0:1] op_sel_hi:[0,1]
	v_pk_mul_f32 v[10:11], v[86:87], v[0:1] op_sel_hi:[0,1]
	;; [unrolled: 1-line block ×4, first 2 shown]
	v_add_nc_u64_e32 v[16:17], v[4:5], v[2:3]
	v_pk_fma_f32 v[18:19], v[88:89], v[6:7], v[8:9] neg_lo:[0,0,1] neg_hi:[0,0,1]
	v_pk_fma_f32 v[8:9], v[88:89], v[6:7], v[8:9] op_sel_hi:[0,1,1]
	v_pk_fma_f32 v[92:93], v[84:85], v[6:7], v[10:11] op_sel_hi:[0,1,1]
	;; [unrolled: 1-line block ×4, first 2 shown]
	v_pk_fma_f32 v[10:11], v[84:85], v[6:7], v[10:11] neg_lo:[0,0,1] neg_hi:[0,0,1]
	s_delay_alu instid0(VALU_DEP_4)
	v_dual_mov_b32 v19, v9 :: v_dual_mov_b32 v11, v93
	v_pk_fma_f32 v[8:9], v[82:83], v[6:7], v[12:13] neg_lo:[0,0,1] neg_hi:[0,0,1]
	v_mov_b32_e32 v9, v95
	v_pk_fma_f32 v[12:13], v[76:77], v[6:7], v[14:15] neg_lo:[0,0,1] neg_hi:[0,0,1]
	v_mov_b32_e32 v13, v97
	v_pk_mul_f32 v[14:15], v[72:73], v[0:1] op_sel_hi:[0,1]
	s_clause 0x3
	global_store_b64 v[16:17], v[18:19], off
	global_store_b64 v[16:17], v[10:11], off offset:128
	global_store_b64 v[16:17], v[8:9], off offset:256
	;; [unrolled: 1-line block ×3, first 2 shown]
	s_wait_xcnt 0x1
	v_pk_mul_f32 v[8:9], v[70:71], v[0:1] op_sel_hi:[0,1]
	s_wait_xcnt 0x0
	v_pk_mul_f32 v[16:17], v[66:67], v[0:1] op_sel_hi:[0,1]
	v_add_nc_u64_e32 v[4:5], s[18:19], v[4:5]
	v_pk_fma_f32 v[12:13], v[74:75], v[6:7], v[14:15] op_sel_hi:[0,1,1]
	v_pk_mul_f32 v[92:93], v[62:63], v[0:1] op_sel_hi:[0,1]
	v_pk_fma_f32 v[18:19], v[68:69], v[6:7], v[8:9] op_sel_hi:[0,1,1]
	v_pk_fma_f32 v[14:15], v[74:75], v[6:7], v[14:15] neg_lo:[0,0,1] neg_hi:[0,0,1]
	v_pk_fma_f32 v[8:9], v[68:69], v[6:7], v[8:9] neg_lo:[0,0,1] neg_hi:[0,0,1]
	v_mov_b32_e32 v15, v13
	v_pk_fma_f32 v[12:13], v[64:65], v[6:7], v[16:17] op_sel_hi:[0,1,1]
	v_mov_b32_e32 v9, v19
	v_pk_fma_f32 v[18:19], v[60:61], v[6:7], v[92:93] op_sel_hi:[0,1,1]
	v_add_nc_u64_e32 v[10:11], v[4:5], v[2:3]
	v_pk_fma_f32 v[16:17], v[64:65], v[6:7], v[16:17] neg_lo:[0,0,1] neg_hi:[0,0,1]
	v_mov_b32_e32 v17, v13
	v_pk_fma_f32 v[12:13], v[60:61], v[6:7], v[92:93] neg_lo:[0,0,1] neg_hi:[0,0,1]
	v_mov_b32_e32 v13, v19
	v_pk_mul_f32 v[18:19], v[58:59], v[0:1] op_sel_hi:[0,1]
	v_add_nc_u64_e32 v[4:5], s[18:19], v[4:5]
	s_clause 0x3
	global_store_b64 v[10:11], v[14:15], off
	global_store_b64 v[10:11], v[8:9], off offset:128
	global_store_b64 v[10:11], v[16:17], off offset:256
	;; [unrolled: 1-line block ×3, first 2 shown]
	s_wait_xcnt 0x0
	v_pk_mul_f32 v[10:11], v[54:55], v[0:1] op_sel_hi:[0,1]
	v_pk_mul_f32 v[14:15], v[50:51], v[0:1] op_sel_hi:[0,1]
	v_pk_fma_f32 v[12:13], v[56:57], v[6:7], v[18:19] op_sel_hi:[0,1,1]
	v_pk_fma_f32 v[16:17], v[56:57], v[6:7], v[18:19] neg_lo:[0,0,1] neg_hi:[0,0,1]
	v_pk_mul_f32 v[18:19], v[46:47], v[0:1] op_sel_hi:[0,1]
	v_pk_fma_f32 v[92:93], v[52:53], v[6:7], v[10:11] op_sel_hi:[0,1,1]
	v_add_nc_u64_e32 v[8:9], v[4:5], v[2:3]
	v_mov_b32_e32 v17, v13
	v_pk_fma_f32 v[12:13], v[48:49], v[6:7], v[14:15] op_sel_hi:[0,1,1]
	v_pk_fma_f32 v[94:95], v[44:45], v[6:7], v[18:19] op_sel_hi:[0,1,1]
	v_pk_fma_f32 v[10:11], v[52:53], v[6:7], v[10:11] neg_lo:[0,0,1] neg_hi:[0,0,1]
	v_mov_b32_e32 v11, v93
	v_pk_fma_f32 v[14:15], v[48:49], v[6:7], v[14:15] neg_lo:[0,0,1] neg_hi:[0,0,1]
	v_mov_b32_e32 v15, v13
	;; [unrolled: 2-line block ×3, first 2 shown]
	v_add_nc_u64_e32 v[4:5], s[18:19], v[4:5]
	v_pk_mul_f32 v[18:19], v[42:43], v[0:1] op_sel_hi:[0,1]
	s_clause 0x3
	global_store_b64 v[8:9], v[16:17], off
	global_store_b64 v[8:9], v[10:11], off offset:128
	global_store_b64 v[8:9], v[14:15], off offset:256
	;; [unrolled: 1-line block ×3, first 2 shown]
	s_wait_xcnt 0x0
	v_pk_mul_f32 v[8:9], v[38:39], v[0:1] op_sel_hi:[0,1]
	v_pk_fma_f32 v[10:11], v[40:41], v[6:7], v[18:19] op_sel_hi:[0,1,1]
	v_add_nc_u64_e32 v[4:5], v[4:5], v[2:3]
	v_pk_mul_f32 v[2:3], v[34:35], v[0:1] op_sel_hi:[0,1]
	s_delay_alu instid0(VALU_DEP_4)
	v_pk_fma_f32 v[14:15], v[36:37], v[6:7], v[8:9] op_sel_hi:[0,1,1]
	v_pk_fma_f32 v[12:13], v[40:41], v[6:7], v[18:19] neg_lo:[0,0,1] neg_hi:[0,0,1]
	v_pk_fma_f32 v[8:9], v[36:37], v[6:7], v[8:9] neg_lo:[0,0,1] neg_hi:[0,0,1]
	v_mov_b32_e32 v13, v11
	v_pk_fma_f32 v[10:11], v[32:33], v[6:7], v[2:3] op_sel_hi:[0,1,1]
	v_mov_b32_e32 v9, v15
	v_pk_mul_f32 v[14:15], v[30:31], v[0:1]
	v_mul_f32_e32 v10, s26, v30
	v_add_nc_u64_e32 v[0:1], 0x180, v[4:5]
	v_pk_fma_f32 v[6:7], v[32:33], v[6:7], v[2:3] neg_lo:[0,0,1] neg_hi:[0,0,1]
	s_delay_alu instid0(VALU_DEP_4) | instskip(NEXT) | instid1(VALU_DEP_4)
	v_dual_mov_b32 v7, v11 :: v_dual_add_f32 v2, v14, v15
	v_fma_f32 v3, -v31, s28, v10
	s_clause 0x3
	global_store_b64 v[4:5], v[12:13], off
	global_store_b64 v[4:5], v[8:9], off offset:128
	global_store_b64 v[4:5], v[6:7], off offset:256
	global_store_b32 v[4:5], v3, off offset:384
	s_cbranch_execnz .LBB501_2
.LBB501_9:                              ;   in Loop: Header=BB501_3 Depth=1
	s_mul_u64 s[40:41], s[8:9], s[2:3]
	s_wait_xcnt 0x0
	v_lshlrev_b64_e32 v[0:1], 3, v[22:23]
	s_wait_xcnt 0x0
	v_lshl_add_u64 v[2:3], s[40:41], 3, v[24:25]
	v_mov_b64_e32 v[8:9], s[28:29]
	v_mov_b64_e32 v[10:11], s[38:39]
	;; [unrolled: 1-line block ×4, first 2 shown]
	v_lshl_add_u64 v[94:95], v[20:21], 3, s[30:31]
	v_add_nc_u64_e32 v[4:5], v[2:3], v[0:1]
	v_add_nc_u64_e32 v[2:3], s[16:17], v[2:3]
	v_pk_mul_f32 v[14:15], v[90:91], v[8:9] op_sel_hi:[0,1]
	s_delay_alu instid0(VALU_DEP_1) | instskip(SKIP_4) | instid1(VALU_DEP_1)
	v_pk_fma_f32 v[90:91], v[88:89], v[12:13], v[14:15] op_sel_hi:[0,1,1]
	global_load_b64 v[6:7], v[4:5], off
	v_pk_fma_f32 v[14:15], v[88:89], v[12:13], v[14:15] neg_lo:[0,0,1] neg_hi:[0,0,1]
	s_wait_loadcnt 0x0
	v_pk_mul_f32 v[18:19], v[6:7], v[10:11]
	v_pk_fma_f32 v[92:93], v[6:7], v[16:17], v[18:19] op_sel:[0,0,1] op_sel_hi:[1,1,0]
	v_pk_fma_f32 v[6:7], v[6:7], v[16:17], v[18:19] op_sel:[0,0,1] op_sel_hi:[1,1,0] neg_lo:[0,0,1] neg_hi:[0,0,1]
	v_mov_b32_e32 v15, v91
	v_add_nc_u64_e32 v[18:19], v[94:95], v[0:1]
	s_delay_alu instid0(VALU_DEP_4) | instskip(NEXT) | instid1(VALU_DEP_1)
	v_mov_b32_e32 v7, v93
	v_pk_add_f32 v[6:7], v[14:15], v[6:7]
	v_pk_mul_f32 v[14:15], v[86:87], v[8:9] op_sel_hi:[0,1]
	global_store_b64 v[18:19], v[6:7], off
	global_load_b64 v[6:7], v[4:5], off offset:128
	v_pk_fma_f32 v[88:89], v[84:85], v[12:13], v[14:15] op_sel_hi:[0,1,1]
	v_pk_fma_f32 v[14:15], v[84:85], v[12:13], v[14:15] neg_lo:[0,0,1] neg_hi:[0,0,1]
	s_wait_loadcnt 0x0
	v_pk_mul_f32 v[86:87], v[6:7], v[10:11]
	s_delay_alu instid0(VALU_DEP_1) | instskip(SKIP_1) | instid1(VALU_DEP_2)
	v_pk_fma_f32 v[90:91], v[6:7], v[16:17], v[86:87] op_sel:[0,0,1] op_sel_hi:[1,1,0]
	v_pk_fma_f32 v[6:7], v[6:7], v[16:17], v[86:87] op_sel:[0,0,1] op_sel_hi:[1,1,0] neg_lo:[0,0,1] neg_hi:[0,0,1]
	v_dual_mov_b32 v15, v89 :: v_dual_mov_b32 v7, v91
	s_delay_alu instid0(VALU_DEP_1)
	v_pk_add_f32 v[6:7], v[14:15], v[6:7]
	v_pk_mul_f32 v[14:15], v[80:81], v[8:9] op_sel_hi:[0,1]
	global_store_b64 v[18:19], v[6:7], off offset:128
	global_load_b64 v[6:7], v[4:5], off offset:256
	v_pk_fma_f32 v[84:85], v[82:83], v[12:13], v[14:15] op_sel_hi:[0,1,1]
	v_pk_fma_f32 v[14:15], v[82:83], v[12:13], v[14:15] neg_lo:[0,0,1] neg_hi:[0,0,1]
	s_wait_loadcnt 0x0
	v_pk_mul_f32 v[80:81], v[6:7], v[10:11]
	s_delay_alu instid0(VALU_DEP_1) | instskip(SKIP_1) | instid1(VALU_DEP_2)
	v_pk_fma_f32 v[86:87], v[6:7], v[16:17], v[80:81] op_sel:[0,0,1] op_sel_hi:[1,1,0]
	v_pk_fma_f32 v[6:7], v[6:7], v[16:17], v[80:81] op_sel:[0,0,1] op_sel_hi:[1,1,0] neg_lo:[0,0,1] neg_hi:[0,0,1]
	v_dual_mov_b32 v15, v85 :: v_dual_mov_b32 v7, v87
	s_delay_alu instid0(VALU_DEP_1) | instskip(SKIP_4) | instid1(VALU_DEP_1)
	v_pk_add_f32 v[6:7], v[14:15], v[6:7]
	global_store_b64 v[18:19], v[6:7], off offset:256
	global_load_b64 v[4:5], v[4:5], off offset:384
	s_wait_xcnt 0x1
	v_pk_mul_f32 v[6:7], v[78:79], v[8:9] op_sel_hi:[0,1]
	v_pk_fma_f32 v[78:79], v[76:77], v[12:13], v[6:7] op_sel_hi:[0,1,1]
	v_pk_fma_f32 v[6:7], v[76:77], v[12:13], v[6:7] neg_lo:[0,0,1] neg_hi:[0,0,1]
	s_wait_loadcnt 0x0
	v_pk_mul_f32 v[14:15], v[4:5], v[10:11]
	s_delay_alu instid0(VALU_DEP_1)
	v_pk_fma_f32 v[80:81], v[4:5], v[16:17], v[14:15] op_sel:[0,0,1] op_sel_hi:[1,1,0]
	s_wait_xcnt 0x0
	v_pk_fma_f32 v[4:5], v[4:5], v[16:17], v[14:15] op_sel:[0,0,1] op_sel_hi:[1,1,0] neg_lo:[0,0,1] neg_hi:[0,0,1]
	v_mov_b32_e32 v7, v79
	v_add_nc_u64_e32 v[14:15], v[2:3], v[0:1]
	v_add_nc_u64_e32 v[78:79], s[18:19], v[94:95]
	v_mov_b32_e32 v5, v81
	v_add_nc_u64_e32 v[2:3], s[16:17], v[2:3]
	s_delay_alu instid0(VALU_DEP_2)
	v_pk_add_f32 v[4:5], v[6:7], v[4:5]
	v_pk_mul_f32 v[6:7], v[72:73], v[8:9] op_sel_hi:[0,1]
	global_store_b64 v[18:19], v[4:5], off offset:384
	global_load_b64 v[4:5], v[14:15], off
	v_pk_fma_f32 v[72:73], v[74:75], v[12:13], v[6:7] op_sel_hi:[0,1,1]
	v_pk_fma_f32 v[6:7], v[74:75], v[12:13], v[6:7] neg_lo:[0,0,1] neg_hi:[0,0,1]
	s_wait_loadcnt 0x0
	v_pk_mul_f32 v[18:19], v[4:5], v[10:11]
	s_delay_alu instid0(VALU_DEP_1) | instskip(SKIP_3) | instid1(VALU_DEP_4)
	v_pk_fma_f32 v[76:77], v[4:5], v[16:17], v[18:19] op_sel:[0,0,1] op_sel_hi:[1,1,0]
	v_pk_fma_f32 v[4:5], v[4:5], v[16:17], v[18:19] op_sel:[0,0,1] op_sel_hi:[1,1,0] neg_lo:[0,0,1] neg_hi:[0,0,1]
	v_mov_b32_e32 v7, v73
	v_add_nc_u64_e32 v[18:19], v[78:79], v[0:1]
	v_mov_b32_e32 v5, v77
	s_delay_alu instid0(VALU_DEP_1)
	v_pk_add_f32 v[4:5], v[6:7], v[4:5]
	v_pk_mul_f32 v[6:7], v[70:71], v[8:9] op_sel_hi:[0,1]
	global_store_b64 v[18:19], v[4:5], off
	global_load_b64 v[4:5], v[14:15], off offset:128
	v_pk_fma_f32 v[72:73], v[68:69], v[12:13], v[6:7] op_sel_hi:[0,1,1]
	v_pk_fma_f32 v[6:7], v[68:69], v[12:13], v[6:7] neg_lo:[0,0,1] neg_hi:[0,0,1]
	s_wait_loadcnt 0x0
	v_pk_mul_f32 v[70:71], v[4:5], v[10:11]
	s_delay_alu instid0(VALU_DEP_1) | instskip(SKIP_1) | instid1(VALU_DEP_2)
	v_pk_fma_f32 v[74:75], v[4:5], v[16:17], v[70:71] op_sel:[0,0,1] op_sel_hi:[1,1,0]
	v_pk_fma_f32 v[4:5], v[4:5], v[16:17], v[70:71] op_sel:[0,0,1] op_sel_hi:[1,1,0] neg_lo:[0,0,1] neg_hi:[0,0,1]
	v_dual_mov_b32 v7, v73 :: v_dual_mov_b32 v5, v75
	s_delay_alu instid0(VALU_DEP_1)
	v_pk_add_f32 v[4:5], v[6:7], v[4:5]
	v_pk_mul_f32 v[6:7], v[66:67], v[8:9] op_sel_hi:[0,1]
	global_store_b64 v[18:19], v[4:5], off offset:128
	global_load_b64 v[4:5], v[14:15], off offset:256
	v_pk_fma_f32 v[68:69], v[64:65], v[12:13], v[6:7] op_sel_hi:[0,1,1]
	v_pk_fma_f32 v[6:7], v[64:65], v[12:13], v[6:7] neg_lo:[0,0,1] neg_hi:[0,0,1]
	s_wait_loadcnt 0x0
	v_pk_mul_f32 v[66:67], v[4:5], v[10:11]
	s_delay_alu instid0(VALU_DEP_1) | instskip(SKIP_1) | instid1(VALU_DEP_2)
	v_pk_fma_f32 v[70:71], v[4:5], v[16:17], v[66:67] op_sel:[0,0,1] op_sel_hi:[1,1,0]
	v_pk_fma_f32 v[4:5], v[4:5], v[16:17], v[66:67] op_sel:[0,0,1] op_sel_hi:[1,1,0] neg_lo:[0,0,1] neg_hi:[0,0,1]
	v_dual_mov_b32 v7, v69 :: v_dual_mov_b32 v5, v71
	s_delay_alu instid0(VALU_DEP_1)
	v_pk_add_f32 v[4:5], v[6:7], v[4:5]
	v_pk_mul_f32 v[6:7], v[62:63], v[8:9] op_sel_hi:[0,1]
	global_store_b64 v[18:19], v[4:5], off offset:256
	global_load_b64 v[4:5], v[14:15], off offset:384
	v_pk_fma_f32 v[62:63], v[60:61], v[12:13], v[6:7] op_sel_hi:[0,1,1]
	v_pk_fma_f32 v[6:7], v[60:61], v[12:13], v[6:7] neg_lo:[0,0,1] neg_hi:[0,0,1]
	s_wait_loadcnt 0x0
	s_wait_xcnt 0x0
	v_pk_mul_f32 v[14:15], v[4:5], v[10:11]
	s_delay_alu instid0(VALU_DEP_1)
	v_pk_fma_f32 v[64:65], v[4:5], v[16:17], v[14:15] op_sel:[0,0,1] op_sel_hi:[1,1,0]
	v_pk_fma_f32 v[4:5], v[4:5], v[16:17], v[14:15] op_sel:[0,0,1] op_sel_hi:[1,1,0] neg_lo:[0,0,1] neg_hi:[0,0,1]
	v_mov_b32_e32 v7, v63
	v_add_nc_u64_e32 v[14:15], v[2:3], v[0:1]
	v_add_nc_u64_e32 v[62:63], s[18:19], v[78:79]
	v_mov_b32_e32 v5, v65
	v_add_nc_u64_e32 v[2:3], s[16:17], v[2:3]
	s_delay_alu instid0(VALU_DEP_2) | instskip(SKIP_1) | instid1(VALU_DEP_3)
	v_pk_add_f32 v[4:5], v[6:7], v[4:5]
	v_pk_mul_f32 v[6:7], v[58:59], v[8:9] op_sel_hi:[0,1]
	v_add_nc_u64_e32 v[2:3], v[2:3], v[0:1]
	global_store_b64 v[18:19], v[4:5], off offset:384
	global_load_b64 v[4:5], v[14:15], off
	v_pk_fma_f32 v[58:59], v[56:57], v[12:13], v[6:7] op_sel_hi:[0,1,1]
	v_pk_fma_f32 v[6:7], v[56:57], v[12:13], v[6:7] neg_lo:[0,0,1] neg_hi:[0,0,1]
	s_wait_loadcnt 0x0
	v_pk_mul_f32 v[18:19], v[4:5], v[10:11]
	s_delay_alu instid0(VALU_DEP_1) | instskip(SKIP_3) | instid1(VALU_DEP_4)
	v_pk_fma_f32 v[60:61], v[4:5], v[16:17], v[18:19] op_sel:[0,0,1] op_sel_hi:[1,1,0]
	v_pk_fma_f32 v[4:5], v[4:5], v[16:17], v[18:19] op_sel:[0,0,1] op_sel_hi:[1,1,0] neg_lo:[0,0,1] neg_hi:[0,0,1]
	v_mov_b32_e32 v7, v59
	v_add_nc_u64_e32 v[18:19], v[62:63], v[0:1]
	v_mov_b32_e32 v5, v61
	s_delay_alu instid0(VALU_DEP_1)
	v_pk_add_f32 v[4:5], v[6:7], v[4:5]
	v_pk_mul_f32 v[6:7], v[54:55], v[8:9] op_sel_hi:[0,1]
	global_store_b64 v[18:19], v[4:5], off
	global_load_b64 v[4:5], v[14:15], off offset:128
	v_pk_fma_f32 v[56:57], v[52:53], v[12:13], v[6:7] op_sel_hi:[0,1,1]
	v_pk_fma_f32 v[6:7], v[52:53], v[12:13], v[6:7] neg_lo:[0,0,1] neg_hi:[0,0,1]
	s_wait_loadcnt 0x0
	v_pk_mul_f32 v[54:55], v[4:5], v[10:11]
	s_delay_alu instid0(VALU_DEP_1) | instskip(SKIP_1) | instid1(VALU_DEP_2)
	v_pk_fma_f32 v[58:59], v[4:5], v[16:17], v[54:55] op_sel:[0,0,1] op_sel_hi:[1,1,0]
	v_pk_fma_f32 v[4:5], v[4:5], v[16:17], v[54:55] op_sel:[0,0,1] op_sel_hi:[1,1,0] neg_lo:[0,0,1] neg_hi:[0,0,1]
	v_dual_mov_b32 v7, v57 :: v_dual_mov_b32 v5, v59
	s_delay_alu instid0(VALU_DEP_1)
	v_pk_add_f32 v[4:5], v[6:7], v[4:5]
	v_pk_mul_f32 v[6:7], v[50:51], v[8:9] op_sel_hi:[0,1]
	global_store_b64 v[18:19], v[4:5], off offset:128
	global_load_b64 v[4:5], v[14:15], off offset:256
	v_pk_fma_f32 v[52:53], v[48:49], v[12:13], v[6:7] op_sel_hi:[0,1,1]
	v_pk_fma_f32 v[6:7], v[48:49], v[12:13], v[6:7] neg_lo:[0,0,1] neg_hi:[0,0,1]
	s_wait_loadcnt 0x0
	v_pk_mul_f32 v[50:51], v[4:5], v[10:11]
	s_delay_alu instid0(VALU_DEP_1) | instskip(SKIP_1) | instid1(VALU_DEP_2)
	v_pk_fma_f32 v[54:55], v[4:5], v[16:17], v[50:51] op_sel:[0,0,1] op_sel_hi:[1,1,0]
	v_pk_fma_f32 v[4:5], v[4:5], v[16:17], v[50:51] op_sel:[0,0,1] op_sel_hi:[1,1,0] neg_lo:[0,0,1] neg_hi:[0,0,1]
	v_dual_mov_b32 v7, v53 :: v_dual_mov_b32 v5, v55
	s_delay_alu instid0(VALU_DEP_1)
	v_pk_add_f32 v[4:5], v[6:7], v[4:5]
	v_pk_mul_f32 v[6:7], v[46:47], v[8:9] op_sel_hi:[0,1]
	global_store_b64 v[18:19], v[4:5], off offset:256
	global_load_b64 v[4:5], v[14:15], off offset:384
	v_pk_fma_f32 v[46:47], v[44:45], v[12:13], v[6:7] op_sel_hi:[0,1,1]
	v_pk_fma_f32 v[6:7], v[44:45], v[12:13], v[6:7] neg_lo:[0,0,1] neg_hi:[0,0,1]
	v_add_nc_u64_e32 v[44:45], s[18:19], v[62:63]
	s_wait_loadcnt 0x0
	s_wait_xcnt 0x0
	v_pk_mul_f32 v[14:15], v[4:5], v[10:11]
	s_delay_alu instid0(VALU_DEP_1) | instskip(SKIP_1) | instid1(VALU_DEP_2)
	v_pk_fma_f32 v[48:49], v[4:5], v[16:17], v[14:15] op_sel:[0,0,1] op_sel_hi:[1,1,0]
	v_pk_fma_f32 v[4:5], v[4:5], v[16:17], v[14:15] op_sel:[0,0,1] op_sel_hi:[1,1,0] neg_lo:[0,0,1] neg_hi:[0,0,1]
	v_dual_mov_b32 v7, v47 :: v_dual_mov_b32 v5, v49
	s_delay_alu instid0(VALU_DEP_1)
	v_pk_add_f32 v[4:5], v[6:7], v[4:5]
	v_pk_mul_f32 v[6:7], v[42:43], v[8:9] op_sel_hi:[0,1]
	global_store_b64 v[18:19], v[4:5], off offset:384
	global_load_b64 v[4:5], v[2:3], off
	v_pk_fma_f32 v[18:19], v[40:41], v[12:13], v[6:7] op_sel_hi:[0,1,1]
	v_pk_fma_f32 v[6:7], v[40:41], v[12:13], v[6:7] neg_lo:[0,0,1] neg_hi:[0,0,1]
	s_wait_loadcnt 0x0
	v_pk_mul_f32 v[14:15], v[4:5], v[10:11]
	s_delay_alu instid0(VALU_DEP_1) | instskip(SKIP_3) | instid1(VALU_DEP_4)
	v_pk_fma_f32 v[42:43], v[4:5], v[16:17], v[14:15] op_sel:[0,0,1] op_sel_hi:[1,1,0]
	v_pk_fma_f32 v[4:5], v[4:5], v[16:17], v[14:15] op_sel:[0,0,1] op_sel_hi:[1,1,0] neg_lo:[0,0,1] neg_hi:[0,0,1]
	v_mov_b32_e32 v7, v19
	v_add_nc_u64_e32 v[14:15], v[44:45], v[0:1]
	v_mov_b32_e32 v5, v43
	s_delay_alu instid0(VALU_DEP_1)
	v_pk_add_f32 v[0:1], v[6:7], v[4:5]
	v_pk_mul_f32 v[4:5], v[38:39], v[8:9] op_sel_hi:[0,1]
	global_store_b64 v[14:15], v[0:1], off
	global_load_b64 v[0:1], v[2:3], off offset:128
	v_pk_fma_f32 v[18:19], v[36:37], v[12:13], v[4:5] op_sel_hi:[0,1,1]
	v_pk_fma_f32 v[4:5], v[36:37], v[12:13], v[4:5] neg_lo:[0,0,1] neg_hi:[0,0,1]
	s_wait_loadcnt 0x0
	v_pk_mul_f32 v[6:7], v[0:1], v[10:11]
	s_delay_alu instid0(VALU_DEP_1) | instskip(SKIP_1) | instid1(VALU_DEP_2)
	v_pk_fma_f32 v[40:41], v[0:1], v[16:17], v[6:7] op_sel:[0,0,1] op_sel_hi:[1,1,0]
	v_pk_fma_f32 v[0:1], v[0:1], v[16:17], v[6:7] op_sel:[0,0,1] op_sel_hi:[1,1,0] neg_lo:[0,0,1] neg_hi:[0,0,1]
	v_dual_mov_b32 v5, v19 :: v_dual_mov_b32 v1, v41
	s_delay_alu instid0(VALU_DEP_1)
	v_pk_add_f32 v[0:1], v[4:5], v[0:1]
	v_pk_mul_f32 v[4:5], v[34:35], v[8:9] op_sel_hi:[0,1]
	global_store_b64 v[14:15], v[0:1], off offset:128
	global_load_b64 v[0:1], v[2:3], off offset:256
	v_pk_fma_f32 v[8:9], v[32:33], v[12:13], v[4:5] op_sel_hi:[0,1,1]
	v_pk_fma_f32 v[4:5], v[32:33], v[12:13], v[4:5] neg_lo:[0,0,1] neg_hi:[0,0,1]
	s_wait_loadcnt 0x0
	v_pk_mul_f32 v[6:7], v[0:1], v[10:11]
	s_delay_alu instid0(VALU_DEP_1) | instskip(SKIP_2) | instid1(VALU_DEP_3)
	v_pk_fma_f32 v[10:11], v[0:1], v[16:17], v[6:7] op_sel:[0,0,1] op_sel_hi:[1,1,0]
	v_pk_fma_f32 v[0:1], v[0:1], v[16:17], v[6:7] op_sel:[0,0,1] op_sel_hi:[1,1,0] neg_lo:[0,0,1] neg_hi:[0,0,1]
	v_dual_mov_b32 v5, v9 :: v_dual_mul_f32 v7, s26, v30
	v_mov_b32_e32 v1, v11
	s_delay_alu instid0(VALU_DEP_2) | instskip(NEXT) | instid1(VALU_DEP_2)
	v_fma_f32 v7, -v31, s28, v7
	v_pk_add_f32 v[0:1], v[4:5], v[0:1]
	global_store_b64 v[14:15], v[0:1], off offset:256
	global_load_b64 v[0:1], v[2:3], off offset:384
	s_wait_xcnt 0x0
	v_mov_b64_e32 v[2:3], s[20:21]
	s_wait_loadcnt 0x0
	v_dual_mul_f32 v4, s35, v1 :: v_dual_mov_b32 v5, v0
	s_delay_alu instid0(VALU_DEP_1) | instskip(SKIP_1) | instid1(VALU_DEP_1)
	v_fma_f32 v6, v0, s34, -v4
	v_dual_mov_b32 v0, v31 :: v_dual_mov_b32 v4, v30
	v_pk_mul_f32 v[0:1], v[0:1], v[2:3]
	v_mov_b64_e32 v[2:3], s[6:7]
	s_delay_alu instid0(VALU_DEP_1) | instskip(SKIP_1) | instid1(VALU_DEP_2)
	v_pk_fma_f32 v[2:3], v[4:5], v[2:3], v[0:1]
	v_add_nc_u64_e32 v[0:1], 0x180, v[14:15]
	v_dual_add_f32 v4, v7, v6 :: v_dual_add_f32 v2, v2, v3
	global_store_b32 v[14:15], v4, off offset:384
	s_branch .LBB501_2
.LBB501_10:
	s_sendmsg sendmsg(MSG_DEALLOC_VGPRS)
	s_endpgm
	.section	.rodata,"a",@progbits
	.p2align	6, 0x0
	.amdhsa_kernel _ZN12_GLOBAL__N_127rocblas_gemm_batched_kernelI19rocblas_complex_numIfELi16ELi16ELi64ELi64ELi4ELi64ELi4ELi4ELi64ELc78ELc78EKS2_S3_S2_EEvlllT_PT11_llS6_llS4_PT12_llPT13_lli
		.amdhsa_group_segment_fixed_size 4096
		.amdhsa_private_segment_fixed_size 0
		.amdhsa_kernarg_size 140
		.amdhsa_user_sgpr_count 2
		.amdhsa_user_sgpr_dispatch_ptr 0
		.amdhsa_user_sgpr_queue_ptr 0
		.amdhsa_user_sgpr_kernarg_segment_ptr 1
		.amdhsa_user_sgpr_dispatch_id 0
		.amdhsa_user_sgpr_kernarg_preload_length 0
		.amdhsa_user_sgpr_kernarg_preload_offset 0
		.amdhsa_user_sgpr_private_segment_size 0
		.amdhsa_wavefront_size32 1
		.amdhsa_uses_dynamic_stack 0
		.amdhsa_enable_private_segment 0
		.amdhsa_system_sgpr_workgroup_id_x 1
		.amdhsa_system_sgpr_workgroup_id_y 1
		.amdhsa_system_sgpr_workgroup_id_z 1
		.amdhsa_system_sgpr_workgroup_info 0
		.amdhsa_system_vgpr_workitem_id 1
		.amdhsa_next_free_vgpr 193
		.amdhsa_next_free_sgpr 44
		.amdhsa_named_barrier_count 0
		.amdhsa_reserve_vcc 1
		.amdhsa_float_round_mode_32 0
		.amdhsa_float_round_mode_16_64 0
		.amdhsa_float_denorm_mode_32 3
		.amdhsa_float_denorm_mode_16_64 3
		.amdhsa_fp16_overflow 0
		.amdhsa_memory_ordered 1
		.amdhsa_forward_progress 1
		.amdhsa_inst_pref_size 48
		.amdhsa_round_robin_scheduling 0
		.amdhsa_exception_fp_ieee_invalid_op 0
		.amdhsa_exception_fp_denorm_src 0
		.amdhsa_exception_fp_ieee_div_zero 0
		.amdhsa_exception_fp_ieee_overflow 0
		.amdhsa_exception_fp_ieee_underflow 0
		.amdhsa_exception_fp_ieee_inexact 0
		.amdhsa_exception_int_div_zero 0
	.end_amdhsa_kernel
	.section	.text._ZN12_GLOBAL__N_127rocblas_gemm_batched_kernelI19rocblas_complex_numIfELi16ELi16ELi64ELi64ELi4ELi64ELi4ELi4ELi64ELc78ELc78EKS2_S3_S2_EEvlllT_PT11_llS6_llS4_PT12_llPT13_lli,"axG",@progbits,_ZN12_GLOBAL__N_127rocblas_gemm_batched_kernelI19rocblas_complex_numIfELi16ELi16ELi64ELi64ELi4ELi64ELi4ELi4ELi64ELc78ELc78EKS2_S3_S2_EEvlllT_PT11_llS6_llS4_PT12_llPT13_lli,comdat
.Lfunc_end501:
	.size	_ZN12_GLOBAL__N_127rocblas_gemm_batched_kernelI19rocblas_complex_numIfELi16ELi16ELi64ELi64ELi4ELi64ELi4ELi4ELi64ELc78ELc78EKS2_S3_S2_EEvlllT_PT11_llS6_llS4_PT12_llPT13_lli, .Lfunc_end501-_ZN12_GLOBAL__N_127rocblas_gemm_batched_kernelI19rocblas_complex_numIfELi16ELi16ELi64ELi64ELi4ELi64ELi4ELi4ELi64ELc78ELc78EKS2_S3_S2_EEvlllT_PT11_llS6_llS4_PT12_llPT13_lli
                                        ; -- End function
	.set _ZN12_GLOBAL__N_127rocblas_gemm_batched_kernelI19rocblas_complex_numIfELi16ELi16ELi64ELi64ELi4ELi64ELi4ELi4ELi64ELc78ELc78EKS2_S3_S2_EEvlllT_PT11_llS6_llS4_PT12_llPT13_lli.num_vgpr, 193
	.set _ZN12_GLOBAL__N_127rocblas_gemm_batched_kernelI19rocblas_complex_numIfELi16ELi16ELi64ELi64ELi4ELi64ELi4ELi4ELi64ELc78ELc78EKS2_S3_S2_EEvlllT_PT11_llS6_llS4_PT12_llPT13_lli.num_agpr, 0
	.set _ZN12_GLOBAL__N_127rocblas_gemm_batched_kernelI19rocblas_complex_numIfELi16ELi16ELi64ELi64ELi4ELi64ELi4ELi4ELi64ELc78ELc78EKS2_S3_S2_EEvlllT_PT11_llS6_llS4_PT12_llPT13_lli.numbered_sgpr, 44
	.set _ZN12_GLOBAL__N_127rocblas_gemm_batched_kernelI19rocblas_complex_numIfELi16ELi16ELi64ELi64ELi4ELi64ELi4ELi4ELi64ELc78ELc78EKS2_S3_S2_EEvlllT_PT11_llS6_llS4_PT12_llPT13_lli.num_named_barrier, 0
	.set _ZN12_GLOBAL__N_127rocblas_gemm_batched_kernelI19rocblas_complex_numIfELi16ELi16ELi64ELi64ELi4ELi64ELi4ELi4ELi64ELc78ELc78EKS2_S3_S2_EEvlllT_PT11_llS6_llS4_PT12_llPT13_lli.private_seg_size, 0
	.set _ZN12_GLOBAL__N_127rocblas_gemm_batched_kernelI19rocblas_complex_numIfELi16ELi16ELi64ELi64ELi4ELi64ELi4ELi4ELi64ELc78ELc78EKS2_S3_S2_EEvlllT_PT11_llS6_llS4_PT12_llPT13_lli.uses_vcc, 1
	.set _ZN12_GLOBAL__N_127rocblas_gemm_batched_kernelI19rocblas_complex_numIfELi16ELi16ELi64ELi64ELi4ELi64ELi4ELi4ELi64ELc78ELc78EKS2_S3_S2_EEvlllT_PT11_llS6_llS4_PT12_llPT13_lli.uses_flat_scratch, 0
	.set _ZN12_GLOBAL__N_127rocblas_gemm_batched_kernelI19rocblas_complex_numIfELi16ELi16ELi64ELi64ELi4ELi64ELi4ELi4ELi64ELc78ELc78EKS2_S3_S2_EEvlllT_PT11_llS6_llS4_PT12_llPT13_lli.has_dyn_sized_stack, 0
	.set _ZN12_GLOBAL__N_127rocblas_gemm_batched_kernelI19rocblas_complex_numIfELi16ELi16ELi64ELi64ELi4ELi64ELi4ELi4ELi64ELc78ELc78EKS2_S3_S2_EEvlllT_PT11_llS6_llS4_PT12_llPT13_lli.has_recursion, 0
	.set _ZN12_GLOBAL__N_127rocblas_gemm_batched_kernelI19rocblas_complex_numIfELi16ELi16ELi64ELi64ELi4ELi64ELi4ELi4ELi64ELc78ELc78EKS2_S3_S2_EEvlllT_PT11_llS6_llS4_PT12_llPT13_lli.has_indirect_call, 0
	.section	.AMDGPU.csdata,"",@progbits
; Kernel info:
; codeLenInByte = 6028
; TotalNumSgprs: 46
; NumVgprs: 193
; ScratchSize: 0
; MemoryBound: 0
; FloatMode: 240
; IeeeMode: 1
; LDSByteSize: 4096 bytes/workgroup (compile time only)
; SGPRBlocks: 0
; VGPRBlocks: 12
; NumSGPRsForWavesPerEU: 46
; NumVGPRsForWavesPerEU: 193
; NamedBarCnt: 0
; Occupancy: 4
; WaveLimiterHint : 1
; COMPUTE_PGM_RSRC2:SCRATCH_EN: 0
; COMPUTE_PGM_RSRC2:USER_SGPR: 2
; COMPUTE_PGM_RSRC2:TRAP_HANDLER: 0
; COMPUTE_PGM_RSRC2:TGID_X_EN: 1
; COMPUTE_PGM_RSRC2:TGID_Y_EN: 1
; COMPUTE_PGM_RSRC2:TGID_Z_EN: 1
; COMPUTE_PGM_RSRC2:TIDIG_COMP_CNT: 1
	.section	.text._ZN12_GLOBAL__N_127rocblas_gemm_batched_kernelI19rocblas_complex_numIfELi16ELi16ELi64ELi64ELi4ELi64ELi4ELi4ELi64ELc84ELc78EKS2_S3_S2_EEvlllT_PT11_llS6_llS4_PT12_llPT13_lli,"axG",@progbits,_ZN12_GLOBAL__N_127rocblas_gemm_batched_kernelI19rocblas_complex_numIfELi16ELi16ELi64ELi64ELi4ELi64ELi4ELi4ELi64ELc84ELc78EKS2_S3_S2_EEvlllT_PT11_llS6_llS4_PT12_llPT13_lli,comdat
	.globl	_ZN12_GLOBAL__N_127rocblas_gemm_batched_kernelI19rocblas_complex_numIfELi16ELi16ELi64ELi64ELi4ELi64ELi4ELi4ELi64ELc84ELc78EKS2_S3_S2_EEvlllT_PT11_llS6_llS4_PT12_llPT13_lli ; -- Begin function _ZN12_GLOBAL__N_127rocblas_gemm_batched_kernelI19rocblas_complex_numIfELi16ELi16ELi64ELi64ELi4ELi64ELi4ELi4ELi64ELc84ELc78EKS2_S3_S2_EEvlllT_PT11_llS6_llS4_PT12_llPT13_lli
	.p2align	8
	.type	_ZN12_GLOBAL__N_127rocblas_gemm_batched_kernelI19rocblas_complex_numIfELi16ELi16ELi64ELi64ELi4ELi64ELi4ELi4ELi64ELc84ELc78EKS2_S3_S2_EEvlllT_PT11_llS6_llS4_PT12_llPT13_lli,@function
_ZN12_GLOBAL__N_127rocblas_gemm_batched_kernelI19rocblas_complex_numIfELi16ELi16ELi64ELi64ELi4ELi64ELi4ELi4ELi64ELc84ELc78EKS2_S3_S2_EEvlllT_PT11_llS6_llS4_PT12_llPT13_lli: ; @_ZN12_GLOBAL__N_127rocblas_gemm_batched_kernelI19rocblas_complex_numIfELi16ELi16ELi64ELi64ELi4ELi64ELi4ELi4ELi64ELc84ELc78EKS2_S3_S2_EEvlllT_PT11_llS6_llS4_PT12_llPT13_lli
; %bb.0:
	s_load_b32 s33, s[0:1], 0x88
	s_bfe_u32 s2, ttmp6, 0x40014
	s_lshr_b32 s3, ttmp7, 16
	s_add_co_i32 s2, s2, 1
	s_bfe_u32 s4, ttmp6, 0x40008
	s_mul_i32 s2, s3, s2
	s_getreg_b32 s24, hwreg(HW_REG_IB_STS2, 6, 4)
	s_add_co_i32 s4, s4, s2
	s_cmp_eq_u32 s24, 0
	s_cselect_b32 s2, s3, s4
	s_mov_b32 s3, 0
	s_wait_kmcnt 0x0
	s_cmp_ge_i32 s2, s33
	s_cbranch_scc1 .LBB502_10
; %bb.1:
	v_bfe_u32 v2, v0, 10, 10
	v_and_b32_e32 v4, 0x3ff, v0
	s_bfe_u32 s25, ttmp6, 0x4000c
	s_bfe_u32 s27, ttmp6, 0x40010
	s_clause 0x3
	s_load_b256 s[12:19], s[0:1], 0x20
	s_load_b128 s[20:23], s[0:1], 0x78
	s_load_b128 s[28:31], s[0:1], 0x40
	s_load_b64 s[34:35], s[0:1], 0x50
	s_add_co_i32 s25, s25, 1
	s_and_b32 s36, ttmp7, 0xffff
	s_add_co_i32 s27, s27, 1
	v_lshl_add_u32 v5, v2, 4, v4
	v_mov_b32_e32 v3, 0
	s_and_b32 s26, ttmp6, 15
	s_mul_i32 s25, ttmp9, s25
	s_mul_i32 s27, s36, s27
	s_bfe_u32 s37, ttmp6, 0x40004
	s_add_co_i32 s26, s26, s25
	s_add_co_i32 s37, s37, s27
	s_load_b256 s[4:11], s[0:1], 0x58
	s_cmp_eq_u32 s24, 0
	v_dual_lshrrev_b32 v6, 2, v5 :: v_dual_bitop2_b32 v13, 63, v5 bitop3:0x40
	v_mov_b32_e32 v7, v3
	s_cselect_b32 s24, ttmp9, s26
	s_cselect_b32 s26, s36, s37
	s_ashr_i32 s25, s24, 31
	s_lshl_b32 s36, s26, 6
	s_mov_b32 s37, s3
	s_lshl_b64 s[38:39], s[24:25], 6
	v_add_nc_u64_e32 v[8:9], s[36:37], v[6:7]
	v_dual_lshlrev_b32 v7, 3, v0 :: v_dual_bitop2_b32 v0, s38, v13 bitop3:0x54
	v_mov_b32_e32 v1, s39
	v_add_nc_u64_e32 v[10:11], s[36:37], v[2:3]
	s_load_b128 s[24:27], s[0:1], 0x10
	s_delay_alu instid0(VALU_DEP_3)
	v_and_b32_e32 v12, 24, v7
	s_wait_kmcnt 0x0
	v_mul_u64_e32 v[8:9], s[28:29], v[8:9]
	v_mul_u64_e32 v[0:1], s[14:15], v[0:1]
	v_dual_mov_b32 v5, v3 :: v_dual_lshrrev_b32 v14, 6, v5
	v_lshl_or_b32 v15, v6, 5, v12
	v_mul_u64_e32 v[6:7], s[6:7], v[10:11]
	v_mul_u64_e32 v[20:21], s[20:21], v[10:11]
	v_dual_lshlrev_b32 v13, 3, v13 :: v_dual_lshlrev_b32 v37, 3, v4
	s_or_b32 s0, s34, s35
	v_lshl_add_u32 v39, v2, 5, 0x800
	s_bitset0_b32 s0, 31
	s_delay_alu instid0(VALU_DEP_2)
	v_lshl_or_b32 v33, v14, 9, v13
	s_cmp_eq_u32 s0, 0
	v_dual_mov_b32 v13, v3 :: v_dual_lshlrev_b32 v2, 3, v14
	v_add_nc_u64_e32 v[22:23], s[38:39], v[4:5]
	v_add_nc_u32_e32 v35, 0x800, v15
	v_cmp_gt_i64_e64 s0, s[24:25], 0
	s_cselect_b32 s1, -1, 0
	s_lshl_b64 s[38:39], s[20:21], 4
	s_lshl_b64 s[40:41], s[6:7], 4
	s_mov_b32 s14, s27
	s_mov_b32 s15, s26
	;; [unrolled: 1-line block ×3, first 2 shown]
	v_cndmask_b32_e64 v4, 0, 1, s0
	s_mov_b32 s7, s35
	s_mov_b32 s20, s26
	;; [unrolled: 1-line block ×4, first 2 shown]
	v_cmp_ne_u32_e64 s0, 1, v4
	s_mov_b32 s29, s34
	s_mov_b32 s36, s35
	v_lshl_add_u64 v[0:1], v[0:1], 3, v[2:3]
	v_lshl_add_u64 v[2:3], v[8:9], 3, v[12:13]
	s_mov_b32 s37, s35
	v_lshl_add_u64 v[24:25], v[6:7], 3, s[4:5]
	s_delay_alu instid0(VALU_DEP_3) | instskip(NEXT) | instid1(VALU_DEP_3)
	v_add_nc_u64_e32 v[26:27], s[12:13], v[0:1]
	v_add_nc_u64_e32 v[28:29], s[18:19], v[2:3]
	s_lshl_b64 s[4:5], s[16:17], 3
	s_lshl_b64 s[12:13], s[30:31], 3
	s_lshl_b64 s[16:17], s[40:41], 3
	s_lshl_b64 s[18:19], s[38:39], 3
	s_branch .LBB502_3
.LBB502_2:                              ;   in Loop: Header=BB502_3 Depth=1
	s_add_co_i32 s2, s2, 0x10000
	global_store_b32 v[0:1], v2, off offset:4
	s_cmp_lt_i32 s2, s33
	s_cbranch_scc0 .LBB502_10
.LBB502_3:                              ; =>This Loop Header: Depth=1
                                        ;     Child Loop BB502_5 Depth 2
	v_dual_mov_b32 v31, 0 :: v_dual_mov_b32 v30, 0
	v_dual_mov_b32 v88, 0 :: v_dual_mov_b32 v90, 0
	;; [unrolled: 1-line block ×16, first 2 shown]
	s_and_b32 vcc_lo, exec_lo, s0
	s_cbranch_vccnz .LBB502_6
; %bb.4:                                ;   in Loop: Header=BB502_3 Depth=1
	v_mad_nc_u64_u32 v[92:93], s4, s2, v[26:27]
	v_mad_nc_u64_u32 v[94:95], s12, s2, v[28:29]
	v_dual_mov_b32 v34, 0 :: v_dual_mov_b32 v32, 0
	v_dual_mov_b32 v38, 0 :: v_dual_mov_b32 v36, 0
	v_dual_mov_b32 v42, 0 :: v_dual_mov_b32 v40, 0
	v_dual_mov_b32 v46, 0 :: v_dual_mov_b32 v44, 0
	v_dual_mov_b32 v50, 0 :: v_dual_mov_b32 v48, 0
	v_mad_u32 v93, s5, s2, v93
	v_mad_u32 v95, s13, s2, v95
	v_dual_mov_b32 v54, 0 :: v_dual_mov_b32 v52, 0
	v_dual_mov_b32 v58, 0 :: v_dual_mov_b32 v56, 0
	v_dual_mov_b32 v62, 0 :: v_dual_mov_b32 v60, 0
	v_dual_mov_b32 v66, 0 :: v_dual_mov_b32 v64, 0
	v_dual_mov_b32 v70, 0 :: v_dual_mov_b32 v68, 0
	v_dual_mov_b32 v72, 0 :: v_dual_mov_b32 v74, 0
	v_dual_mov_b32 v78, 0 :: v_dual_mov_b32 v76, 0
	v_dual_mov_b32 v80, 0 :: v_dual_mov_b32 v30, 0
	v_dual_mov_b32 v31, v34 :: v_dual_mov_b32 v82, 0
	v_dual_mov_b32 v86, 0 :: v_dual_mov_b32 v84, 0
	v_dual_mov_b32 v90, 0 :: v_dual_mov_b32 v88, 0
	s_mov_b64 s[30:31], 0
.LBB502_5:                              ;   Parent Loop BB502_3 Depth=1
                                        ; =>  This Inner Loop Header: Depth=2
	global_load_b64 v[0:1], v[92:93], off
	global_load_b64 v[2:3], v[94:95], off
	s_add_nc_u64 s[30:31], s[30:31], 4
	s_wait_xcnt 0x1
	v_add_nc_u64_e32 v[92:93], 32, v[92:93]
	v_cmp_lt_i64_e64 s38, s[30:31], s[24:25]
	s_wait_xcnt 0x0
	v_add_nc_u64_e32 v[94:95], 32, v[94:95]
	s_wait_loadcnt 0x1
	ds_store_b64 v33, v[0:1]
	s_wait_loadcnt 0x0
	ds_store_b64 v35, v[2:3]
	s_wait_dscnt 0x0
	s_barrier_signal -1
	s_barrier_wait -1
	ds_load_2addr_b64 v[0:3], v37 offset1:16
	ds_load_b128 v[8:11], v39
	ds_load_2addr_b64 v[4:7], v37 offset0:32 offset1:48
	ds_load_2addr_b64 v[12:15], v37 offset0:64 offset1:80
	;; [unrolled: 1-line block ×3, first 2 shown]
	ds_load_b128 v[96:99], v39 offset:16
	ds_load_2addr_b64 v[100:103], v37 offset0:128 offset1:144
	ds_load_2addr_b64 v[104:107], v37 offset0:160 offset1:176
	;; [unrolled: 1-line block ×4, first 2 shown]
	ds_load_b128 v[116:119], v39 offset:512
	ds_load_b128 v[120:123], v39 offset:528
	;; [unrolled: 1-line block ×6, first 2 shown]
	s_and_b32 vcc_lo, exec_lo, s38
	s_wait_dscnt 0x0
	s_barrier_signal -1
	s_barrier_wait -1
	v_dual_mul_f32 v41, v9, v1 :: v_dual_mul_f32 v43, v8, v1
	v_dual_mul_f32 v45, v9, v3 :: v_dual_mul_f32 v47, v8, v3
	;; [unrolled: 1-line block ×27, first 2 shown]
	v_dual_fma_f32 v41, v8, v0, -v41 :: v_dual_fmac_f32 v43, v9, v0
	v_dual_fma_f32 v45, v8, v2, -v45 :: v_dual_fmac_f32 v47, v9, v2
	v_dual_fma_f32 v49, v8, v4, -v49 :: v_dual_fmac_f32 v51, v9, v4
	v_dual_fma_f32 v53, v8, v6, -v53 :: v_dual_fmac_f32 v55, v9, v6
	v_dual_fma_f32 v57, v10, v12, -v57 :: v_dual_fmac_f32 v59, v11, v12
	v_dual_fma_f32 v61, v10, v14, -v61 :: v_dual_fmac_f32 v63, v11, v14
	v_dual_fma_f32 v65, v10, v16, -v65 :: v_dual_fmac_f32 v67, v11, v16
	v_dual_fma_f32 v69, v10, v18, -v69 :: v_dual_fmac_f32 v71, v11, v18
	v_pk_mul_f32 v[8:9], v[132:133], v[6:7] op_sel:[1,1] op_sel_hi:[0,1]
	v_dual_mul_f32 v5, v135, v13 :: v_dual_mul_f32 v166, v134, v13
	v_dual_mov_b32 v10, v135 :: v_dual_mov_b32 v11, v134
	v_dual_fma_f32 v73, v116, v0, -v73 :: v_dual_fmac_f32 v75, v117, v0
	v_dual_fma_f32 v77, v116, v2, -v77 :: v_dual_fmac_f32 v79, v117, v2
	;; [unrolled: 1-line block ×19, first 2 shown]
	v_pk_fma_f32 v[0:1], v[132:133], v[6:7], v[8:9] neg_lo:[0,0,1] neg_hi:[0,0,1]
	v_pk_fma_f32 v[2:3], v[132:133], v[6:7], v[8:9] op_sel_hi:[1,0,1]
	v_dual_fma_f32 v133, v134, v12, -v5 :: v_dual_fmac_f32 v166, v135, v12
	v_pk_mul_f32 v[4:5], v[10:11], v[18:19] op_sel:[0,1]
	v_dual_mul_f32 v13, v135, v15 :: v_dual_mul_f32 v119, v134, v15
	v_dual_mul_f32 v15, v135, v17 :: v_dual_mul_f32 v17, v134, v17
	;; [unrolled: 1-line block ×4, first 2 shown]
	v_pk_fma_f32 v[6:7], v[134:135], v[18:19], v[4:5] neg_lo:[0,0,1] neg_hi:[0,0,1]
	v_pk_fma_f32 v[4:5], v[134:135], v[18:19], v[4:5] op_sel_hi:[1,0,1]
	v_dual_mul_f32 v127, v97, v101 :: v_dual_mul_f32 v150, v96, v101
	v_dual_mul_f32 v8, v97, v107 :: v_dual_mul_f32 v132, v96, v107
	v_dual_fma_f32 v162, v134, v14, -v13 :: v_dual_fmac_f32 v119, v135, v14
	v_dual_mul_f32 v9, v99, v109 :: v_dual_mul_f32 v167, v98, v109
	v_dual_fma_f32 v168, v134, v16, -v15 :: v_dual_fmac_f32 v17, v135, v16
	v_dual_mul_f32 v4, v99, v111 :: v_dual_mul_f32 v16, v98, v111
	v_dual_mul_f32 v7, v99, v113 :: v_dual_mul_f32 v18, v98, v113
	;; [unrolled: 1-line block ×3, first 2 shown]
	v_dual_fma_f32 v135, v96, v102, -v156 :: v_dual_fmac_f32 v158, v97, v102
	v_dual_fma_f32 v156, v96, v104, -v1 :: v_dual_fmac_f32 v2, v97, v104
	v_dual_mul_f32 v1, v121, v103 :: v_dual_mul_f32 v11, v121, v101
	v_mul_f32_e32 v134, v120, v101
	v_dual_fma_f32 v127, v96, v100, -v127 :: v_dual_fmac_f32 v150, v97, v100
	v_fma_f32 v96, v96, v106, -v8
	v_dual_fmac_f32 v132, v97, v106 :: v_dual_fmac_f32 v167, v99, v108
	v_dual_fma_f32 v97, v98, v108, -v9 :: v_dual_fma_f32 v4, v98, v110, -v4
	v_dual_fma_f32 v169, v98, v112, -v7 :: v_dual_fmac_f32 v16, v99, v110
	v_fmac_f32_e32 v18, v99, v112
	v_dual_fma_f32 v98, v98, v114, -v10 :: v_dual_fmac_f32 v19, v99, v114
	v_dual_mul_f32 v99, v120, v103 :: v_dual_mul_f32 v7, v121, v105
	v_dual_mul_f32 v170, v120, v105 :: v_dual_fma_f32 v172, v120, v102, -v1
	v_dual_mul_f32 v1, v121, v107 :: v_dual_fma_f32 v171, v120, v100, -v11
	v_fmac_f32_e32 v134, v121, v100
	s_delay_alu instid0(VALU_DEP_3) | instskip(NEXT) | instid1(VALU_DEP_3)
	v_dual_fma_f32 v173, v120, v104, -v7 :: v_dual_fmac_f32 v170, v121, v104
	v_dual_fma_f32 v174, v120, v106, -v1 :: v_dual_mul_f32 v120, v120, v107
	v_dual_mul_f32 v1, v123, v109 :: v_dual_mul_f32 v175, v122, v109
	v_dual_fmac_f32 v99, v121, v102 :: v_dual_mul_f32 v177, v122, v111
	s_delay_alu instid0(VALU_DEP_2) | instskip(NEXT) | instid1(VALU_DEP_3)
	v_dual_fmac_f32 v120, v121, v106 :: v_dual_fma_f32 v121, v122, v108, -v1
	v_dual_fmac_f32 v175, v123, v108 :: v_dual_mul_f32 v1, v123, v111
	s_delay_alu instid0(VALU_DEP_3) | instskip(SKIP_1) | instid1(VALU_DEP_3)
	v_dual_fmac_f32 v177, v123, v110 :: v_dual_mul_f32 v179, v122, v113
	v_dual_mul_f32 v181, v128, v101 :: v_dual_mul_f32 v183, v128, v103
	v_dual_fma_f32 v176, v122, v110, -v1 :: v_dual_mul_f32 v1, v123, v113
	s_delay_alu instid0(VALU_DEP_3) | instskip(NEXT) | instid1(VALU_DEP_3)
	v_fmac_f32_e32 v179, v123, v112
	v_dual_fmac_f32 v181, v129, v100 :: v_dual_mul_f32 v185, v128, v105
	s_delay_alu instid0(VALU_DEP_3) | instskip(SKIP_1) | instid1(VALU_DEP_3)
	v_dual_fmac_f32 v183, v129, v102 :: v_dual_fma_f32 v178, v122, v112, -v1
	v_dual_mul_f32 v1, v123, v115 :: v_dual_mul_f32 v187, v130, v109
	v_dual_fmac_f32 v185, v129, v104 :: v_dual_mul_f32 v189, v130, v111
	v_mul_f32_e32 v191, v130, v113
	s_delay_alu instid0(VALU_DEP_3) | instskip(NEXT) | instid1(VALU_DEP_3)
	v_dual_fma_f32 v180, v122, v114, -v1 :: v_dual_mul_f32 v122, v122, v115
	v_dual_mul_f32 v1, v129, v101 :: v_dual_fmac_f32 v189, v131, v110
	v_fmac_f32_e32 v187, v131, v108
	s_delay_alu instid0(VALU_DEP_4) | instskip(NEXT) | instid1(VALU_DEP_3)
	v_fmac_f32_e32 v191, v131, v112
	v_dual_fmac_f32 v122, v123, v114 :: v_dual_fma_f32 v123, v128, v100, -v1
	v_mul_f32_e32 v1, v129, v103
	v_pk_mul_f32 v[8:9], v[136:137], v[106:107] op_sel:[1,1] op_sel_hi:[0,1]
	v_dual_mov_b32 v12, v139 :: v_dual_mov_b32 v13, v138
	v_add_f32_e32 v36, v36, v154
	s_delay_alu instid0(VALU_DEP_4) | instskip(NEXT) | instid1(VALU_DEP_4)
	v_dual_fma_f32 v182, v128, v102, -v1 :: v_dual_mul_f32 v1, v129, v105
	v_pk_fma_f32 v[10:11], v[136:137], v[106:107], v[8:9] neg_lo:[0,0,1] neg_hi:[0,0,1]
	v_pk_fma_f32 v[8:9], v[136:137], v[106:107], v[8:9] op_sel_hi:[1,0,1]
	v_pk_mul_f32 v[12:13], v[12:13], v[114:115] op_sel:[0,1]
	v_add_f32_e32 v72, v72, v75
	v_dual_fma_f32 v184, v128, v104, -v1 :: v_dual_mul_f32 v1, v129, v107
	v_dual_add_f32 v68, v68, v77 :: v_dual_add_f32 v70, v70, v79
	s_delay_alu instid0(VALU_DEP_4) | instskip(SKIP_1) | instid1(VALU_DEP_4)
	v_pk_fma_f32 v[14:15], v[138:139], v[114:115], v[12:13] neg_lo:[0,0,1] neg_hi:[0,0,1]
	v_pk_fma_f32 v[12:13], v[138:139], v[114:115], v[12:13] op_sel_hi:[1,0,1]
	v_dual_fma_f32 v186, v128, v106, -v1 :: v_dual_mul_f32 v128, v128, v107
	v_dual_mul_f32 v1, v131, v109 :: v_dual_mul_f32 v107, v138, v111
	v_dual_add_f32 v12, v88, v41 :: v_dual_add_f32 v41, v90, v43
	s_delay_alu instid0(VALU_DEP_2) | instskip(SKIP_3) | instid1(VALU_DEP_3)
	v_dual_fmac_f32 v128, v129, v106 :: v_dual_fma_f32 v129, v130, v108, -v1
	v_dual_mul_f32 v1, v131, v111 :: v_dual_add_f32 v43, v84, v45
	v_add_f32_e32 v45, v86, v47
	v_dual_add_f32 v47, v82, v49 :: v_dual_add_f32 v49, v80, v51
	v_dual_fma_f32 v188, v130, v110, -v1 :: v_dual_mul_f32 v1, v131, v113
	v_dual_add_f32 v51, v76, v53 :: v_dual_add_f32 v53, v78, v55
	v_add_f32_e32 v55, v74, v73
	v_dual_add_f32 v64, v64, v81 :: v_dual_add_f32 v66, v66, v83
	s_delay_alu instid0(VALU_DEP_4) | instskip(SKIP_2) | instid1(VALU_DEP_3)
	v_dual_fma_f32 v190, v130, v112, -v1 :: v_dual_mul_f32 v1, v131, v115
	v_dual_add_f32 v60, v60, v85 :: v_dual_add_f32 v62, v62, v87
	v_dual_add_f32 v56, v56, v140 :: v_dual_add_f32 v58, v58, v147
	v_dual_fma_f32 v192, v130, v114, -v1 :: v_dual_mul_f32 v130, v130, v115
	v_dual_mul_f32 v1, v137, v101 :: v_dual_mul_f32 v101, v136, v101
	v_dual_add_f32 v52, v52, v142 :: v_dual_add_f32 v54, v54, v149
	s_delay_alu instid0(VALU_DEP_2) | instskip(NEXT) | instid1(VALU_DEP_3)
	v_dual_fmac_f32 v130, v131, v114 :: v_dual_fma_f32 v131, v136, v100, -v1
	v_dual_mul_f32 v1, v137, v103 :: v_dual_fmac_f32 v101, v137, v100
	v_mul_f32_e32 v103, v136, v103
	v_dual_add_f32 v48, v48, v144 :: v_dual_add_f32 v50, v50, v151
	s_delay_alu instid0(VALU_DEP_3) | instskip(NEXT) | instid1(VALU_DEP_3)
	v_dual_fma_f32 v100, v136, v102, -v1 :: v_dual_mul_f32 v1, v137, v105
	v_dual_mul_f32 v105, v136, v105 :: v_dual_fmac_f32 v103, v137, v102
	v_dual_add_f32 v44, v44, v124 :: v_dual_add_f32 v46, v46, v153
	s_delay_alu instid0(VALU_DEP_3) | instskip(NEXT) | instid1(VALU_DEP_3)
	v_dual_fma_f32 v102, v136, v104, -v1 :: v_dual_mul_f32 v1, v139, v109
	v_dual_fmac_f32 v105, v137, v104 :: v_dual_mul_f32 v104, v138, v109
	v_dual_mul_f32 v109, v138, v113 :: v_dual_add_f32 v40, v40, v152
	v_add_f32_e32 v42, v42, v163
	s_delay_alu instid0(VALU_DEP_3) | instskip(NEXT) | instid1(VALU_DEP_3)
	v_dual_fma_f32 v8, v138, v108, -v1 :: v_dual_fmac_f32 v104, v139, v108
	v_dual_mul_f32 v1, v139, v111 :: v_dual_fmac_f32 v109, v139, v112
	v_dual_add_f32 v32, v32, v160 :: v_dual_add_f32 v34, v34, v165
	v_dual_mov_b32 v7, v5 :: v_dual_mov_b32 v15, v13
	s_delay_alu instid0(VALU_DEP_3) | instskip(SKIP_3) | instid1(VALU_DEP_3)
	v_dual_fma_f32 v106, v138, v110, -v1 :: v_dual_fmac_f32 v107, v139, v110
	v_dual_mul_f32 v1, v139, v113 :: v_dual_mov_b32 v11, v9
	v_dual_add_f32 v5, v12, v57 :: v_dual_add_f32 v9, v41, v59
	v_dual_add_f32 v12, v43, v61 :: v_dual_add_f32 v13, v45, v63
	v_dual_fma_f32 v108, v138, v112, -v1 :: v_dual_mov_b32 v1, v3
	v_dual_add_f32 v3, v38, v164 :: v_dual_add_f32 v38, v51, v69
	v_dual_add_f32 v41, v53, v71 :: v_dual_add_f32 v43, v55, v89
	v_add_f32_e32 v45, v72, v91
	s_delay_alu instid0(VALU_DEP_4)
	v_pk_add_f32 v[0:1], v[30:31], v[0:1]
	v_dual_add_f32 v30, v47, v65 :: v_dual_add_f32 v31, v49, v67
	v_dual_add_f32 v47, v68, v116 :: v_dual_add_f32 v49, v70, v141
	;; [unrolled: 1-line block ×11, first 2 shown]
	v_pk_add_f32 v[0:1], v[0:1], v[6:7]
	v_add_f32_e32 v5, v5, v127
	v_dual_add_f32 v6, v9, v150 :: v_dual_add_f32 v7, v12, v135
	v_dual_add_f32 v9, v13, v158 :: v_dual_add_f32 v13, v38, v96
	;; [unrolled: 1-line block ×6, first 2 shown]
	v_add_f32_e32 v45, v53, v170
	v_dual_add_f32 v47, v55, v174 :: v_dual_add_f32 v49, v57, v120
	v_dual_add_f32 v51, v56, v123 :: v_dual_add_f32 v53, v58, v181
	v_dual_add_f32 v52, v52, v182 :: v_dual_add_f32 v54, v54, v183
	v_dual_add_f32 v48, v48, v184 :: v_dual_add_f32 v50, v50, v185
	v_dual_add_f32 v44, v44, v186 :: v_dual_add_f32 v46, v46, v128
	v_dual_add_f32 v40, v40, v131 :: v_dual_add_f32 v42, v42, v101
	v_dual_add_f32 v36, v36, v100 :: v_dual_add_f32 v3, v3, v103
	v_dual_add_f32 v32, v32, v102 :: v_dual_add_f32 v17, v17, v105
	v_pk_add_f32 v[0:1], v[0:1], v[10:11]
	v_dual_add_f32 v88, v5, v97 :: v_dual_add_f32 v90, v6, v167
	v_dual_add_f32 v84, v7, v4 :: v_dual_add_f32 v82, v12, v169
	;; [unrolled: 1-line block ×15, first 2 shown]
	v_pk_add_f32 v[30:31], v[0:1], v[14:15]
	s_cbranch_vccnz .LBB502_5
.LBB502_6:                              ;   in Loop: Header=BB502_3 Depth=1
	s_mul_u64 s[30:31], s[22:23], s[2:3]
	s_and_not1_b32 vcc_lo, exec_lo, s1
	s_lshl_b64 s[30:31], s[30:31], 3
	s_mov_b32 s38, -1
	s_add_nc_u64 s[30:31], s[10:11], s[30:31]
                                        ; implicit-def: $vgpr2
                                        ; implicit-def: $vgpr0_vgpr1
	s_cbranch_vccz .LBB502_8
; %bb.7:                                ;   in Loop: Header=BB502_3 Depth=1
	s_and_not1_b32 vcc_lo, exec_lo, s38
	s_cbranch_vccnz .LBB502_2
	s_branch .LBB502_9
.LBB502_8:                              ;   in Loop: Header=BB502_3 Depth=1
	s_wait_xcnt 0x0
	v_mov_b64_e32 v[0:1], s[14:15]
	v_mov_b64_e32 v[6:7], s[26:27]
	v_lshlrev_b64_e32 v[2:3], 3, v[22:23]
	v_lshl_add_u64 v[4:5], v[20:21], 3, s[30:31]
	s_delay_alu instid0(VALU_DEP_4)
	v_pk_mul_f32 v[8:9], v[90:91], v[0:1] op_sel_hi:[0,1]
	v_pk_mul_f32 v[10:11], v[86:87], v[0:1] op_sel_hi:[0,1]
	v_pk_mul_f32 v[12:13], v[80:81], v[0:1] op_sel_hi:[0,1]
	v_pk_mul_f32 v[14:15], v[78:79], v[0:1] op_sel_hi:[0,1]
	v_add_nc_u64_e32 v[16:17], v[4:5], v[2:3]
	v_pk_fma_f32 v[18:19], v[88:89], v[6:7], v[8:9] neg_lo:[0,0,1] neg_hi:[0,0,1]
	v_pk_fma_f32 v[8:9], v[88:89], v[6:7], v[8:9] op_sel_hi:[0,1,1]
	v_pk_fma_f32 v[92:93], v[84:85], v[6:7], v[10:11] op_sel_hi:[0,1,1]
	;; [unrolled: 1-line block ×4, first 2 shown]
	v_pk_fma_f32 v[10:11], v[84:85], v[6:7], v[10:11] neg_lo:[0,0,1] neg_hi:[0,0,1]
	s_delay_alu instid0(VALU_DEP_4)
	v_dual_mov_b32 v19, v9 :: v_dual_mov_b32 v11, v93
	v_pk_fma_f32 v[8:9], v[82:83], v[6:7], v[12:13] neg_lo:[0,0,1] neg_hi:[0,0,1]
	v_mov_b32_e32 v9, v95
	v_pk_fma_f32 v[12:13], v[76:77], v[6:7], v[14:15] neg_lo:[0,0,1] neg_hi:[0,0,1]
	v_mov_b32_e32 v13, v97
	v_pk_mul_f32 v[14:15], v[72:73], v[0:1] op_sel_hi:[0,1]
	s_clause 0x3
	global_store_b64 v[16:17], v[18:19], off
	global_store_b64 v[16:17], v[10:11], off offset:128
	global_store_b64 v[16:17], v[8:9], off offset:256
	;; [unrolled: 1-line block ×3, first 2 shown]
	s_wait_xcnt 0x1
	v_pk_mul_f32 v[8:9], v[70:71], v[0:1] op_sel_hi:[0,1]
	s_wait_xcnt 0x0
	v_pk_mul_f32 v[16:17], v[66:67], v[0:1] op_sel_hi:[0,1]
	v_add_nc_u64_e32 v[4:5], s[18:19], v[4:5]
	v_pk_fma_f32 v[12:13], v[74:75], v[6:7], v[14:15] op_sel_hi:[0,1,1]
	v_pk_mul_f32 v[92:93], v[62:63], v[0:1] op_sel_hi:[0,1]
	v_pk_fma_f32 v[18:19], v[68:69], v[6:7], v[8:9] op_sel_hi:[0,1,1]
	v_pk_fma_f32 v[14:15], v[74:75], v[6:7], v[14:15] neg_lo:[0,0,1] neg_hi:[0,0,1]
	v_pk_fma_f32 v[8:9], v[68:69], v[6:7], v[8:9] neg_lo:[0,0,1] neg_hi:[0,0,1]
	v_mov_b32_e32 v15, v13
	v_pk_fma_f32 v[12:13], v[64:65], v[6:7], v[16:17] op_sel_hi:[0,1,1]
	v_mov_b32_e32 v9, v19
	v_pk_fma_f32 v[18:19], v[60:61], v[6:7], v[92:93] op_sel_hi:[0,1,1]
	v_add_nc_u64_e32 v[10:11], v[4:5], v[2:3]
	v_pk_fma_f32 v[16:17], v[64:65], v[6:7], v[16:17] neg_lo:[0,0,1] neg_hi:[0,0,1]
	v_mov_b32_e32 v17, v13
	v_pk_fma_f32 v[12:13], v[60:61], v[6:7], v[92:93] neg_lo:[0,0,1] neg_hi:[0,0,1]
	v_mov_b32_e32 v13, v19
	v_pk_mul_f32 v[18:19], v[58:59], v[0:1] op_sel_hi:[0,1]
	v_add_nc_u64_e32 v[4:5], s[18:19], v[4:5]
	s_clause 0x3
	global_store_b64 v[10:11], v[14:15], off
	global_store_b64 v[10:11], v[8:9], off offset:128
	global_store_b64 v[10:11], v[16:17], off offset:256
	;; [unrolled: 1-line block ×3, first 2 shown]
	s_wait_xcnt 0x0
	v_pk_mul_f32 v[10:11], v[54:55], v[0:1] op_sel_hi:[0,1]
	v_pk_mul_f32 v[14:15], v[50:51], v[0:1] op_sel_hi:[0,1]
	v_pk_fma_f32 v[12:13], v[56:57], v[6:7], v[18:19] op_sel_hi:[0,1,1]
	v_pk_fma_f32 v[16:17], v[56:57], v[6:7], v[18:19] neg_lo:[0,0,1] neg_hi:[0,0,1]
	v_pk_mul_f32 v[18:19], v[46:47], v[0:1] op_sel_hi:[0,1]
	v_pk_fma_f32 v[92:93], v[52:53], v[6:7], v[10:11] op_sel_hi:[0,1,1]
	v_add_nc_u64_e32 v[8:9], v[4:5], v[2:3]
	v_mov_b32_e32 v17, v13
	v_pk_fma_f32 v[12:13], v[48:49], v[6:7], v[14:15] op_sel_hi:[0,1,1]
	v_pk_fma_f32 v[94:95], v[44:45], v[6:7], v[18:19] op_sel_hi:[0,1,1]
	v_pk_fma_f32 v[10:11], v[52:53], v[6:7], v[10:11] neg_lo:[0,0,1] neg_hi:[0,0,1]
	v_mov_b32_e32 v11, v93
	v_pk_fma_f32 v[14:15], v[48:49], v[6:7], v[14:15] neg_lo:[0,0,1] neg_hi:[0,0,1]
	v_mov_b32_e32 v15, v13
	;; [unrolled: 2-line block ×3, first 2 shown]
	v_add_nc_u64_e32 v[4:5], s[18:19], v[4:5]
	v_pk_mul_f32 v[18:19], v[42:43], v[0:1] op_sel_hi:[0,1]
	s_clause 0x3
	global_store_b64 v[8:9], v[16:17], off
	global_store_b64 v[8:9], v[10:11], off offset:128
	global_store_b64 v[8:9], v[14:15], off offset:256
	;; [unrolled: 1-line block ×3, first 2 shown]
	s_wait_xcnt 0x0
	v_pk_mul_f32 v[8:9], v[38:39], v[0:1] op_sel_hi:[0,1]
	v_pk_fma_f32 v[10:11], v[40:41], v[6:7], v[18:19] op_sel_hi:[0,1,1]
	v_add_nc_u64_e32 v[4:5], v[4:5], v[2:3]
	v_pk_mul_f32 v[2:3], v[34:35], v[0:1] op_sel_hi:[0,1]
	s_delay_alu instid0(VALU_DEP_4)
	v_pk_fma_f32 v[14:15], v[36:37], v[6:7], v[8:9] op_sel_hi:[0,1,1]
	v_pk_fma_f32 v[12:13], v[40:41], v[6:7], v[18:19] neg_lo:[0,0,1] neg_hi:[0,0,1]
	v_pk_fma_f32 v[8:9], v[36:37], v[6:7], v[8:9] neg_lo:[0,0,1] neg_hi:[0,0,1]
	v_mov_b32_e32 v13, v11
	v_pk_fma_f32 v[10:11], v[32:33], v[6:7], v[2:3] op_sel_hi:[0,1,1]
	v_mov_b32_e32 v9, v15
	v_pk_mul_f32 v[14:15], v[30:31], v[0:1]
	v_mul_f32_e32 v10, s26, v30
	v_add_nc_u64_e32 v[0:1], 0x180, v[4:5]
	v_pk_fma_f32 v[6:7], v[32:33], v[6:7], v[2:3] neg_lo:[0,0,1] neg_hi:[0,0,1]
	s_delay_alu instid0(VALU_DEP_4) | instskip(NEXT) | instid1(VALU_DEP_4)
	v_dual_mov_b32 v7, v11 :: v_dual_add_f32 v2, v14, v15
	v_fma_f32 v3, -v31, s14, v10
	s_clause 0x3
	global_store_b64 v[4:5], v[12:13], off
	global_store_b64 v[4:5], v[8:9], off offset:128
	global_store_b64 v[4:5], v[6:7], off offset:256
	global_store_b32 v[4:5], v3, off offset:384
	s_cbranch_execnz .LBB502_2
.LBB502_9:                              ;   in Loop: Header=BB502_3 Depth=1
	s_mul_u64 s[38:39], s[8:9], s[2:3]
	s_wait_xcnt 0x0
	v_lshlrev_b64_e32 v[0:1], 3, v[22:23]
	s_wait_xcnt 0x0
	v_lshl_add_u64 v[2:3], s[38:39], 3, v[24:25]
	v_mov_b64_e32 v[8:9], s[14:15]
	v_mov_b64_e32 v[10:11], s[36:37]
	v_mov_b64_e32 v[12:13], s[26:27]
	v_mov_b64_e32 v[16:17], s[28:29]
	v_lshl_add_u64 v[94:95], v[20:21], 3, s[30:31]
	v_add_nc_u64_e32 v[4:5], v[2:3], v[0:1]
	v_add_nc_u64_e32 v[2:3], s[16:17], v[2:3]
	v_pk_mul_f32 v[14:15], v[90:91], v[8:9] op_sel_hi:[0,1]
	s_delay_alu instid0(VALU_DEP_1) | instskip(SKIP_4) | instid1(VALU_DEP_1)
	v_pk_fma_f32 v[90:91], v[88:89], v[12:13], v[14:15] op_sel_hi:[0,1,1]
	global_load_b64 v[6:7], v[4:5], off
	v_pk_fma_f32 v[14:15], v[88:89], v[12:13], v[14:15] neg_lo:[0,0,1] neg_hi:[0,0,1]
	s_wait_loadcnt 0x0
	v_pk_mul_f32 v[18:19], v[6:7], v[10:11]
	v_pk_fma_f32 v[92:93], v[6:7], v[16:17], v[18:19] op_sel:[0,0,1] op_sel_hi:[1,1,0]
	v_pk_fma_f32 v[6:7], v[6:7], v[16:17], v[18:19] op_sel:[0,0,1] op_sel_hi:[1,1,0] neg_lo:[0,0,1] neg_hi:[0,0,1]
	v_mov_b32_e32 v15, v91
	v_add_nc_u64_e32 v[18:19], v[94:95], v[0:1]
	s_delay_alu instid0(VALU_DEP_4) | instskip(NEXT) | instid1(VALU_DEP_1)
	v_mov_b32_e32 v7, v93
	v_pk_add_f32 v[6:7], v[14:15], v[6:7]
	v_pk_mul_f32 v[14:15], v[86:87], v[8:9] op_sel_hi:[0,1]
	global_store_b64 v[18:19], v[6:7], off
	global_load_b64 v[6:7], v[4:5], off offset:128
	v_pk_fma_f32 v[88:89], v[84:85], v[12:13], v[14:15] op_sel_hi:[0,1,1]
	v_pk_fma_f32 v[14:15], v[84:85], v[12:13], v[14:15] neg_lo:[0,0,1] neg_hi:[0,0,1]
	s_wait_loadcnt 0x0
	v_pk_mul_f32 v[86:87], v[6:7], v[10:11]
	s_delay_alu instid0(VALU_DEP_1) | instskip(SKIP_1) | instid1(VALU_DEP_2)
	v_pk_fma_f32 v[90:91], v[6:7], v[16:17], v[86:87] op_sel:[0,0,1] op_sel_hi:[1,1,0]
	v_pk_fma_f32 v[6:7], v[6:7], v[16:17], v[86:87] op_sel:[0,0,1] op_sel_hi:[1,1,0] neg_lo:[0,0,1] neg_hi:[0,0,1]
	v_dual_mov_b32 v15, v89 :: v_dual_mov_b32 v7, v91
	s_delay_alu instid0(VALU_DEP_1)
	v_pk_add_f32 v[6:7], v[14:15], v[6:7]
	v_pk_mul_f32 v[14:15], v[80:81], v[8:9] op_sel_hi:[0,1]
	global_store_b64 v[18:19], v[6:7], off offset:128
	global_load_b64 v[6:7], v[4:5], off offset:256
	v_pk_fma_f32 v[84:85], v[82:83], v[12:13], v[14:15] op_sel_hi:[0,1,1]
	v_pk_fma_f32 v[14:15], v[82:83], v[12:13], v[14:15] neg_lo:[0,0,1] neg_hi:[0,0,1]
	s_wait_loadcnt 0x0
	v_pk_mul_f32 v[80:81], v[6:7], v[10:11]
	s_delay_alu instid0(VALU_DEP_1) | instskip(SKIP_1) | instid1(VALU_DEP_2)
	v_pk_fma_f32 v[86:87], v[6:7], v[16:17], v[80:81] op_sel:[0,0,1] op_sel_hi:[1,1,0]
	v_pk_fma_f32 v[6:7], v[6:7], v[16:17], v[80:81] op_sel:[0,0,1] op_sel_hi:[1,1,0] neg_lo:[0,0,1] neg_hi:[0,0,1]
	v_dual_mov_b32 v15, v85 :: v_dual_mov_b32 v7, v87
	s_delay_alu instid0(VALU_DEP_1) | instskip(SKIP_4) | instid1(VALU_DEP_1)
	v_pk_add_f32 v[6:7], v[14:15], v[6:7]
	global_store_b64 v[18:19], v[6:7], off offset:256
	global_load_b64 v[4:5], v[4:5], off offset:384
	s_wait_xcnt 0x1
	v_pk_mul_f32 v[6:7], v[78:79], v[8:9] op_sel_hi:[0,1]
	v_pk_fma_f32 v[78:79], v[76:77], v[12:13], v[6:7] op_sel_hi:[0,1,1]
	v_pk_fma_f32 v[6:7], v[76:77], v[12:13], v[6:7] neg_lo:[0,0,1] neg_hi:[0,0,1]
	s_wait_loadcnt 0x0
	v_pk_mul_f32 v[14:15], v[4:5], v[10:11]
	s_delay_alu instid0(VALU_DEP_1)
	v_pk_fma_f32 v[80:81], v[4:5], v[16:17], v[14:15] op_sel:[0,0,1] op_sel_hi:[1,1,0]
	s_wait_xcnt 0x0
	v_pk_fma_f32 v[4:5], v[4:5], v[16:17], v[14:15] op_sel:[0,0,1] op_sel_hi:[1,1,0] neg_lo:[0,0,1] neg_hi:[0,0,1]
	v_mov_b32_e32 v7, v79
	v_add_nc_u64_e32 v[14:15], v[2:3], v[0:1]
	v_add_nc_u64_e32 v[78:79], s[18:19], v[94:95]
	v_mov_b32_e32 v5, v81
	v_add_nc_u64_e32 v[2:3], s[16:17], v[2:3]
	s_delay_alu instid0(VALU_DEP_2)
	v_pk_add_f32 v[4:5], v[6:7], v[4:5]
	v_pk_mul_f32 v[6:7], v[72:73], v[8:9] op_sel_hi:[0,1]
	global_store_b64 v[18:19], v[4:5], off offset:384
	global_load_b64 v[4:5], v[14:15], off
	v_pk_fma_f32 v[72:73], v[74:75], v[12:13], v[6:7] op_sel_hi:[0,1,1]
	v_pk_fma_f32 v[6:7], v[74:75], v[12:13], v[6:7] neg_lo:[0,0,1] neg_hi:[0,0,1]
	s_wait_loadcnt 0x0
	v_pk_mul_f32 v[18:19], v[4:5], v[10:11]
	s_delay_alu instid0(VALU_DEP_1) | instskip(SKIP_3) | instid1(VALU_DEP_4)
	v_pk_fma_f32 v[76:77], v[4:5], v[16:17], v[18:19] op_sel:[0,0,1] op_sel_hi:[1,1,0]
	v_pk_fma_f32 v[4:5], v[4:5], v[16:17], v[18:19] op_sel:[0,0,1] op_sel_hi:[1,1,0] neg_lo:[0,0,1] neg_hi:[0,0,1]
	v_mov_b32_e32 v7, v73
	v_add_nc_u64_e32 v[18:19], v[78:79], v[0:1]
	v_mov_b32_e32 v5, v77
	s_delay_alu instid0(VALU_DEP_1)
	v_pk_add_f32 v[4:5], v[6:7], v[4:5]
	v_pk_mul_f32 v[6:7], v[70:71], v[8:9] op_sel_hi:[0,1]
	global_store_b64 v[18:19], v[4:5], off
	global_load_b64 v[4:5], v[14:15], off offset:128
	v_pk_fma_f32 v[72:73], v[68:69], v[12:13], v[6:7] op_sel_hi:[0,1,1]
	v_pk_fma_f32 v[6:7], v[68:69], v[12:13], v[6:7] neg_lo:[0,0,1] neg_hi:[0,0,1]
	s_wait_loadcnt 0x0
	v_pk_mul_f32 v[70:71], v[4:5], v[10:11]
	s_delay_alu instid0(VALU_DEP_1) | instskip(SKIP_1) | instid1(VALU_DEP_2)
	v_pk_fma_f32 v[74:75], v[4:5], v[16:17], v[70:71] op_sel:[0,0,1] op_sel_hi:[1,1,0]
	v_pk_fma_f32 v[4:5], v[4:5], v[16:17], v[70:71] op_sel:[0,0,1] op_sel_hi:[1,1,0] neg_lo:[0,0,1] neg_hi:[0,0,1]
	v_dual_mov_b32 v7, v73 :: v_dual_mov_b32 v5, v75
	s_delay_alu instid0(VALU_DEP_1)
	v_pk_add_f32 v[4:5], v[6:7], v[4:5]
	v_pk_mul_f32 v[6:7], v[66:67], v[8:9] op_sel_hi:[0,1]
	global_store_b64 v[18:19], v[4:5], off offset:128
	global_load_b64 v[4:5], v[14:15], off offset:256
	v_pk_fma_f32 v[68:69], v[64:65], v[12:13], v[6:7] op_sel_hi:[0,1,1]
	v_pk_fma_f32 v[6:7], v[64:65], v[12:13], v[6:7] neg_lo:[0,0,1] neg_hi:[0,0,1]
	s_wait_loadcnt 0x0
	v_pk_mul_f32 v[66:67], v[4:5], v[10:11]
	s_delay_alu instid0(VALU_DEP_1) | instskip(SKIP_1) | instid1(VALU_DEP_2)
	v_pk_fma_f32 v[70:71], v[4:5], v[16:17], v[66:67] op_sel:[0,0,1] op_sel_hi:[1,1,0]
	v_pk_fma_f32 v[4:5], v[4:5], v[16:17], v[66:67] op_sel:[0,0,1] op_sel_hi:[1,1,0] neg_lo:[0,0,1] neg_hi:[0,0,1]
	v_dual_mov_b32 v7, v69 :: v_dual_mov_b32 v5, v71
	s_delay_alu instid0(VALU_DEP_1)
	v_pk_add_f32 v[4:5], v[6:7], v[4:5]
	v_pk_mul_f32 v[6:7], v[62:63], v[8:9] op_sel_hi:[0,1]
	global_store_b64 v[18:19], v[4:5], off offset:256
	global_load_b64 v[4:5], v[14:15], off offset:384
	v_pk_fma_f32 v[62:63], v[60:61], v[12:13], v[6:7] op_sel_hi:[0,1,1]
	v_pk_fma_f32 v[6:7], v[60:61], v[12:13], v[6:7] neg_lo:[0,0,1] neg_hi:[0,0,1]
	s_wait_loadcnt 0x0
	s_wait_xcnt 0x0
	v_pk_mul_f32 v[14:15], v[4:5], v[10:11]
	s_delay_alu instid0(VALU_DEP_1)
	v_pk_fma_f32 v[64:65], v[4:5], v[16:17], v[14:15] op_sel:[0,0,1] op_sel_hi:[1,1,0]
	v_pk_fma_f32 v[4:5], v[4:5], v[16:17], v[14:15] op_sel:[0,0,1] op_sel_hi:[1,1,0] neg_lo:[0,0,1] neg_hi:[0,0,1]
	v_mov_b32_e32 v7, v63
	v_add_nc_u64_e32 v[14:15], v[2:3], v[0:1]
	v_add_nc_u64_e32 v[62:63], s[18:19], v[78:79]
	v_mov_b32_e32 v5, v65
	v_add_nc_u64_e32 v[2:3], s[16:17], v[2:3]
	s_delay_alu instid0(VALU_DEP_2) | instskip(SKIP_1) | instid1(VALU_DEP_3)
	v_pk_add_f32 v[4:5], v[6:7], v[4:5]
	v_pk_mul_f32 v[6:7], v[58:59], v[8:9] op_sel_hi:[0,1]
	v_add_nc_u64_e32 v[2:3], v[2:3], v[0:1]
	global_store_b64 v[18:19], v[4:5], off offset:384
	global_load_b64 v[4:5], v[14:15], off
	v_pk_fma_f32 v[58:59], v[56:57], v[12:13], v[6:7] op_sel_hi:[0,1,1]
	v_pk_fma_f32 v[6:7], v[56:57], v[12:13], v[6:7] neg_lo:[0,0,1] neg_hi:[0,0,1]
	s_wait_loadcnt 0x0
	v_pk_mul_f32 v[18:19], v[4:5], v[10:11]
	s_delay_alu instid0(VALU_DEP_1) | instskip(SKIP_3) | instid1(VALU_DEP_4)
	v_pk_fma_f32 v[60:61], v[4:5], v[16:17], v[18:19] op_sel:[0,0,1] op_sel_hi:[1,1,0]
	v_pk_fma_f32 v[4:5], v[4:5], v[16:17], v[18:19] op_sel:[0,0,1] op_sel_hi:[1,1,0] neg_lo:[0,0,1] neg_hi:[0,0,1]
	v_mov_b32_e32 v7, v59
	v_add_nc_u64_e32 v[18:19], v[62:63], v[0:1]
	v_mov_b32_e32 v5, v61
	s_delay_alu instid0(VALU_DEP_1)
	v_pk_add_f32 v[4:5], v[6:7], v[4:5]
	v_pk_mul_f32 v[6:7], v[54:55], v[8:9] op_sel_hi:[0,1]
	global_store_b64 v[18:19], v[4:5], off
	global_load_b64 v[4:5], v[14:15], off offset:128
	v_pk_fma_f32 v[56:57], v[52:53], v[12:13], v[6:7] op_sel_hi:[0,1,1]
	v_pk_fma_f32 v[6:7], v[52:53], v[12:13], v[6:7] neg_lo:[0,0,1] neg_hi:[0,0,1]
	s_wait_loadcnt 0x0
	v_pk_mul_f32 v[54:55], v[4:5], v[10:11]
	s_delay_alu instid0(VALU_DEP_1) | instskip(SKIP_1) | instid1(VALU_DEP_2)
	v_pk_fma_f32 v[58:59], v[4:5], v[16:17], v[54:55] op_sel:[0,0,1] op_sel_hi:[1,1,0]
	v_pk_fma_f32 v[4:5], v[4:5], v[16:17], v[54:55] op_sel:[0,0,1] op_sel_hi:[1,1,0] neg_lo:[0,0,1] neg_hi:[0,0,1]
	v_dual_mov_b32 v7, v57 :: v_dual_mov_b32 v5, v59
	s_delay_alu instid0(VALU_DEP_1)
	v_pk_add_f32 v[4:5], v[6:7], v[4:5]
	v_pk_mul_f32 v[6:7], v[50:51], v[8:9] op_sel_hi:[0,1]
	global_store_b64 v[18:19], v[4:5], off offset:128
	global_load_b64 v[4:5], v[14:15], off offset:256
	v_pk_fma_f32 v[52:53], v[48:49], v[12:13], v[6:7] op_sel_hi:[0,1,1]
	v_pk_fma_f32 v[6:7], v[48:49], v[12:13], v[6:7] neg_lo:[0,0,1] neg_hi:[0,0,1]
	s_wait_loadcnt 0x0
	v_pk_mul_f32 v[50:51], v[4:5], v[10:11]
	s_delay_alu instid0(VALU_DEP_1) | instskip(SKIP_1) | instid1(VALU_DEP_2)
	v_pk_fma_f32 v[54:55], v[4:5], v[16:17], v[50:51] op_sel:[0,0,1] op_sel_hi:[1,1,0]
	v_pk_fma_f32 v[4:5], v[4:5], v[16:17], v[50:51] op_sel:[0,0,1] op_sel_hi:[1,1,0] neg_lo:[0,0,1] neg_hi:[0,0,1]
	v_dual_mov_b32 v7, v53 :: v_dual_mov_b32 v5, v55
	s_delay_alu instid0(VALU_DEP_1)
	v_pk_add_f32 v[4:5], v[6:7], v[4:5]
	v_pk_mul_f32 v[6:7], v[46:47], v[8:9] op_sel_hi:[0,1]
	global_store_b64 v[18:19], v[4:5], off offset:256
	global_load_b64 v[4:5], v[14:15], off offset:384
	v_pk_fma_f32 v[46:47], v[44:45], v[12:13], v[6:7] op_sel_hi:[0,1,1]
	v_pk_fma_f32 v[6:7], v[44:45], v[12:13], v[6:7] neg_lo:[0,0,1] neg_hi:[0,0,1]
	v_add_nc_u64_e32 v[44:45], s[18:19], v[62:63]
	s_wait_loadcnt 0x0
	s_wait_xcnt 0x0
	v_pk_mul_f32 v[14:15], v[4:5], v[10:11]
	s_delay_alu instid0(VALU_DEP_1) | instskip(SKIP_1) | instid1(VALU_DEP_2)
	v_pk_fma_f32 v[48:49], v[4:5], v[16:17], v[14:15] op_sel:[0,0,1] op_sel_hi:[1,1,0]
	v_pk_fma_f32 v[4:5], v[4:5], v[16:17], v[14:15] op_sel:[0,0,1] op_sel_hi:[1,1,0] neg_lo:[0,0,1] neg_hi:[0,0,1]
	v_dual_mov_b32 v7, v47 :: v_dual_mov_b32 v5, v49
	s_delay_alu instid0(VALU_DEP_1)
	v_pk_add_f32 v[4:5], v[6:7], v[4:5]
	v_pk_mul_f32 v[6:7], v[42:43], v[8:9] op_sel_hi:[0,1]
	global_store_b64 v[18:19], v[4:5], off offset:384
	global_load_b64 v[4:5], v[2:3], off
	v_pk_fma_f32 v[18:19], v[40:41], v[12:13], v[6:7] op_sel_hi:[0,1,1]
	v_pk_fma_f32 v[6:7], v[40:41], v[12:13], v[6:7] neg_lo:[0,0,1] neg_hi:[0,0,1]
	s_wait_loadcnt 0x0
	v_pk_mul_f32 v[14:15], v[4:5], v[10:11]
	s_delay_alu instid0(VALU_DEP_1) | instskip(SKIP_3) | instid1(VALU_DEP_4)
	v_pk_fma_f32 v[42:43], v[4:5], v[16:17], v[14:15] op_sel:[0,0,1] op_sel_hi:[1,1,0]
	v_pk_fma_f32 v[4:5], v[4:5], v[16:17], v[14:15] op_sel:[0,0,1] op_sel_hi:[1,1,0] neg_lo:[0,0,1] neg_hi:[0,0,1]
	v_mov_b32_e32 v7, v19
	v_add_nc_u64_e32 v[14:15], v[44:45], v[0:1]
	v_mov_b32_e32 v5, v43
	s_delay_alu instid0(VALU_DEP_1)
	v_pk_add_f32 v[0:1], v[6:7], v[4:5]
	v_pk_mul_f32 v[4:5], v[38:39], v[8:9] op_sel_hi:[0,1]
	global_store_b64 v[14:15], v[0:1], off
	global_load_b64 v[0:1], v[2:3], off offset:128
	v_pk_fma_f32 v[18:19], v[36:37], v[12:13], v[4:5] op_sel_hi:[0,1,1]
	v_pk_fma_f32 v[4:5], v[36:37], v[12:13], v[4:5] neg_lo:[0,0,1] neg_hi:[0,0,1]
	s_wait_loadcnt 0x0
	v_pk_mul_f32 v[6:7], v[0:1], v[10:11]
	s_delay_alu instid0(VALU_DEP_1) | instskip(SKIP_1) | instid1(VALU_DEP_2)
	v_pk_fma_f32 v[40:41], v[0:1], v[16:17], v[6:7] op_sel:[0,0,1] op_sel_hi:[1,1,0]
	v_pk_fma_f32 v[0:1], v[0:1], v[16:17], v[6:7] op_sel:[0,0,1] op_sel_hi:[1,1,0] neg_lo:[0,0,1] neg_hi:[0,0,1]
	v_dual_mov_b32 v5, v19 :: v_dual_mov_b32 v1, v41
	s_delay_alu instid0(VALU_DEP_1)
	v_pk_add_f32 v[0:1], v[4:5], v[0:1]
	v_pk_mul_f32 v[4:5], v[34:35], v[8:9] op_sel_hi:[0,1]
	global_store_b64 v[14:15], v[0:1], off offset:128
	global_load_b64 v[0:1], v[2:3], off offset:256
	v_pk_fma_f32 v[8:9], v[32:33], v[12:13], v[4:5] op_sel_hi:[0,1,1]
	v_pk_fma_f32 v[4:5], v[32:33], v[12:13], v[4:5] neg_lo:[0,0,1] neg_hi:[0,0,1]
	s_wait_loadcnt 0x0
	v_pk_mul_f32 v[6:7], v[0:1], v[10:11]
	s_delay_alu instid0(VALU_DEP_1) | instskip(SKIP_2) | instid1(VALU_DEP_3)
	v_pk_fma_f32 v[10:11], v[0:1], v[16:17], v[6:7] op_sel:[0,0,1] op_sel_hi:[1,1,0]
	v_pk_fma_f32 v[0:1], v[0:1], v[16:17], v[6:7] op_sel:[0,0,1] op_sel_hi:[1,1,0] neg_lo:[0,0,1] neg_hi:[0,0,1]
	v_dual_mov_b32 v5, v9 :: v_dual_mul_f32 v7, s26, v30
	v_mov_b32_e32 v1, v11
	s_delay_alu instid0(VALU_DEP_2) | instskip(NEXT) | instid1(VALU_DEP_2)
	v_fma_f32 v7, -v31, s14, v7
	v_pk_add_f32 v[0:1], v[4:5], v[0:1]
	global_store_b64 v[14:15], v[0:1], off offset:256
	global_load_b64 v[0:1], v[2:3], off offset:384
	s_wait_xcnt 0x0
	v_mov_b64_e32 v[2:3], s[20:21]
	s_wait_loadcnt 0x0
	v_dual_mul_f32 v4, s35, v1 :: v_dual_mov_b32 v5, v0
	s_delay_alu instid0(VALU_DEP_1) | instskip(SKIP_1) | instid1(VALU_DEP_1)
	v_fma_f32 v6, v0, s34, -v4
	v_dual_mov_b32 v0, v31 :: v_dual_mov_b32 v4, v30
	v_pk_mul_f32 v[0:1], v[0:1], v[2:3]
	v_mov_b64_e32 v[2:3], s[6:7]
	s_delay_alu instid0(VALU_DEP_1) | instskip(SKIP_1) | instid1(VALU_DEP_2)
	v_pk_fma_f32 v[2:3], v[4:5], v[2:3], v[0:1]
	v_add_nc_u64_e32 v[0:1], 0x180, v[14:15]
	v_dual_add_f32 v4, v7, v6 :: v_dual_add_f32 v2, v2, v3
	global_store_b32 v[14:15], v4, off offset:384
	s_branch .LBB502_2
.LBB502_10:
	s_sendmsg sendmsg(MSG_DEALLOC_VGPRS)
	s_endpgm
	.section	.rodata,"a",@progbits
	.p2align	6, 0x0
	.amdhsa_kernel _ZN12_GLOBAL__N_127rocblas_gemm_batched_kernelI19rocblas_complex_numIfELi16ELi16ELi64ELi64ELi4ELi64ELi4ELi4ELi64ELc84ELc78EKS2_S3_S2_EEvlllT_PT11_llS6_llS4_PT12_llPT13_lli
		.amdhsa_group_segment_fixed_size 4096
		.amdhsa_private_segment_fixed_size 0
		.amdhsa_kernarg_size 140
		.amdhsa_user_sgpr_count 2
		.amdhsa_user_sgpr_dispatch_ptr 0
		.amdhsa_user_sgpr_queue_ptr 0
		.amdhsa_user_sgpr_kernarg_segment_ptr 1
		.amdhsa_user_sgpr_dispatch_id 0
		.amdhsa_user_sgpr_kernarg_preload_length 0
		.amdhsa_user_sgpr_kernarg_preload_offset 0
		.amdhsa_user_sgpr_private_segment_size 0
		.amdhsa_wavefront_size32 1
		.amdhsa_uses_dynamic_stack 0
		.amdhsa_enable_private_segment 0
		.amdhsa_system_sgpr_workgroup_id_x 1
		.amdhsa_system_sgpr_workgroup_id_y 1
		.amdhsa_system_sgpr_workgroup_id_z 1
		.amdhsa_system_sgpr_workgroup_info 0
		.amdhsa_system_vgpr_workitem_id 1
		.amdhsa_next_free_vgpr 193
		.amdhsa_next_free_sgpr 42
		.amdhsa_named_barrier_count 0
		.amdhsa_reserve_vcc 1
		.amdhsa_float_round_mode_32 0
		.amdhsa_float_round_mode_16_64 0
		.amdhsa_float_denorm_mode_32 3
		.amdhsa_float_denorm_mode_16_64 3
		.amdhsa_fp16_overflow 0
		.amdhsa_memory_ordered 1
		.amdhsa_forward_progress 1
		.amdhsa_inst_pref_size 48
		.amdhsa_round_robin_scheduling 0
		.amdhsa_exception_fp_ieee_invalid_op 0
		.amdhsa_exception_fp_denorm_src 0
		.amdhsa_exception_fp_ieee_div_zero 0
		.amdhsa_exception_fp_ieee_overflow 0
		.amdhsa_exception_fp_ieee_underflow 0
		.amdhsa_exception_fp_ieee_inexact 0
		.amdhsa_exception_int_div_zero 0
	.end_amdhsa_kernel
	.section	.text._ZN12_GLOBAL__N_127rocblas_gemm_batched_kernelI19rocblas_complex_numIfELi16ELi16ELi64ELi64ELi4ELi64ELi4ELi4ELi64ELc84ELc78EKS2_S3_S2_EEvlllT_PT11_llS6_llS4_PT12_llPT13_lli,"axG",@progbits,_ZN12_GLOBAL__N_127rocblas_gemm_batched_kernelI19rocblas_complex_numIfELi16ELi16ELi64ELi64ELi4ELi64ELi4ELi4ELi64ELc84ELc78EKS2_S3_S2_EEvlllT_PT11_llS6_llS4_PT12_llPT13_lli,comdat
.Lfunc_end502:
	.size	_ZN12_GLOBAL__N_127rocblas_gemm_batched_kernelI19rocblas_complex_numIfELi16ELi16ELi64ELi64ELi4ELi64ELi4ELi4ELi64ELc84ELc78EKS2_S3_S2_EEvlllT_PT11_llS6_llS4_PT12_llPT13_lli, .Lfunc_end502-_ZN12_GLOBAL__N_127rocblas_gemm_batched_kernelI19rocblas_complex_numIfELi16ELi16ELi64ELi64ELi4ELi64ELi4ELi4ELi64ELc84ELc78EKS2_S3_S2_EEvlllT_PT11_llS6_llS4_PT12_llPT13_lli
                                        ; -- End function
	.set _ZN12_GLOBAL__N_127rocblas_gemm_batched_kernelI19rocblas_complex_numIfELi16ELi16ELi64ELi64ELi4ELi64ELi4ELi4ELi64ELc84ELc78EKS2_S3_S2_EEvlllT_PT11_llS6_llS4_PT12_llPT13_lli.num_vgpr, 193
	.set _ZN12_GLOBAL__N_127rocblas_gemm_batched_kernelI19rocblas_complex_numIfELi16ELi16ELi64ELi64ELi4ELi64ELi4ELi4ELi64ELc84ELc78EKS2_S3_S2_EEvlllT_PT11_llS6_llS4_PT12_llPT13_lli.num_agpr, 0
	.set _ZN12_GLOBAL__N_127rocblas_gemm_batched_kernelI19rocblas_complex_numIfELi16ELi16ELi64ELi64ELi4ELi64ELi4ELi4ELi64ELc84ELc78EKS2_S3_S2_EEvlllT_PT11_llS6_llS4_PT12_llPT13_lli.numbered_sgpr, 42
	.set _ZN12_GLOBAL__N_127rocblas_gemm_batched_kernelI19rocblas_complex_numIfELi16ELi16ELi64ELi64ELi4ELi64ELi4ELi4ELi64ELc84ELc78EKS2_S3_S2_EEvlllT_PT11_llS6_llS4_PT12_llPT13_lli.num_named_barrier, 0
	.set _ZN12_GLOBAL__N_127rocblas_gemm_batched_kernelI19rocblas_complex_numIfELi16ELi16ELi64ELi64ELi4ELi64ELi4ELi4ELi64ELc84ELc78EKS2_S3_S2_EEvlllT_PT11_llS6_llS4_PT12_llPT13_lli.private_seg_size, 0
	.set _ZN12_GLOBAL__N_127rocblas_gemm_batched_kernelI19rocblas_complex_numIfELi16ELi16ELi64ELi64ELi4ELi64ELi4ELi4ELi64ELc84ELc78EKS2_S3_S2_EEvlllT_PT11_llS6_llS4_PT12_llPT13_lli.uses_vcc, 1
	.set _ZN12_GLOBAL__N_127rocblas_gemm_batched_kernelI19rocblas_complex_numIfELi16ELi16ELi64ELi64ELi4ELi64ELi4ELi4ELi64ELc84ELc78EKS2_S3_S2_EEvlllT_PT11_llS6_llS4_PT12_llPT13_lli.uses_flat_scratch, 0
	.set _ZN12_GLOBAL__N_127rocblas_gemm_batched_kernelI19rocblas_complex_numIfELi16ELi16ELi64ELi64ELi4ELi64ELi4ELi4ELi64ELc84ELc78EKS2_S3_S2_EEvlllT_PT11_llS6_llS4_PT12_llPT13_lli.has_dyn_sized_stack, 0
	.set _ZN12_GLOBAL__N_127rocblas_gemm_batched_kernelI19rocblas_complex_numIfELi16ELi16ELi64ELi64ELi4ELi64ELi4ELi4ELi64ELc84ELc78EKS2_S3_S2_EEvlllT_PT11_llS6_llS4_PT12_llPT13_lli.has_recursion, 0
	.set _ZN12_GLOBAL__N_127rocblas_gemm_batched_kernelI19rocblas_complex_numIfELi16ELi16ELi64ELi64ELi4ELi64ELi4ELi4ELi64ELc84ELc78EKS2_S3_S2_EEvlllT_PT11_llS6_llS4_PT12_llPT13_lli.has_indirect_call, 0
	.section	.AMDGPU.csdata,"",@progbits
; Kernel info:
; codeLenInByte = 6024
; TotalNumSgprs: 44
; NumVgprs: 193
; ScratchSize: 0
; MemoryBound: 0
; FloatMode: 240
; IeeeMode: 1
; LDSByteSize: 4096 bytes/workgroup (compile time only)
; SGPRBlocks: 0
; VGPRBlocks: 12
; NumSGPRsForWavesPerEU: 44
; NumVGPRsForWavesPerEU: 193
; NamedBarCnt: 0
; Occupancy: 4
; WaveLimiterHint : 1
; COMPUTE_PGM_RSRC2:SCRATCH_EN: 0
; COMPUTE_PGM_RSRC2:USER_SGPR: 2
; COMPUTE_PGM_RSRC2:TRAP_HANDLER: 0
; COMPUTE_PGM_RSRC2:TGID_X_EN: 1
; COMPUTE_PGM_RSRC2:TGID_Y_EN: 1
; COMPUTE_PGM_RSRC2:TGID_Z_EN: 1
; COMPUTE_PGM_RSRC2:TIDIG_COMP_CNT: 1
	.section	.text._ZN12_GLOBAL__N_127rocblas_gemm_batched_kernelI19rocblas_complex_numIfELi16ELi16ELi64ELi64ELi4ELi64ELi4ELi4ELi64ELc78ELc84EKS2_S3_S2_EEvlllT_PT11_llS6_llS4_PT12_llPT13_lli,"axG",@progbits,_ZN12_GLOBAL__N_127rocblas_gemm_batched_kernelI19rocblas_complex_numIfELi16ELi16ELi64ELi64ELi4ELi64ELi4ELi4ELi64ELc78ELc84EKS2_S3_S2_EEvlllT_PT11_llS6_llS4_PT12_llPT13_lli,comdat
	.globl	_ZN12_GLOBAL__N_127rocblas_gemm_batched_kernelI19rocblas_complex_numIfELi16ELi16ELi64ELi64ELi4ELi64ELi4ELi4ELi64ELc78ELc84EKS2_S3_S2_EEvlllT_PT11_llS6_llS4_PT12_llPT13_lli ; -- Begin function _ZN12_GLOBAL__N_127rocblas_gemm_batched_kernelI19rocblas_complex_numIfELi16ELi16ELi64ELi64ELi4ELi64ELi4ELi4ELi64ELc78ELc84EKS2_S3_S2_EEvlllT_PT11_llS6_llS4_PT12_llPT13_lli
	.p2align	8
	.type	_ZN12_GLOBAL__N_127rocblas_gemm_batched_kernelI19rocblas_complex_numIfELi16ELi16ELi64ELi64ELi4ELi64ELi4ELi4ELi64ELc78ELc84EKS2_S3_S2_EEvlllT_PT11_llS6_llS4_PT12_llPT13_lli,@function
_ZN12_GLOBAL__N_127rocblas_gemm_batched_kernelI19rocblas_complex_numIfELi16ELi16ELi64ELi64ELi4ELi64ELi4ELi4ELi64ELc78ELc84EKS2_S3_S2_EEvlllT_PT11_llS6_llS4_PT12_llPT13_lli: ; @_ZN12_GLOBAL__N_127rocblas_gemm_batched_kernelI19rocblas_complex_numIfELi16ELi16ELi64ELi64ELi4ELi64ELi4ELi4ELi64ELc78ELc84EKS2_S3_S2_EEvlllT_PT11_llS6_llS4_PT12_llPT13_lli
; %bb.0:
	s_load_b32 s33, s[0:1], 0x88
	s_bfe_u32 s2, ttmp6, 0x40014
	s_lshr_b32 s3, ttmp7, 16
	s_add_co_i32 s2, s2, 1
	s_bfe_u32 s4, ttmp6, 0x40008
	s_mul_i32 s2, s3, s2
	s_getreg_b32 s20, hwreg(HW_REG_IB_STS2, 6, 4)
	s_add_co_i32 s4, s4, s2
	s_cmp_eq_u32 s20, 0
	s_cselect_b32 s2, s3, s4
	s_mov_b32 s3, 0
	s_wait_kmcnt 0x0
	s_cmp_ge_i32 s2, s33
	s_cbranch_scc1 .LBB503_10
; %bb.1:
	s_bfe_u32 s21, ttmp6, 0x4000c
	s_bfe_u32 s23, ttmp6, 0x40010
	s_add_co_i32 s21, s21, 1
	s_and_b32 s24, ttmp7, 0xffff
	s_add_co_i32 s23, s23, 1
	v_bfe_u32 v2, v0, 10, 10
	v_and_b32_e32 v4, 0x3ff, v0
	s_and_b32 s22, ttmp6, 15
	s_mul_i32 s21, ttmp9, s21
	s_mul_i32 s23, s24, s23
	s_bfe_u32 s25, ttmp6, 0x40004
	s_clause 0x2
	s_load_b256 s[12:19], s[0:1], 0x20
	s_load_b128 s[28:31], s[0:1], 0x40
	s_load_b256 s[4:11], s[0:1], 0x58
	s_add_co_i32 s22, s22, s21
	s_add_co_i32 s25, s25, s23
	s_cmp_eq_u32 s20, 0
	v_lshl_add_u32 v5, v2, 4, v4
	v_mov_b32_e32 v3, 0
	s_cselect_b32 s20, s24, s25
	s_cselect_b32 s36, ttmp9, s22
	s_lshl_b32 s24, s20, 6
	s_load_b128 s[20:23], s[0:1], 0x78
	v_dual_mov_b32 v7, v3 :: v_dual_lshrrev_b32 v6, 2, v5
	v_and_b32_e32 v14, 3, v0
	s_mov_b32 s25, s3
	v_dual_lshrrev_b32 v15, 6, v5 :: v_dual_bitop2_b32 v10, 63, v5 bitop3:0x40
	v_add_nc_u64_e32 v[0:1], s[24:25], v[2:3]
	s_delay_alu instid0(VALU_DEP_3)
	v_dual_lshlrev_b32 v5, 3, v14 :: v_dual_mov_b32 v11, v3
	s_ashr_i32 s37, s36, 31
	s_load_b64 s[34:35], s[0:1], 0x50
	s_lshl_b64 s[36:37], s[36:37], 6
	v_add_nc_u64_e32 v[8:9], s[24:25], v[6:7]
	v_lshl_or_b32 v17, v6, 5, v5
	s_wait_kmcnt 0x0
	v_mad_nc_u64_u32 v[6:7], s14, v15, s[36:37]
	s_load_b128 s[24:27], s[0:1], 0x10
	v_mul_u64_e32 v[12:13], s[6:7], v[0:1]
	v_dual_mov_b32 v5, v3 :: v_dual_lshlrev_b32 v16, 3, v10
	v_mul_u64_e32 v[20:21], s[20:21], v[0:1]
	v_mad_nc_u64_u32 v[8:9], s28, v14, v[8:9]
	v_add_nc_u32_e32 v35, 0x800, v17
	s_delay_alu instid0(VALU_DEP_4)
	v_lshl_or_b32 v33, v15, 9, v16
	v_add_nc_u64_e32 v[22:23], s[36:37], v[4:5]
	v_lshlrev_b32_e32 v37, 3, v4
	v_mad_u32 v7, s15, v15, v7
	v_lshl_add_u32 v39, v2, 5, 0x800
	s_wait_xcnt 0x0
	s_or_b32 s0, s34, s35
	v_mad_u32 v9, s29, v14, v9
	s_bitset0_b32 s0, 31
	s_mov_b32 s38, s34
	s_cmp_eq_u32 s0, 0
	s_wait_kmcnt 0x0
	v_cmp_gt_i64_e64 s0, s[24:25], 0
	s_delay_alu instid0(VALU_DEP_4)
	v_add_nc_u64_e32 v[0:1], v[6:7], v[10:11]
	s_cselect_b32 s1, -1, 0
	s_lshl_b64 s[42:43], s[20:21], 4
	s_lshl_b64 s[44:45], s[6:7], 4
	s_mov_b32 s36, s27
	s_mov_b32 s37, s26
	v_lshl_add_u64 v[28:29], v[8:9], 3, s[18:19]
	v_lshl_add_u64 v[26:27], v[0:1], 3, s[12:13]
	v_cndmask_b32_e64 v0, 0, 1, s0
	s_mov_b32 s6, s27
	s_mov_b32 s7, s35
	;; [unrolled: 1-line block ×3, first 2 shown]
	v_lshl_add_u64 v[24:25], v[12:13], 3, s[4:5]
	v_cmp_ne_u32_e64 s0, 1, v0
	s_mov_b32 s21, s34
	s_mov_b32 s39, s34
	;; [unrolled: 1-line block ×4, first 2 shown]
	s_lshl_b64 s[4:5], s[16:17], 3
	s_lshl_b64 s[12:13], s[14:15], 5
	;; [unrolled: 1-line block ×6, first 2 shown]
	s_branch .LBB503_3
.LBB503_2:                              ;   in Loop: Header=BB503_3 Depth=1
	s_add_co_i32 s2, s2, 0x10000
	global_store_b32 v[0:1], v2, off offset:4
	s_cmp_lt_i32 s2, s33
	s_cbranch_scc0 .LBB503_10
.LBB503_3:                              ; =>This Loop Header: Depth=1
                                        ;     Child Loop BB503_5 Depth 2
	v_dual_mov_b32 v31, 0 :: v_dual_mov_b32 v30, 0
	v_dual_mov_b32 v88, 0 :: v_dual_mov_b32 v90, 0
	;; [unrolled: 1-line block ×16, first 2 shown]
	s_and_b32 vcc_lo, exec_lo, s0
	s_cbranch_vccnz .LBB503_6
; %bb.4:                                ;   in Loop: Header=BB503_3 Depth=1
	v_mad_nc_u64_u32 v[92:93], s4, s2, v[26:27]
	v_mad_nc_u64_u32 v[94:95], s14, s2, v[28:29]
	v_dual_mov_b32 v34, 0 :: v_dual_mov_b32 v32, 0
	v_dual_mov_b32 v38, 0 :: v_dual_mov_b32 v36, 0
	;; [unrolled: 1-line block ×5, first 2 shown]
	v_mad_u32 v93, s5, s2, v93
	v_mad_u32 v95, s15, s2, v95
	v_dual_mov_b32 v54, 0 :: v_dual_mov_b32 v52, 0
	v_dual_mov_b32 v58, 0 :: v_dual_mov_b32 v56, 0
	;; [unrolled: 1-line block ×11, first 2 shown]
	s_mov_b64 s[30:31], 0
.LBB503_5:                              ;   Parent Loop BB503_3 Depth=1
                                        ; =>  This Inner Loop Header: Depth=2
	global_load_b64 v[0:1], v[92:93], off
	global_load_b64 v[2:3], v[94:95], off
	s_add_nc_u64 s[30:31], s[30:31], 4
	s_wait_xcnt 0x1
	v_add_nc_u64_e32 v[92:93], s[12:13], v[92:93]
	v_cmp_lt_i64_e64 s42, s[30:31], s[24:25]
	s_wait_xcnt 0x0
	v_add_nc_u64_e32 v[94:95], s[16:17], v[94:95]
	s_wait_loadcnt 0x1
	ds_store_b64 v33, v[0:1]
	s_wait_loadcnt 0x0
	ds_store_b64 v35, v[2:3]
	s_wait_dscnt 0x0
	s_barrier_signal -1
	s_barrier_wait -1
	ds_load_2addr_b64 v[0:3], v37 offset1:16
	ds_load_b128 v[8:11], v39
	ds_load_2addr_b64 v[4:7], v37 offset0:32 offset1:48
	ds_load_2addr_b64 v[12:15], v37 offset0:64 offset1:80
	;; [unrolled: 1-line block ×3, first 2 shown]
	ds_load_b128 v[96:99], v39 offset:16
	ds_load_2addr_b64 v[100:103], v37 offset0:128 offset1:144
	ds_load_2addr_b64 v[104:107], v37 offset0:160 offset1:176
	;; [unrolled: 1-line block ×4, first 2 shown]
	ds_load_b128 v[116:119], v39 offset:512
	ds_load_b128 v[120:123], v39 offset:528
	;; [unrolled: 1-line block ×6, first 2 shown]
	s_and_b32 vcc_lo, exec_lo, s42
	s_wait_dscnt 0x0
	s_barrier_signal -1
	s_barrier_wait -1
	v_dual_mul_f32 v41, v9, v1 :: v_dual_mul_f32 v43, v8, v1
	v_dual_mul_f32 v45, v9, v3 :: v_dual_mul_f32 v47, v8, v3
	;; [unrolled: 1-line block ×27, first 2 shown]
	v_dual_fma_f32 v41, v8, v0, -v41 :: v_dual_fmac_f32 v43, v9, v0
	v_dual_fma_f32 v45, v8, v2, -v45 :: v_dual_fmac_f32 v47, v9, v2
	;; [unrolled: 1-line block ×8, first 2 shown]
	v_pk_mul_f32 v[8:9], v[132:133], v[6:7] op_sel:[1,1] op_sel_hi:[0,1]
	v_dual_mul_f32 v5, v135, v13 :: v_dual_mul_f32 v166, v134, v13
	v_dual_mov_b32 v10, v135 :: v_dual_mov_b32 v11, v134
	v_dual_fma_f32 v73, v116, v0, -v73 :: v_dual_fmac_f32 v75, v117, v0
	v_dual_fma_f32 v77, v116, v2, -v77 :: v_dual_fmac_f32 v79, v117, v2
	;; [unrolled: 1-line block ×19, first 2 shown]
	v_pk_fma_f32 v[0:1], v[132:133], v[6:7], v[8:9] neg_lo:[0,0,1] neg_hi:[0,0,1]
	v_pk_fma_f32 v[2:3], v[132:133], v[6:7], v[8:9] op_sel_hi:[1,0,1]
	v_dual_fma_f32 v133, v134, v12, -v5 :: v_dual_fmac_f32 v166, v135, v12
	v_pk_mul_f32 v[4:5], v[10:11], v[18:19] op_sel:[0,1]
	v_dual_mul_f32 v13, v135, v15 :: v_dual_mul_f32 v119, v134, v15
	v_dual_mul_f32 v15, v135, v17 :: v_dual_mul_f32 v17, v134, v17
	;; [unrolled: 1-line block ×4, first 2 shown]
	v_pk_fma_f32 v[6:7], v[134:135], v[18:19], v[4:5] neg_lo:[0,0,1] neg_hi:[0,0,1]
	v_pk_fma_f32 v[4:5], v[134:135], v[18:19], v[4:5] op_sel_hi:[1,0,1]
	v_dual_mul_f32 v127, v97, v101 :: v_dual_mul_f32 v150, v96, v101
	v_dual_mul_f32 v8, v97, v107 :: v_dual_mul_f32 v132, v96, v107
	v_dual_fma_f32 v162, v134, v14, -v13 :: v_dual_fmac_f32 v119, v135, v14
	v_dual_mul_f32 v9, v99, v109 :: v_dual_mul_f32 v167, v98, v109
	v_dual_fma_f32 v168, v134, v16, -v15 :: v_dual_fmac_f32 v17, v135, v16
	v_dual_mul_f32 v4, v99, v111 :: v_dual_mul_f32 v16, v98, v111
	v_dual_mul_f32 v7, v99, v113 :: v_dual_mul_f32 v18, v98, v113
	;; [unrolled: 1-line block ×3, first 2 shown]
	v_dual_fma_f32 v135, v96, v102, -v156 :: v_dual_fmac_f32 v158, v97, v102
	v_dual_fma_f32 v156, v96, v104, -v1 :: v_dual_fmac_f32 v2, v97, v104
	v_dual_mul_f32 v1, v121, v103 :: v_dual_mul_f32 v11, v121, v101
	v_mul_f32_e32 v134, v120, v101
	v_dual_fma_f32 v127, v96, v100, -v127 :: v_dual_fmac_f32 v150, v97, v100
	v_fma_f32 v96, v96, v106, -v8
	v_dual_fmac_f32 v132, v97, v106 :: v_dual_fmac_f32 v167, v99, v108
	v_dual_fma_f32 v97, v98, v108, -v9 :: v_dual_fma_f32 v4, v98, v110, -v4
	v_dual_fma_f32 v169, v98, v112, -v7 :: v_dual_fmac_f32 v16, v99, v110
	v_fmac_f32_e32 v18, v99, v112
	v_dual_fma_f32 v98, v98, v114, -v10 :: v_dual_fmac_f32 v19, v99, v114
	v_dual_mul_f32 v99, v120, v103 :: v_dual_mul_f32 v7, v121, v105
	v_dual_mul_f32 v170, v120, v105 :: v_dual_fma_f32 v172, v120, v102, -v1
	v_dual_mul_f32 v1, v121, v107 :: v_dual_fma_f32 v171, v120, v100, -v11
	v_fmac_f32_e32 v134, v121, v100
	s_delay_alu instid0(VALU_DEP_3) | instskip(NEXT) | instid1(VALU_DEP_3)
	v_dual_fma_f32 v173, v120, v104, -v7 :: v_dual_fmac_f32 v170, v121, v104
	v_dual_fma_f32 v174, v120, v106, -v1 :: v_dual_mul_f32 v120, v120, v107
	v_dual_mul_f32 v1, v123, v109 :: v_dual_mul_f32 v175, v122, v109
	v_dual_fmac_f32 v99, v121, v102 :: v_dual_mul_f32 v177, v122, v111
	s_delay_alu instid0(VALU_DEP_2) | instskip(NEXT) | instid1(VALU_DEP_3)
	v_dual_fmac_f32 v120, v121, v106 :: v_dual_fma_f32 v121, v122, v108, -v1
	v_dual_fmac_f32 v175, v123, v108 :: v_dual_mul_f32 v1, v123, v111
	s_delay_alu instid0(VALU_DEP_3) | instskip(SKIP_1) | instid1(VALU_DEP_3)
	v_dual_fmac_f32 v177, v123, v110 :: v_dual_mul_f32 v179, v122, v113
	v_dual_mul_f32 v181, v128, v101 :: v_dual_mul_f32 v183, v128, v103
	v_dual_fma_f32 v176, v122, v110, -v1 :: v_dual_mul_f32 v1, v123, v113
	s_delay_alu instid0(VALU_DEP_3) | instskip(NEXT) | instid1(VALU_DEP_3)
	v_fmac_f32_e32 v179, v123, v112
	v_dual_fmac_f32 v181, v129, v100 :: v_dual_mul_f32 v185, v128, v105
	s_delay_alu instid0(VALU_DEP_3) | instskip(SKIP_1) | instid1(VALU_DEP_3)
	v_dual_fmac_f32 v183, v129, v102 :: v_dual_fma_f32 v178, v122, v112, -v1
	v_dual_mul_f32 v1, v123, v115 :: v_dual_mul_f32 v187, v130, v109
	v_dual_fmac_f32 v185, v129, v104 :: v_dual_mul_f32 v189, v130, v111
	v_mul_f32_e32 v191, v130, v113
	s_delay_alu instid0(VALU_DEP_3) | instskip(NEXT) | instid1(VALU_DEP_3)
	v_dual_fma_f32 v180, v122, v114, -v1 :: v_dual_mul_f32 v122, v122, v115
	v_dual_mul_f32 v1, v129, v101 :: v_dual_fmac_f32 v189, v131, v110
	v_fmac_f32_e32 v187, v131, v108
	s_delay_alu instid0(VALU_DEP_4) | instskip(NEXT) | instid1(VALU_DEP_3)
	v_fmac_f32_e32 v191, v131, v112
	v_dual_fmac_f32 v122, v123, v114 :: v_dual_fma_f32 v123, v128, v100, -v1
	v_mul_f32_e32 v1, v129, v103
	v_pk_mul_f32 v[8:9], v[136:137], v[106:107] op_sel:[1,1] op_sel_hi:[0,1]
	v_dual_mov_b32 v12, v139 :: v_dual_mov_b32 v13, v138
	v_add_f32_e32 v36, v36, v154
	s_delay_alu instid0(VALU_DEP_4) | instskip(NEXT) | instid1(VALU_DEP_4)
	v_dual_fma_f32 v182, v128, v102, -v1 :: v_dual_mul_f32 v1, v129, v105
	v_pk_fma_f32 v[10:11], v[136:137], v[106:107], v[8:9] neg_lo:[0,0,1] neg_hi:[0,0,1]
	v_pk_fma_f32 v[8:9], v[136:137], v[106:107], v[8:9] op_sel_hi:[1,0,1]
	v_pk_mul_f32 v[12:13], v[12:13], v[114:115] op_sel:[0,1]
	v_add_f32_e32 v72, v72, v75
	v_dual_fma_f32 v184, v128, v104, -v1 :: v_dual_mul_f32 v1, v129, v107
	v_dual_add_f32 v68, v68, v77 :: v_dual_add_f32 v70, v70, v79
	s_delay_alu instid0(VALU_DEP_4) | instskip(SKIP_1) | instid1(VALU_DEP_4)
	v_pk_fma_f32 v[14:15], v[138:139], v[114:115], v[12:13] neg_lo:[0,0,1] neg_hi:[0,0,1]
	v_pk_fma_f32 v[12:13], v[138:139], v[114:115], v[12:13] op_sel_hi:[1,0,1]
	v_dual_fma_f32 v186, v128, v106, -v1 :: v_dual_mul_f32 v128, v128, v107
	v_dual_mul_f32 v1, v131, v109 :: v_dual_mul_f32 v107, v138, v111
	v_dual_add_f32 v12, v88, v41 :: v_dual_add_f32 v41, v90, v43
	s_delay_alu instid0(VALU_DEP_2) | instskip(SKIP_3) | instid1(VALU_DEP_3)
	v_dual_fmac_f32 v128, v129, v106 :: v_dual_fma_f32 v129, v130, v108, -v1
	v_dual_mul_f32 v1, v131, v111 :: v_dual_add_f32 v43, v84, v45
	v_add_f32_e32 v45, v86, v47
	v_dual_add_f32 v47, v82, v49 :: v_dual_add_f32 v49, v80, v51
	v_dual_fma_f32 v188, v130, v110, -v1 :: v_dual_mul_f32 v1, v131, v113
	v_dual_add_f32 v51, v76, v53 :: v_dual_add_f32 v53, v78, v55
	v_add_f32_e32 v55, v74, v73
	v_dual_add_f32 v64, v64, v81 :: v_dual_add_f32 v66, v66, v83
	s_delay_alu instid0(VALU_DEP_4) | instskip(SKIP_2) | instid1(VALU_DEP_3)
	v_dual_fma_f32 v190, v130, v112, -v1 :: v_dual_mul_f32 v1, v131, v115
	v_dual_add_f32 v60, v60, v85 :: v_dual_add_f32 v62, v62, v87
	v_dual_add_f32 v56, v56, v140 :: v_dual_add_f32 v58, v58, v147
	v_dual_fma_f32 v192, v130, v114, -v1 :: v_dual_mul_f32 v130, v130, v115
	v_dual_mul_f32 v1, v137, v101 :: v_dual_mul_f32 v101, v136, v101
	v_dual_add_f32 v52, v52, v142 :: v_dual_add_f32 v54, v54, v149
	s_delay_alu instid0(VALU_DEP_2) | instskip(NEXT) | instid1(VALU_DEP_3)
	v_dual_fmac_f32 v130, v131, v114 :: v_dual_fma_f32 v131, v136, v100, -v1
	v_dual_mul_f32 v1, v137, v103 :: v_dual_fmac_f32 v101, v137, v100
	v_mul_f32_e32 v103, v136, v103
	v_dual_add_f32 v48, v48, v144 :: v_dual_add_f32 v50, v50, v151
	s_delay_alu instid0(VALU_DEP_3) | instskip(NEXT) | instid1(VALU_DEP_3)
	v_dual_fma_f32 v100, v136, v102, -v1 :: v_dual_mul_f32 v1, v137, v105
	v_dual_mul_f32 v105, v136, v105 :: v_dual_fmac_f32 v103, v137, v102
	v_dual_add_f32 v44, v44, v124 :: v_dual_add_f32 v46, v46, v153
	s_delay_alu instid0(VALU_DEP_3) | instskip(NEXT) | instid1(VALU_DEP_3)
	v_dual_fma_f32 v102, v136, v104, -v1 :: v_dual_mul_f32 v1, v139, v109
	v_dual_fmac_f32 v105, v137, v104 :: v_dual_mul_f32 v104, v138, v109
	v_dual_mul_f32 v109, v138, v113 :: v_dual_add_f32 v40, v40, v152
	v_add_f32_e32 v42, v42, v163
	s_delay_alu instid0(VALU_DEP_3) | instskip(NEXT) | instid1(VALU_DEP_3)
	v_dual_fma_f32 v8, v138, v108, -v1 :: v_dual_fmac_f32 v104, v139, v108
	v_dual_mul_f32 v1, v139, v111 :: v_dual_fmac_f32 v109, v139, v112
	v_dual_add_f32 v32, v32, v160 :: v_dual_add_f32 v34, v34, v165
	v_dual_mov_b32 v7, v5 :: v_dual_mov_b32 v15, v13
	s_delay_alu instid0(VALU_DEP_3) | instskip(SKIP_3) | instid1(VALU_DEP_3)
	v_dual_fma_f32 v106, v138, v110, -v1 :: v_dual_fmac_f32 v107, v139, v110
	v_dual_mul_f32 v1, v139, v113 :: v_dual_mov_b32 v11, v9
	v_dual_add_f32 v5, v12, v57 :: v_dual_add_f32 v9, v41, v59
	v_dual_add_f32 v12, v43, v61 :: v_dual_add_f32 v13, v45, v63
	v_dual_fma_f32 v108, v138, v112, -v1 :: v_dual_mov_b32 v1, v3
	v_dual_add_f32 v3, v38, v164 :: v_dual_add_f32 v38, v51, v69
	v_dual_add_f32 v41, v53, v71 :: v_dual_add_f32 v43, v55, v89
	v_add_f32_e32 v45, v72, v91
	s_delay_alu instid0(VALU_DEP_4)
	v_pk_add_f32 v[0:1], v[30:31], v[0:1]
	v_dual_add_f32 v30, v47, v65 :: v_dual_add_f32 v31, v49, v67
	v_dual_add_f32 v47, v68, v116 :: v_dual_add_f32 v49, v70, v141
	;; [unrolled: 1-line block ×11, first 2 shown]
	v_pk_add_f32 v[0:1], v[0:1], v[6:7]
	v_add_f32_e32 v5, v5, v127
	v_dual_add_f32 v6, v9, v150 :: v_dual_add_f32 v7, v12, v135
	v_dual_add_f32 v9, v13, v158 :: v_dual_add_f32 v13, v38, v96
	;; [unrolled: 1-line block ×6, first 2 shown]
	v_add_f32_e32 v45, v53, v170
	v_dual_add_f32 v47, v55, v174 :: v_dual_add_f32 v49, v57, v120
	v_dual_add_f32 v51, v56, v123 :: v_dual_add_f32 v53, v58, v181
	;; [unrolled: 1-line block ×8, first 2 shown]
	v_pk_add_f32 v[0:1], v[0:1], v[10:11]
	v_dual_add_f32 v88, v5, v97 :: v_dual_add_f32 v90, v6, v167
	v_dual_add_f32 v84, v7, v4 :: v_dual_add_f32 v82, v12, v169
	;; [unrolled: 1-line block ×15, first 2 shown]
	v_pk_add_f32 v[30:31], v[0:1], v[14:15]
	s_cbranch_vccnz .LBB503_5
.LBB503_6:                              ;   in Loop: Header=BB503_3 Depth=1
	s_mul_u64 s[30:31], s[22:23], s[2:3]
	s_and_not1_b32 vcc_lo, exec_lo, s1
	s_lshl_b64 s[30:31], s[30:31], 3
	s_mov_b32 s42, -1
	s_add_nc_u64 s[30:31], s[10:11], s[30:31]
                                        ; implicit-def: $vgpr2
                                        ; implicit-def: $vgpr0_vgpr1
	s_cbranch_vccz .LBB503_8
; %bb.7:                                ;   in Loop: Header=BB503_3 Depth=1
	s_and_not1_b32 vcc_lo, exec_lo, s42
	s_cbranch_vccnz .LBB503_2
	s_branch .LBB503_9
.LBB503_8:                              ;   in Loop: Header=BB503_3 Depth=1
	s_wait_xcnt 0x0
	v_mov_b64_e32 v[0:1], s[36:37]
	v_mov_b64_e32 v[6:7], s[26:27]
	v_lshlrev_b64_e32 v[2:3], 3, v[22:23]
	v_lshl_add_u64 v[4:5], v[20:21], 3, s[30:31]
	s_delay_alu instid0(VALU_DEP_4)
	v_pk_mul_f32 v[8:9], v[90:91], v[0:1] op_sel_hi:[0,1]
	v_pk_mul_f32 v[10:11], v[86:87], v[0:1] op_sel_hi:[0,1]
	v_pk_mul_f32 v[12:13], v[80:81], v[0:1] op_sel_hi:[0,1]
	v_pk_mul_f32 v[14:15], v[78:79], v[0:1] op_sel_hi:[0,1]
	v_add_nc_u64_e32 v[16:17], v[4:5], v[2:3]
	v_pk_fma_f32 v[18:19], v[88:89], v[6:7], v[8:9] neg_lo:[0,0,1] neg_hi:[0,0,1]
	v_pk_fma_f32 v[8:9], v[88:89], v[6:7], v[8:9] op_sel_hi:[0,1,1]
	v_pk_fma_f32 v[92:93], v[84:85], v[6:7], v[10:11] op_sel_hi:[0,1,1]
	;; [unrolled: 1-line block ×4, first 2 shown]
	v_pk_fma_f32 v[10:11], v[84:85], v[6:7], v[10:11] neg_lo:[0,0,1] neg_hi:[0,0,1]
	s_delay_alu instid0(VALU_DEP_4)
	v_dual_mov_b32 v19, v9 :: v_dual_mov_b32 v11, v93
	v_pk_fma_f32 v[8:9], v[82:83], v[6:7], v[12:13] neg_lo:[0,0,1] neg_hi:[0,0,1]
	v_mov_b32_e32 v9, v95
	v_pk_fma_f32 v[12:13], v[76:77], v[6:7], v[14:15] neg_lo:[0,0,1] neg_hi:[0,0,1]
	v_mov_b32_e32 v13, v97
	v_pk_mul_f32 v[14:15], v[72:73], v[0:1] op_sel_hi:[0,1]
	s_clause 0x3
	global_store_b64 v[16:17], v[18:19], off
	global_store_b64 v[16:17], v[10:11], off offset:128
	global_store_b64 v[16:17], v[8:9], off offset:256
	;; [unrolled: 1-line block ×3, first 2 shown]
	s_wait_xcnt 0x1
	v_pk_mul_f32 v[8:9], v[70:71], v[0:1] op_sel_hi:[0,1]
	s_wait_xcnt 0x0
	v_pk_mul_f32 v[16:17], v[66:67], v[0:1] op_sel_hi:[0,1]
	v_add_nc_u64_e32 v[4:5], s[28:29], v[4:5]
	v_pk_fma_f32 v[12:13], v[74:75], v[6:7], v[14:15] op_sel_hi:[0,1,1]
	v_pk_mul_f32 v[92:93], v[62:63], v[0:1] op_sel_hi:[0,1]
	v_pk_fma_f32 v[18:19], v[68:69], v[6:7], v[8:9] op_sel_hi:[0,1,1]
	v_pk_fma_f32 v[14:15], v[74:75], v[6:7], v[14:15] neg_lo:[0,0,1] neg_hi:[0,0,1]
	v_pk_fma_f32 v[8:9], v[68:69], v[6:7], v[8:9] neg_lo:[0,0,1] neg_hi:[0,0,1]
	v_mov_b32_e32 v15, v13
	v_pk_fma_f32 v[12:13], v[64:65], v[6:7], v[16:17] op_sel_hi:[0,1,1]
	v_mov_b32_e32 v9, v19
	v_pk_fma_f32 v[18:19], v[60:61], v[6:7], v[92:93] op_sel_hi:[0,1,1]
	v_add_nc_u64_e32 v[10:11], v[4:5], v[2:3]
	v_pk_fma_f32 v[16:17], v[64:65], v[6:7], v[16:17] neg_lo:[0,0,1] neg_hi:[0,0,1]
	v_mov_b32_e32 v17, v13
	v_pk_fma_f32 v[12:13], v[60:61], v[6:7], v[92:93] neg_lo:[0,0,1] neg_hi:[0,0,1]
	v_mov_b32_e32 v13, v19
	v_pk_mul_f32 v[18:19], v[58:59], v[0:1] op_sel_hi:[0,1]
	v_add_nc_u64_e32 v[4:5], s[28:29], v[4:5]
	s_clause 0x3
	global_store_b64 v[10:11], v[14:15], off
	global_store_b64 v[10:11], v[8:9], off offset:128
	global_store_b64 v[10:11], v[16:17], off offset:256
	;; [unrolled: 1-line block ×3, first 2 shown]
	s_wait_xcnt 0x0
	v_pk_mul_f32 v[10:11], v[54:55], v[0:1] op_sel_hi:[0,1]
	v_pk_mul_f32 v[14:15], v[50:51], v[0:1] op_sel_hi:[0,1]
	v_pk_fma_f32 v[12:13], v[56:57], v[6:7], v[18:19] op_sel_hi:[0,1,1]
	v_pk_fma_f32 v[16:17], v[56:57], v[6:7], v[18:19] neg_lo:[0,0,1] neg_hi:[0,0,1]
	v_pk_mul_f32 v[18:19], v[46:47], v[0:1] op_sel_hi:[0,1]
	v_pk_fma_f32 v[92:93], v[52:53], v[6:7], v[10:11] op_sel_hi:[0,1,1]
	v_add_nc_u64_e32 v[8:9], v[4:5], v[2:3]
	v_mov_b32_e32 v17, v13
	v_pk_fma_f32 v[12:13], v[48:49], v[6:7], v[14:15] op_sel_hi:[0,1,1]
	v_pk_fma_f32 v[94:95], v[44:45], v[6:7], v[18:19] op_sel_hi:[0,1,1]
	v_pk_fma_f32 v[10:11], v[52:53], v[6:7], v[10:11] neg_lo:[0,0,1] neg_hi:[0,0,1]
	v_mov_b32_e32 v11, v93
	v_pk_fma_f32 v[14:15], v[48:49], v[6:7], v[14:15] neg_lo:[0,0,1] neg_hi:[0,0,1]
	v_mov_b32_e32 v15, v13
	;; [unrolled: 2-line block ×3, first 2 shown]
	v_add_nc_u64_e32 v[4:5], s[28:29], v[4:5]
	v_pk_mul_f32 v[18:19], v[42:43], v[0:1] op_sel_hi:[0,1]
	s_clause 0x3
	global_store_b64 v[8:9], v[16:17], off
	global_store_b64 v[8:9], v[10:11], off offset:128
	global_store_b64 v[8:9], v[14:15], off offset:256
	;; [unrolled: 1-line block ×3, first 2 shown]
	s_wait_xcnt 0x0
	v_pk_mul_f32 v[8:9], v[38:39], v[0:1] op_sel_hi:[0,1]
	v_pk_fma_f32 v[10:11], v[40:41], v[6:7], v[18:19] op_sel_hi:[0,1,1]
	v_add_nc_u64_e32 v[4:5], v[4:5], v[2:3]
	v_pk_mul_f32 v[2:3], v[34:35], v[0:1] op_sel_hi:[0,1]
	s_delay_alu instid0(VALU_DEP_4)
	v_pk_fma_f32 v[14:15], v[36:37], v[6:7], v[8:9] op_sel_hi:[0,1,1]
	v_pk_fma_f32 v[12:13], v[40:41], v[6:7], v[18:19] neg_lo:[0,0,1] neg_hi:[0,0,1]
	v_pk_fma_f32 v[8:9], v[36:37], v[6:7], v[8:9] neg_lo:[0,0,1] neg_hi:[0,0,1]
	v_mov_b32_e32 v13, v11
	v_pk_fma_f32 v[10:11], v[32:33], v[6:7], v[2:3] op_sel_hi:[0,1,1]
	v_mov_b32_e32 v9, v15
	v_pk_mul_f32 v[14:15], v[30:31], v[0:1]
	v_mul_f32_e32 v10, s26, v30
	v_add_nc_u64_e32 v[0:1], 0x180, v[4:5]
	v_pk_fma_f32 v[6:7], v[32:33], v[6:7], v[2:3] neg_lo:[0,0,1] neg_hi:[0,0,1]
	s_delay_alu instid0(VALU_DEP_4) | instskip(NEXT) | instid1(VALU_DEP_4)
	v_dual_mov_b32 v7, v11 :: v_dual_add_f32 v2, v14, v15
	v_fma_f32 v3, -v31, s36, v10
	s_clause 0x3
	global_store_b64 v[4:5], v[12:13], off
	global_store_b64 v[4:5], v[8:9], off offset:128
	global_store_b64 v[4:5], v[6:7], off offset:256
	global_store_b32 v[4:5], v3, off offset:384
	s_cbranch_execnz .LBB503_2
.LBB503_9:                              ;   in Loop: Header=BB503_3 Depth=1
	s_mul_u64 s[42:43], s[8:9], s[2:3]
	s_wait_xcnt 0x0
	v_lshlrev_b64_e32 v[0:1], 3, v[22:23]
	s_wait_xcnt 0x0
	v_lshl_add_u64 v[2:3], s[42:43], 3, v[24:25]
	v_mov_b64_e32 v[8:9], s[36:37]
	v_mov_b64_e32 v[10:11], s[40:41]
	;; [unrolled: 1-line block ×4, first 2 shown]
	v_lshl_add_u64 v[94:95], v[20:21], 3, s[30:31]
	v_add_nc_u64_e32 v[4:5], v[2:3], v[0:1]
	v_add_nc_u64_e32 v[2:3], s[18:19], v[2:3]
	v_pk_mul_f32 v[14:15], v[90:91], v[8:9] op_sel_hi:[0,1]
	s_delay_alu instid0(VALU_DEP_1) | instskip(SKIP_4) | instid1(VALU_DEP_1)
	v_pk_fma_f32 v[90:91], v[88:89], v[12:13], v[14:15] op_sel_hi:[0,1,1]
	global_load_b64 v[6:7], v[4:5], off
	v_pk_fma_f32 v[14:15], v[88:89], v[12:13], v[14:15] neg_lo:[0,0,1] neg_hi:[0,0,1]
	s_wait_loadcnt 0x0
	v_pk_mul_f32 v[18:19], v[6:7], v[10:11]
	v_pk_fma_f32 v[92:93], v[6:7], v[16:17], v[18:19] op_sel:[0,0,1] op_sel_hi:[1,1,0]
	v_pk_fma_f32 v[6:7], v[6:7], v[16:17], v[18:19] op_sel:[0,0,1] op_sel_hi:[1,1,0] neg_lo:[0,0,1] neg_hi:[0,0,1]
	v_mov_b32_e32 v15, v91
	v_add_nc_u64_e32 v[18:19], v[94:95], v[0:1]
	s_delay_alu instid0(VALU_DEP_4) | instskip(NEXT) | instid1(VALU_DEP_1)
	v_mov_b32_e32 v7, v93
	v_pk_add_f32 v[6:7], v[14:15], v[6:7]
	v_pk_mul_f32 v[14:15], v[86:87], v[8:9] op_sel_hi:[0,1]
	global_store_b64 v[18:19], v[6:7], off
	global_load_b64 v[6:7], v[4:5], off offset:128
	v_pk_fma_f32 v[88:89], v[84:85], v[12:13], v[14:15] op_sel_hi:[0,1,1]
	v_pk_fma_f32 v[14:15], v[84:85], v[12:13], v[14:15] neg_lo:[0,0,1] neg_hi:[0,0,1]
	s_wait_loadcnt 0x0
	v_pk_mul_f32 v[86:87], v[6:7], v[10:11]
	s_delay_alu instid0(VALU_DEP_1) | instskip(SKIP_1) | instid1(VALU_DEP_2)
	v_pk_fma_f32 v[90:91], v[6:7], v[16:17], v[86:87] op_sel:[0,0,1] op_sel_hi:[1,1,0]
	v_pk_fma_f32 v[6:7], v[6:7], v[16:17], v[86:87] op_sel:[0,0,1] op_sel_hi:[1,1,0] neg_lo:[0,0,1] neg_hi:[0,0,1]
	v_dual_mov_b32 v15, v89 :: v_dual_mov_b32 v7, v91
	s_delay_alu instid0(VALU_DEP_1)
	v_pk_add_f32 v[6:7], v[14:15], v[6:7]
	v_pk_mul_f32 v[14:15], v[80:81], v[8:9] op_sel_hi:[0,1]
	global_store_b64 v[18:19], v[6:7], off offset:128
	global_load_b64 v[6:7], v[4:5], off offset:256
	v_pk_fma_f32 v[84:85], v[82:83], v[12:13], v[14:15] op_sel_hi:[0,1,1]
	v_pk_fma_f32 v[14:15], v[82:83], v[12:13], v[14:15] neg_lo:[0,0,1] neg_hi:[0,0,1]
	s_wait_loadcnt 0x0
	v_pk_mul_f32 v[80:81], v[6:7], v[10:11]
	s_delay_alu instid0(VALU_DEP_1) | instskip(SKIP_1) | instid1(VALU_DEP_2)
	v_pk_fma_f32 v[86:87], v[6:7], v[16:17], v[80:81] op_sel:[0,0,1] op_sel_hi:[1,1,0]
	v_pk_fma_f32 v[6:7], v[6:7], v[16:17], v[80:81] op_sel:[0,0,1] op_sel_hi:[1,1,0] neg_lo:[0,0,1] neg_hi:[0,0,1]
	v_dual_mov_b32 v15, v85 :: v_dual_mov_b32 v7, v87
	s_delay_alu instid0(VALU_DEP_1) | instskip(SKIP_4) | instid1(VALU_DEP_1)
	v_pk_add_f32 v[6:7], v[14:15], v[6:7]
	global_store_b64 v[18:19], v[6:7], off offset:256
	global_load_b64 v[4:5], v[4:5], off offset:384
	s_wait_xcnt 0x1
	v_pk_mul_f32 v[6:7], v[78:79], v[8:9] op_sel_hi:[0,1]
	v_pk_fma_f32 v[78:79], v[76:77], v[12:13], v[6:7] op_sel_hi:[0,1,1]
	v_pk_fma_f32 v[6:7], v[76:77], v[12:13], v[6:7] neg_lo:[0,0,1] neg_hi:[0,0,1]
	s_wait_loadcnt 0x0
	v_pk_mul_f32 v[14:15], v[4:5], v[10:11]
	s_delay_alu instid0(VALU_DEP_1)
	v_pk_fma_f32 v[80:81], v[4:5], v[16:17], v[14:15] op_sel:[0,0,1] op_sel_hi:[1,1,0]
	s_wait_xcnt 0x0
	v_pk_fma_f32 v[4:5], v[4:5], v[16:17], v[14:15] op_sel:[0,0,1] op_sel_hi:[1,1,0] neg_lo:[0,0,1] neg_hi:[0,0,1]
	v_mov_b32_e32 v7, v79
	v_add_nc_u64_e32 v[14:15], v[2:3], v[0:1]
	v_add_nc_u64_e32 v[78:79], s[28:29], v[94:95]
	v_mov_b32_e32 v5, v81
	v_add_nc_u64_e32 v[2:3], s[18:19], v[2:3]
	s_delay_alu instid0(VALU_DEP_2)
	v_pk_add_f32 v[4:5], v[6:7], v[4:5]
	v_pk_mul_f32 v[6:7], v[72:73], v[8:9] op_sel_hi:[0,1]
	global_store_b64 v[18:19], v[4:5], off offset:384
	global_load_b64 v[4:5], v[14:15], off
	v_pk_fma_f32 v[72:73], v[74:75], v[12:13], v[6:7] op_sel_hi:[0,1,1]
	v_pk_fma_f32 v[6:7], v[74:75], v[12:13], v[6:7] neg_lo:[0,0,1] neg_hi:[0,0,1]
	s_wait_loadcnt 0x0
	v_pk_mul_f32 v[18:19], v[4:5], v[10:11]
	s_delay_alu instid0(VALU_DEP_1) | instskip(SKIP_3) | instid1(VALU_DEP_4)
	v_pk_fma_f32 v[76:77], v[4:5], v[16:17], v[18:19] op_sel:[0,0,1] op_sel_hi:[1,1,0]
	v_pk_fma_f32 v[4:5], v[4:5], v[16:17], v[18:19] op_sel:[0,0,1] op_sel_hi:[1,1,0] neg_lo:[0,0,1] neg_hi:[0,0,1]
	v_mov_b32_e32 v7, v73
	v_add_nc_u64_e32 v[18:19], v[78:79], v[0:1]
	v_mov_b32_e32 v5, v77
	s_delay_alu instid0(VALU_DEP_1)
	v_pk_add_f32 v[4:5], v[6:7], v[4:5]
	v_pk_mul_f32 v[6:7], v[70:71], v[8:9] op_sel_hi:[0,1]
	global_store_b64 v[18:19], v[4:5], off
	global_load_b64 v[4:5], v[14:15], off offset:128
	v_pk_fma_f32 v[72:73], v[68:69], v[12:13], v[6:7] op_sel_hi:[0,1,1]
	v_pk_fma_f32 v[6:7], v[68:69], v[12:13], v[6:7] neg_lo:[0,0,1] neg_hi:[0,0,1]
	s_wait_loadcnt 0x0
	v_pk_mul_f32 v[70:71], v[4:5], v[10:11]
	s_delay_alu instid0(VALU_DEP_1) | instskip(SKIP_1) | instid1(VALU_DEP_2)
	v_pk_fma_f32 v[74:75], v[4:5], v[16:17], v[70:71] op_sel:[0,0,1] op_sel_hi:[1,1,0]
	v_pk_fma_f32 v[4:5], v[4:5], v[16:17], v[70:71] op_sel:[0,0,1] op_sel_hi:[1,1,0] neg_lo:[0,0,1] neg_hi:[0,0,1]
	v_dual_mov_b32 v7, v73 :: v_dual_mov_b32 v5, v75
	s_delay_alu instid0(VALU_DEP_1)
	v_pk_add_f32 v[4:5], v[6:7], v[4:5]
	v_pk_mul_f32 v[6:7], v[66:67], v[8:9] op_sel_hi:[0,1]
	global_store_b64 v[18:19], v[4:5], off offset:128
	global_load_b64 v[4:5], v[14:15], off offset:256
	v_pk_fma_f32 v[68:69], v[64:65], v[12:13], v[6:7] op_sel_hi:[0,1,1]
	v_pk_fma_f32 v[6:7], v[64:65], v[12:13], v[6:7] neg_lo:[0,0,1] neg_hi:[0,0,1]
	s_wait_loadcnt 0x0
	v_pk_mul_f32 v[66:67], v[4:5], v[10:11]
	s_delay_alu instid0(VALU_DEP_1) | instskip(SKIP_1) | instid1(VALU_DEP_2)
	v_pk_fma_f32 v[70:71], v[4:5], v[16:17], v[66:67] op_sel:[0,0,1] op_sel_hi:[1,1,0]
	v_pk_fma_f32 v[4:5], v[4:5], v[16:17], v[66:67] op_sel:[0,0,1] op_sel_hi:[1,1,0] neg_lo:[0,0,1] neg_hi:[0,0,1]
	v_dual_mov_b32 v7, v69 :: v_dual_mov_b32 v5, v71
	s_delay_alu instid0(VALU_DEP_1)
	v_pk_add_f32 v[4:5], v[6:7], v[4:5]
	v_pk_mul_f32 v[6:7], v[62:63], v[8:9] op_sel_hi:[0,1]
	global_store_b64 v[18:19], v[4:5], off offset:256
	global_load_b64 v[4:5], v[14:15], off offset:384
	v_pk_fma_f32 v[62:63], v[60:61], v[12:13], v[6:7] op_sel_hi:[0,1,1]
	v_pk_fma_f32 v[6:7], v[60:61], v[12:13], v[6:7] neg_lo:[0,0,1] neg_hi:[0,0,1]
	s_wait_loadcnt 0x0
	s_wait_xcnt 0x0
	v_pk_mul_f32 v[14:15], v[4:5], v[10:11]
	s_delay_alu instid0(VALU_DEP_1)
	v_pk_fma_f32 v[64:65], v[4:5], v[16:17], v[14:15] op_sel:[0,0,1] op_sel_hi:[1,1,0]
	v_pk_fma_f32 v[4:5], v[4:5], v[16:17], v[14:15] op_sel:[0,0,1] op_sel_hi:[1,1,0] neg_lo:[0,0,1] neg_hi:[0,0,1]
	v_mov_b32_e32 v7, v63
	v_add_nc_u64_e32 v[14:15], v[2:3], v[0:1]
	v_add_nc_u64_e32 v[62:63], s[28:29], v[78:79]
	v_mov_b32_e32 v5, v65
	v_add_nc_u64_e32 v[2:3], s[18:19], v[2:3]
	s_delay_alu instid0(VALU_DEP_2) | instskip(SKIP_1) | instid1(VALU_DEP_3)
	v_pk_add_f32 v[4:5], v[6:7], v[4:5]
	v_pk_mul_f32 v[6:7], v[58:59], v[8:9] op_sel_hi:[0,1]
	v_add_nc_u64_e32 v[2:3], v[2:3], v[0:1]
	global_store_b64 v[18:19], v[4:5], off offset:384
	global_load_b64 v[4:5], v[14:15], off
	v_pk_fma_f32 v[58:59], v[56:57], v[12:13], v[6:7] op_sel_hi:[0,1,1]
	v_pk_fma_f32 v[6:7], v[56:57], v[12:13], v[6:7] neg_lo:[0,0,1] neg_hi:[0,0,1]
	s_wait_loadcnt 0x0
	v_pk_mul_f32 v[18:19], v[4:5], v[10:11]
	s_delay_alu instid0(VALU_DEP_1) | instskip(SKIP_3) | instid1(VALU_DEP_4)
	v_pk_fma_f32 v[60:61], v[4:5], v[16:17], v[18:19] op_sel:[0,0,1] op_sel_hi:[1,1,0]
	v_pk_fma_f32 v[4:5], v[4:5], v[16:17], v[18:19] op_sel:[0,0,1] op_sel_hi:[1,1,0] neg_lo:[0,0,1] neg_hi:[0,0,1]
	v_mov_b32_e32 v7, v59
	v_add_nc_u64_e32 v[18:19], v[62:63], v[0:1]
	v_mov_b32_e32 v5, v61
	s_delay_alu instid0(VALU_DEP_1)
	v_pk_add_f32 v[4:5], v[6:7], v[4:5]
	v_pk_mul_f32 v[6:7], v[54:55], v[8:9] op_sel_hi:[0,1]
	global_store_b64 v[18:19], v[4:5], off
	global_load_b64 v[4:5], v[14:15], off offset:128
	v_pk_fma_f32 v[56:57], v[52:53], v[12:13], v[6:7] op_sel_hi:[0,1,1]
	v_pk_fma_f32 v[6:7], v[52:53], v[12:13], v[6:7] neg_lo:[0,0,1] neg_hi:[0,0,1]
	s_wait_loadcnt 0x0
	v_pk_mul_f32 v[54:55], v[4:5], v[10:11]
	s_delay_alu instid0(VALU_DEP_1) | instskip(SKIP_1) | instid1(VALU_DEP_2)
	v_pk_fma_f32 v[58:59], v[4:5], v[16:17], v[54:55] op_sel:[0,0,1] op_sel_hi:[1,1,0]
	v_pk_fma_f32 v[4:5], v[4:5], v[16:17], v[54:55] op_sel:[0,0,1] op_sel_hi:[1,1,0] neg_lo:[0,0,1] neg_hi:[0,0,1]
	v_dual_mov_b32 v7, v57 :: v_dual_mov_b32 v5, v59
	s_delay_alu instid0(VALU_DEP_1)
	v_pk_add_f32 v[4:5], v[6:7], v[4:5]
	v_pk_mul_f32 v[6:7], v[50:51], v[8:9] op_sel_hi:[0,1]
	global_store_b64 v[18:19], v[4:5], off offset:128
	global_load_b64 v[4:5], v[14:15], off offset:256
	v_pk_fma_f32 v[52:53], v[48:49], v[12:13], v[6:7] op_sel_hi:[0,1,1]
	v_pk_fma_f32 v[6:7], v[48:49], v[12:13], v[6:7] neg_lo:[0,0,1] neg_hi:[0,0,1]
	s_wait_loadcnt 0x0
	v_pk_mul_f32 v[50:51], v[4:5], v[10:11]
	s_delay_alu instid0(VALU_DEP_1) | instskip(SKIP_1) | instid1(VALU_DEP_2)
	v_pk_fma_f32 v[54:55], v[4:5], v[16:17], v[50:51] op_sel:[0,0,1] op_sel_hi:[1,1,0]
	v_pk_fma_f32 v[4:5], v[4:5], v[16:17], v[50:51] op_sel:[0,0,1] op_sel_hi:[1,1,0] neg_lo:[0,0,1] neg_hi:[0,0,1]
	v_dual_mov_b32 v7, v53 :: v_dual_mov_b32 v5, v55
	s_delay_alu instid0(VALU_DEP_1)
	v_pk_add_f32 v[4:5], v[6:7], v[4:5]
	v_pk_mul_f32 v[6:7], v[46:47], v[8:9] op_sel_hi:[0,1]
	global_store_b64 v[18:19], v[4:5], off offset:256
	global_load_b64 v[4:5], v[14:15], off offset:384
	v_pk_fma_f32 v[46:47], v[44:45], v[12:13], v[6:7] op_sel_hi:[0,1,1]
	v_pk_fma_f32 v[6:7], v[44:45], v[12:13], v[6:7] neg_lo:[0,0,1] neg_hi:[0,0,1]
	v_add_nc_u64_e32 v[44:45], s[28:29], v[62:63]
	s_wait_loadcnt 0x0
	s_wait_xcnt 0x0
	v_pk_mul_f32 v[14:15], v[4:5], v[10:11]
	s_delay_alu instid0(VALU_DEP_1) | instskip(SKIP_1) | instid1(VALU_DEP_2)
	v_pk_fma_f32 v[48:49], v[4:5], v[16:17], v[14:15] op_sel:[0,0,1] op_sel_hi:[1,1,0]
	v_pk_fma_f32 v[4:5], v[4:5], v[16:17], v[14:15] op_sel:[0,0,1] op_sel_hi:[1,1,0] neg_lo:[0,0,1] neg_hi:[0,0,1]
	v_dual_mov_b32 v7, v47 :: v_dual_mov_b32 v5, v49
	s_delay_alu instid0(VALU_DEP_1)
	v_pk_add_f32 v[4:5], v[6:7], v[4:5]
	v_pk_mul_f32 v[6:7], v[42:43], v[8:9] op_sel_hi:[0,1]
	global_store_b64 v[18:19], v[4:5], off offset:384
	global_load_b64 v[4:5], v[2:3], off
	v_pk_fma_f32 v[18:19], v[40:41], v[12:13], v[6:7] op_sel_hi:[0,1,1]
	v_pk_fma_f32 v[6:7], v[40:41], v[12:13], v[6:7] neg_lo:[0,0,1] neg_hi:[0,0,1]
	s_wait_loadcnt 0x0
	v_pk_mul_f32 v[14:15], v[4:5], v[10:11]
	s_delay_alu instid0(VALU_DEP_1) | instskip(SKIP_3) | instid1(VALU_DEP_4)
	v_pk_fma_f32 v[42:43], v[4:5], v[16:17], v[14:15] op_sel:[0,0,1] op_sel_hi:[1,1,0]
	v_pk_fma_f32 v[4:5], v[4:5], v[16:17], v[14:15] op_sel:[0,0,1] op_sel_hi:[1,1,0] neg_lo:[0,0,1] neg_hi:[0,0,1]
	v_mov_b32_e32 v7, v19
	v_add_nc_u64_e32 v[14:15], v[44:45], v[0:1]
	v_mov_b32_e32 v5, v43
	s_delay_alu instid0(VALU_DEP_1)
	v_pk_add_f32 v[0:1], v[6:7], v[4:5]
	v_pk_mul_f32 v[4:5], v[38:39], v[8:9] op_sel_hi:[0,1]
	global_store_b64 v[14:15], v[0:1], off
	global_load_b64 v[0:1], v[2:3], off offset:128
	v_pk_fma_f32 v[18:19], v[36:37], v[12:13], v[4:5] op_sel_hi:[0,1,1]
	v_pk_fma_f32 v[4:5], v[36:37], v[12:13], v[4:5] neg_lo:[0,0,1] neg_hi:[0,0,1]
	s_wait_loadcnt 0x0
	v_pk_mul_f32 v[6:7], v[0:1], v[10:11]
	s_delay_alu instid0(VALU_DEP_1) | instskip(SKIP_1) | instid1(VALU_DEP_2)
	v_pk_fma_f32 v[40:41], v[0:1], v[16:17], v[6:7] op_sel:[0,0,1] op_sel_hi:[1,1,0]
	v_pk_fma_f32 v[0:1], v[0:1], v[16:17], v[6:7] op_sel:[0,0,1] op_sel_hi:[1,1,0] neg_lo:[0,0,1] neg_hi:[0,0,1]
	v_dual_mov_b32 v5, v19 :: v_dual_mov_b32 v1, v41
	s_delay_alu instid0(VALU_DEP_1)
	v_pk_add_f32 v[0:1], v[4:5], v[0:1]
	v_pk_mul_f32 v[4:5], v[34:35], v[8:9] op_sel_hi:[0,1]
	global_store_b64 v[14:15], v[0:1], off offset:128
	global_load_b64 v[0:1], v[2:3], off offset:256
	v_pk_fma_f32 v[8:9], v[32:33], v[12:13], v[4:5] op_sel_hi:[0,1,1]
	v_pk_fma_f32 v[4:5], v[32:33], v[12:13], v[4:5] neg_lo:[0,0,1] neg_hi:[0,0,1]
	s_wait_loadcnt 0x0
	v_pk_mul_f32 v[6:7], v[0:1], v[10:11]
	s_delay_alu instid0(VALU_DEP_1) | instskip(SKIP_2) | instid1(VALU_DEP_3)
	v_pk_fma_f32 v[10:11], v[0:1], v[16:17], v[6:7] op_sel:[0,0,1] op_sel_hi:[1,1,0]
	v_pk_fma_f32 v[0:1], v[0:1], v[16:17], v[6:7] op_sel:[0,0,1] op_sel_hi:[1,1,0] neg_lo:[0,0,1] neg_hi:[0,0,1]
	v_dual_mov_b32 v5, v9 :: v_dual_mul_f32 v7, s26, v30
	v_mov_b32_e32 v1, v11
	s_delay_alu instid0(VALU_DEP_2) | instskip(NEXT) | instid1(VALU_DEP_2)
	v_fma_f32 v7, -v31, s36, v7
	v_pk_add_f32 v[0:1], v[4:5], v[0:1]
	global_store_b64 v[14:15], v[0:1], off offset:256
	global_load_b64 v[0:1], v[2:3], off offset:384
	s_wait_xcnt 0x0
	v_mov_b64_e32 v[2:3], s[20:21]
	s_wait_loadcnt 0x0
	v_dual_mul_f32 v4, s35, v1 :: v_dual_mov_b32 v5, v0
	s_delay_alu instid0(VALU_DEP_1) | instskip(SKIP_1) | instid1(VALU_DEP_1)
	v_fma_f32 v6, v0, s34, -v4
	v_dual_mov_b32 v0, v31 :: v_dual_mov_b32 v4, v30
	v_pk_mul_f32 v[0:1], v[0:1], v[2:3]
	v_mov_b64_e32 v[2:3], s[6:7]
	s_delay_alu instid0(VALU_DEP_1) | instskip(SKIP_1) | instid1(VALU_DEP_2)
	v_pk_fma_f32 v[2:3], v[4:5], v[2:3], v[0:1]
	v_add_nc_u64_e32 v[0:1], 0x180, v[14:15]
	v_dual_add_f32 v4, v7, v6 :: v_dual_add_f32 v2, v2, v3
	global_store_b32 v[14:15], v4, off offset:384
	s_branch .LBB503_2
.LBB503_10:
	s_sendmsg sendmsg(MSG_DEALLOC_VGPRS)
	s_endpgm
	.section	.rodata,"a",@progbits
	.p2align	6, 0x0
	.amdhsa_kernel _ZN12_GLOBAL__N_127rocblas_gemm_batched_kernelI19rocblas_complex_numIfELi16ELi16ELi64ELi64ELi4ELi64ELi4ELi4ELi64ELc78ELc84EKS2_S3_S2_EEvlllT_PT11_llS6_llS4_PT12_llPT13_lli
		.amdhsa_group_segment_fixed_size 4096
		.amdhsa_private_segment_fixed_size 0
		.amdhsa_kernarg_size 140
		.amdhsa_user_sgpr_count 2
		.amdhsa_user_sgpr_dispatch_ptr 0
		.amdhsa_user_sgpr_queue_ptr 0
		.amdhsa_user_sgpr_kernarg_segment_ptr 1
		.amdhsa_user_sgpr_dispatch_id 0
		.amdhsa_user_sgpr_kernarg_preload_length 0
		.amdhsa_user_sgpr_kernarg_preload_offset 0
		.amdhsa_user_sgpr_private_segment_size 0
		.amdhsa_wavefront_size32 1
		.amdhsa_uses_dynamic_stack 0
		.amdhsa_enable_private_segment 0
		.amdhsa_system_sgpr_workgroup_id_x 1
		.amdhsa_system_sgpr_workgroup_id_y 1
		.amdhsa_system_sgpr_workgroup_id_z 1
		.amdhsa_system_sgpr_workgroup_info 0
		.amdhsa_system_vgpr_workitem_id 1
		.amdhsa_next_free_vgpr 193
		.amdhsa_next_free_sgpr 46
		.amdhsa_named_barrier_count 0
		.amdhsa_reserve_vcc 1
		.amdhsa_float_round_mode_32 0
		.amdhsa_float_round_mode_16_64 0
		.amdhsa_float_denorm_mode_32 3
		.amdhsa_float_denorm_mode_16_64 3
		.amdhsa_fp16_overflow 0
		.amdhsa_memory_ordered 1
		.amdhsa_forward_progress 1
		.amdhsa_inst_pref_size 48
		.amdhsa_round_robin_scheduling 0
		.amdhsa_exception_fp_ieee_invalid_op 0
		.amdhsa_exception_fp_denorm_src 0
		.amdhsa_exception_fp_ieee_div_zero 0
		.amdhsa_exception_fp_ieee_overflow 0
		.amdhsa_exception_fp_ieee_underflow 0
		.amdhsa_exception_fp_ieee_inexact 0
		.amdhsa_exception_int_div_zero 0
	.end_amdhsa_kernel
	.section	.text._ZN12_GLOBAL__N_127rocblas_gemm_batched_kernelI19rocblas_complex_numIfELi16ELi16ELi64ELi64ELi4ELi64ELi4ELi4ELi64ELc78ELc84EKS2_S3_S2_EEvlllT_PT11_llS6_llS4_PT12_llPT13_lli,"axG",@progbits,_ZN12_GLOBAL__N_127rocblas_gemm_batched_kernelI19rocblas_complex_numIfELi16ELi16ELi64ELi64ELi4ELi64ELi4ELi4ELi64ELc78ELc84EKS2_S3_S2_EEvlllT_PT11_llS6_llS4_PT12_llPT13_lli,comdat
.Lfunc_end503:
	.size	_ZN12_GLOBAL__N_127rocblas_gemm_batched_kernelI19rocblas_complex_numIfELi16ELi16ELi64ELi64ELi4ELi64ELi4ELi4ELi64ELc78ELc84EKS2_S3_S2_EEvlllT_PT11_llS6_llS4_PT12_llPT13_lli, .Lfunc_end503-_ZN12_GLOBAL__N_127rocblas_gemm_batched_kernelI19rocblas_complex_numIfELi16ELi16ELi64ELi64ELi4ELi64ELi4ELi4ELi64ELc78ELc84EKS2_S3_S2_EEvlllT_PT11_llS6_llS4_PT12_llPT13_lli
                                        ; -- End function
	.set _ZN12_GLOBAL__N_127rocblas_gemm_batched_kernelI19rocblas_complex_numIfELi16ELi16ELi64ELi64ELi4ELi64ELi4ELi4ELi64ELc78ELc84EKS2_S3_S2_EEvlllT_PT11_llS6_llS4_PT12_llPT13_lli.num_vgpr, 193
	.set _ZN12_GLOBAL__N_127rocblas_gemm_batched_kernelI19rocblas_complex_numIfELi16ELi16ELi64ELi64ELi4ELi64ELi4ELi4ELi64ELc78ELc84EKS2_S3_S2_EEvlllT_PT11_llS6_llS4_PT12_llPT13_lli.num_agpr, 0
	.set _ZN12_GLOBAL__N_127rocblas_gemm_batched_kernelI19rocblas_complex_numIfELi16ELi16ELi64ELi64ELi4ELi64ELi4ELi4ELi64ELc78ELc84EKS2_S3_S2_EEvlllT_PT11_llS6_llS4_PT12_llPT13_lli.numbered_sgpr, 46
	.set _ZN12_GLOBAL__N_127rocblas_gemm_batched_kernelI19rocblas_complex_numIfELi16ELi16ELi64ELi64ELi4ELi64ELi4ELi4ELi64ELc78ELc84EKS2_S3_S2_EEvlllT_PT11_llS6_llS4_PT12_llPT13_lli.num_named_barrier, 0
	.set _ZN12_GLOBAL__N_127rocblas_gemm_batched_kernelI19rocblas_complex_numIfELi16ELi16ELi64ELi64ELi4ELi64ELi4ELi4ELi64ELc78ELc84EKS2_S3_S2_EEvlllT_PT11_llS6_llS4_PT12_llPT13_lli.private_seg_size, 0
	.set _ZN12_GLOBAL__N_127rocblas_gemm_batched_kernelI19rocblas_complex_numIfELi16ELi16ELi64ELi64ELi4ELi64ELi4ELi4ELi64ELc78ELc84EKS2_S3_S2_EEvlllT_PT11_llS6_llS4_PT12_llPT13_lli.uses_vcc, 1
	.set _ZN12_GLOBAL__N_127rocblas_gemm_batched_kernelI19rocblas_complex_numIfELi16ELi16ELi64ELi64ELi4ELi64ELi4ELi4ELi64ELc78ELc84EKS2_S3_S2_EEvlllT_PT11_llS6_llS4_PT12_llPT13_lli.uses_flat_scratch, 0
	.set _ZN12_GLOBAL__N_127rocblas_gemm_batched_kernelI19rocblas_complex_numIfELi16ELi16ELi64ELi64ELi4ELi64ELi4ELi4ELi64ELc78ELc84EKS2_S3_S2_EEvlllT_PT11_llS6_llS4_PT12_llPT13_lli.has_dyn_sized_stack, 0
	.set _ZN12_GLOBAL__N_127rocblas_gemm_batched_kernelI19rocblas_complex_numIfELi16ELi16ELi64ELi64ELi4ELi64ELi4ELi4ELi64ELc78ELc84EKS2_S3_S2_EEvlllT_PT11_llS6_llS4_PT12_llPT13_lli.has_recursion, 0
	.set _ZN12_GLOBAL__N_127rocblas_gemm_batched_kernelI19rocblas_complex_numIfELi16ELi16ELi64ELi64ELi4ELi64ELi4ELi4ELi64ELc78ELc84EKS2_S3_S2_EEvlllT_PT11_llS6_llS4_PT12_llPT13_lli.has_indirect_call, 0
	.section	.AMDGPU.csdata,"",@progbits
; Kernel info:
; codeLenInByte = 6044
; TotalNumSgprs: 48
; NumVgprs: 193
; ScratchSize: 0
; MemoryBound: 0
; FloatMode: 240
; IeeeMode: 1
; LDSByteSize: 4096 bytes/workgroup (compile time only)
; SGPRBlocks: 0
; VGPRBlocks: 12
; NumSGPRsForWavesPerEU: 48
; NumVGPRsForWavesPerEU: 193
; NamedBarCnt: 0
; Occupancy: 4
; WaveLimiterHint : 1
; COMPUTE_PGM_RSRC2:SCRATCH_EN: 0
; COMPUTE_PGM_RSRC2:USER_SGPR: 2
; COMPUTE_PGM_RSRC2:TRAP_HANDLER: 0
; COMPUTE_PGM_RSRC2:TGID_X_EN: 1
; COMPUTE_PGM_RSRC2:TGID_Y_EN: 1
; COMPUTE_PGM_RSRC2:TGID_Z_EN: 1
; COMPUTE_PGM_RSRC2:TIDIG_COMP_CNT: 1
	.section	.text._ZN12_GLOBAL__N_127rocblas_gemm_batched_kernelI19rocblas_complex_numIfELi16ELi16ELi64ELi64ELi4ELi64ELi4ELi4ELi64ELc84ELc84EKS2_S3_S2_EEvlllT_PT11_llS6_llS4_PT12_llPT13_lli,"axG",@progbits,_ZN12_GLOBAL__N_127rocblas_gemm_batched_kernelI19rocblas_complex_numIfELi16ELi16ELi64ELi64ELi4ELi64ELi4ELi4ELi64ELc84ELc84EKS2_S3_S2_EEvlllT_PT11_llS6_llS4_PT12_llPT13_lli,comdat
	.globl	_ZN12_GLOBAL__N_127rocblas_gemm_batched_kernelI19rocblas_complex_numIfELi16ELi16ELi64ELi64ELi4ELi64ELi4ELi4ELi64ELc84ELc84EKS2_S3_S2_EEvlllT_PT11_llS6_llS4_PT12_llPT13_lli ; -- Begin function _ZN12_GLOBAL__N_127rocblas_gemm_batched_kernelI19rocblas_complex_numIfELi16ELi16ELi64ELi64ELi4ELi64ELi4ELi4ELi64ELc84ELc84EKS2_S3_S2_EEvlllT_PT11_llS6_llS4_PT12_llPT13_lli
	.p2align	8
	.type	_ZN12_GLOBAL__N_127rocblas_gemm_batched_kernelI19rocblas_complex_numIfELi16ELi16ELi64ELi64ELi4ELi64ELi4ELi4ELi64ELc84ELc84EKS2_S3_S2_EEvlllT_PT11_llS6_llS4_PT12_llPT13_lli,@function
_ZN12_GLOBAL__N_127rocblas_gemm_batched_kernelI19rocblas_complex_numIfELi16ELi16ELi64ELi64ELi4ELi64ELi4ELi4ELi64ELc84ELc84EKS2_S3_S2_EEvlllT_PT11_llS6_llS4_PT12_llPT13_lli: ; @_ZN12_GLOBAL__N_127rocblas_gemm_batched_kernelI19rocblas_complex_numIfELi16ELi16ELi64ELi64ELi4ELi64ELi4ELi4ELi64ELc84ELc84EKS2_S3_S2_EEvlllT_PT11_llS6_llS4_PT12_llPT13_lli
; %bb.0:
	s_load_b32 s33, s[0:1], 0x88
	s_bfe_u32 s2, ttmp6, 0x40014
	s_lshr_b32 s3, ttmp7, 16
	s_add_co_i32 s2, s2, 1
	s_bfe_u32 s4, ttmp6, 0x40008
	s_mul_i32 s2, s3, s2
	s_getreg_b32 s24, hwreg(HW_REG_IB_STS2, 6, 4)
	s_add_co_i32 s4, s4, s2
	s_cmp_eq_u32 s24, 0
	s_cselect_b32 s2, s3, s4
	s_mov_b32 s3, 0
	s_wait_kmcnt 0x0
	s_cmp_ge_i32 s2, s33
	s_cbranch_scc1 .LBB504_10
; %bb.1:
	v_bfe_u32 v2, v0, 10, 10
	v_and_b32_e32 v4, 0x3ff, v0
	s_bfe_u32 s25, ttmp6, 0x4000c
	s_bfe_u32 s27, ttmp6, 0x40010
	s_clause 0x2
	s_load_b256 s[12:19], s[0:1], 0x20
	s_load_b128 s[20:23], s[0:1], 0x78
	s_load_b256 s[4:11], s[0:1], 0x58
	s_add_co_i32 s25, s25, 1
	s_and_b32 s36, ttmp7, 0xffff
	s_add_co_i32 s27, s27, 1
	s_and_b32 s26, ttmp6, 15
	s_mul_i32 s25, ttmp9, s25
	s_mul_i32 s27, s36, s27
	s_bfe_u32 s37, ttmp6, 0x40004
	v_lshl_add_u32 v5, v2, 4, v4
	s_add_co_i32 s26, s26, s25
	s_add_co_i32 s37, s37, s27
	s_cmp_eq_u32 s24, 0
	v_dual_mov_b32 v3, 0 :: v_dual_bitop2_b32 v14, 3, v0 bitop3:0x40
	s_cselect_b32 s25, s36, s37
	s_cselect_b32 s24, ttmp9, s26
	v_dual_lshrrev_b32 v0, 2, v5 :: v_dual_bitop2_b32 v15, 63, v5 bitop3:0x40
	s_lshl_b32 s26, s25, 6
	s_ashr_i32 s25, s24, 31
	s_clause 0x1
	s_load_b128 s[28:31], s[0:1], 0x40
	s_load_b64 s[34:35], s[0:1], 0x50
	s_lshl_b64 s[36:37], s[24:25], 6
	s_delay_alu instid0(SALU_CYCLE_1) | instskip(SKIP_3) | instid1(VALU_DEP_3)
	v_dual_mov_b32 v1, v3 :: v_dual_bitop2_b32 v10, s36, v15 bitop3:0x54
	v_mov_b32_e32 v11, s37
	s_mov_b32 s27, s3
	v_dual_lshrrev_b32 v16, 6, v5 :: v_dual_lshlrev_b32 v15, 3, v15
	v_add_nc_u64_e32 v[6:7], s[26:27], v[0:1]
	v_add_nc_u64_e32 v[8:9], s[26:27], v[2:3]
	v_lshlrev_b32_e32 v1, 3, v14
	s_wait_kmcnt 0x0
	v_mul_u64_e32 v[10:11], s[14:15], v[10:11]
	s_load_b128 s[24:27], s[0:1], 0x10
	v_lshl_add_u32 v39, v2, 5, 0x800
	v_lshlrev_b32_e32 v2, 3, v16
	v_lshl_or_b32 v0, v0, 5, v1
	v_mul_u64_e32 v[12:13], s[6:7], v[8:9]
	v_mul_u64_e32 v[20:21], s[20:21], v[8:9]
	v_dual_mov_b32 v5, v3 :: v_dual_lshlrev_b32 v37, 3, v4
	v_mad_nc_u64_u32 v[6:7], s28, v14, v[6:7]
	s_wait_xcnt 0x0
	s_or_b32 s0, s34, s35
	v_add_nc_u32_e32 v35, 0x800, v0
	s_bitset0_b32 s0, 31
	v_add_nc_u64_e32 v[22:23], s[36:37], v[4:5]
	s_cmp_eq_u32 s0, 0
	v_lshl_or_b32 v33, v16, 9, v15
	s_cselect_b32 s1, -1, 0
	s_lshl_b64 s[40:41], s[20:21], 4
	s_lshl_b64 s[42:43], s[6:7], 4
	s_mov_b32 s7, s35
	v_mad_u32 v7, s29, v14, v7
	s_wait_kmcnt 0x0
	v_cmp_gt_i64_e64 s0, s[24:25], 0
	s_mov_b32 s14, s27
	s_mov_b32 s15, s26
	;; [unrolled: 1-line block ×9, first 2 shown]
	v_lshl_add_u64 v[28:29], v[6:7], 3, s[18:19]
	v_lshl_add_u64 v[0:1], v[10:11], 3, v[2:3]
	v_cndmask_b32_e64 v2, 0, 1, s0
	s_lshl_b64 s[18:19], s[42:43], 3
	s_delay_alu instid0(VALU_DEP_2) | instskip(SKIP_1) | instid1(VALU_DEP_3)
	v_add_nc_u64_e32 v[26:27], s[12:13], v[0:1]
	v_lshl_add_u64 v[24:25], v[12:13], 3, s[4:5]
	v_cmp_ne_u32_e64 s0, 1, v2
	s_lshl_b64 s[4:5], s[16:17], 3
	s_lshl_b64 s[12:13], s[30:31], 3
	;; [unrolled: 1-line block ×4, first 2 shown]
	s_branch .LBB504_3
.LBB504_2:                              ;   in Loop: Header=BB504_3 Depth=1
	s_add_co_i32 s2, s2, 0x10000
	global_store_b32 v[0:1], v2, off offset:4
	s_cmp_lt_i32 s2, s33
	s_cbranch_scc0 .LBB504_10
.LBB504_3:                              ; =>This Loop Header: Depth=1
                                        ;     Child Loop BB504_5 Depth 2
	v_dual_mov_b32 v31, 0 :: v_dual_mov_b32 v30, 0
	v_dual_mov_b32 v88, 0 :: v_dual_mov_b32 v90, 0
	;; [unrolled: 1-line block ×16, first 2 shown]
	s_and_b32 vcc_lo, exec_lo, s0
	s_cbranch_vccnz .LBB504_6
; %bb.4:                                ;   in Loop: Header=BB504_3 Depth=1
	v_mad_nc_u64_u32 v[92:93], s4, s2, v[26:27]
	v_mad_nc_u64_u32 v[94:95], s12, s2, v[28:29]
	v_dual_mov_b32 v34, 0 :: v_dual_mov_b32 v32, 0
	v_dual_mov_b32 v38, 0 :: v_dual_mov_b32 v36, 0
	;; [unrolled: 1-line block ×5, first 2 shown]
	v_mad_u32 v93, s5, s2, v93
	v_mad_u32 v95, s13, s2, v95
	v_dual_mov_b32 v54, 0 :: v_dual_mov_b32 v52, 0
	v_dual_mov_b32 v58, 0 :: v_dual_mov_b32 v56, 0
	;; [unrolled: 1-line block ×11, first 2 shown]
	s_mov_b64 s[30:31], 0
.LBB504_5:                              ;   Parent Loop BB504_3 Depth=1
                                        ; =>  This Inner Loop Header: Depth=2
	global_load_b64 v[0:1], v[92:93], off
	global_load_b64 v[2:3], v[94:95], off
	s_add_nc_u64 s[30:31], s[30:31], 4
	s_wait_xcnt 0x1
	v_add_nc_u64_e32 v[92:93], 32, v[92:93]
	v_cmp_lt_i64_e64 s40, s[30:31], s[24:25]
	s_wait_xcnt 0x0
	v_add_nc_u64_e32 v[94:95], s[16:17], v[94:95]
	s_wait_loadcnt 0x1
	ds_store_b64 v33, v[0:1]
	s_wait_loadcnt 0x0
	ds_store_b64 v35, v[2:3]
	s_wait_dscnt 0x0
	s_barrier_signal -1
	s_barrier_wait -1
	ds_load_2addr_b64 v[0:3], v37 offset1:16
	ds_load_b128 v[8:11], v39
	ds_load_2addr_b64 v[4:7], v37 offset0:32 offset1:48
	ds_load_2addr_b64 v[12:15], v37 offset0:64 offset1:80
	;; [unrolled: 1-line block ×3, first 2 shown]
	ds_load_b128 v[96:99], v39 offset:16
	ds_load_2addr_b64 v[100:103], v37 offset0:128 offset1:144
	ds_load_2addr_b64 v[104:107], v37 offset0:160 offset1:176
	;; [unrolled: 1-line block ×4, first 2 shown]
	ds_load_b128 v[116:119], v39 offset:512
	ds_load_b128 v[120:123], v39 offset:528
	ds_load_b128 v[124:127], v39 offset:1024
	ds_load_b128 v[128:131], v39 offset:1040
	ds_load_b128 v[132:135], v39 offset:1536
	ds_load_b128 v[136:139], v39 offset:1552
	s_and_b32 vcc_lo, exec_lo, s40
	s_wait_dscnt 0x0
	s_barrier_signal -1
	s_barrier_wait -1
	v_dual_mul_f32 v41, v9, v1 :: v_dual_mul_f32 v43, v8, v1
	v_dual_mul_f32 v45, v9, v3 :: v_dual_mul_f32 v47, v8, v3
	v_dual_mul_f32 v49, v9, v5 :: v_dual_mul_f32 v51, v8, v5
	v_dual_mul_f32 v53, v9, v7 :: v_dual_mul_f32 v55, v8, v7
	v_dual_mul_f32 v57, v11, v13 :: v_dual_mul_f32 v59, v10, v13
	v_dual_mul_f32 v61, v11, v15 :: v_dual_mul_f32 v63, v10, v15
	v_dual_mul_f32 v65, v11, v17 :: v_dual_mul_f32 v67, v10, v17
	v_dual_mul_f32 v69, v11, v19 :: v_dual_mul_f32 v71, v10, v19
	v_dual_mul_f32 v73, v117, v1 :: v_dual_mul_f32 v75, v116, v1
	v_dual_mul_f32 v77, v117, v3 :: v_dual_mul_f32 v79, v116, v3
	v_dual_mul_f32 v81, v117, v5 :: v_dual_mul_f32 v83, v116, v5
	v_dual_mul_f32 v85, v117, v7 :: v_dual_mul_f32 v87, v116, v7
	v_dual_mul_f32 v89, v119, v13 :: v_dual_mul_f32 v91, v118, v13
	v_dual_mul_f32 v140, v119, v15 :: v_dual_mul_f32 v141, v118, v15
	v_dual_mul_f32 v142, v119, v17 :: v_dual_mul_f32 v143, v118, v17
	v_dual_mul_f32 v144, v119, v19 :: v_dual_mul_f32 v145, v118, v19
	v_dual_mul_f32 v146, v125, v1 :: v_dual_mul_f32 v147, v124, v1
	v_dual_mul_f32 v148, v125, v3 :: v_dual_mul_f32 v149, v124, v3
	v_dual_mul_f32 v150, v125, v5 :: v_dual_mul_f32 v151, v124, v5
	v_dual_mul_f32 v152, v125, v7 :: v_dual_mul_f32 v153, v124, v7
	v_dual_mul_f32 v154, v127, v13 :: v_dual_mul_f32 v155, v126, v13
	v_dual_mul_f32 v156, v127, v15 :: v_dual_mul_f32 v157, v126, v15
	v_dual_mul_f32 v158, v127, v17 :: v_dual_mul_f32 v159, v126, v17
	v_dual_mul_f32 v160, v127, v19 :: v_dual_mul_f32 v161, v126, v19
	v_dual_mul_f32 v162, v133, v1 :: v_dual_mul_f32 v163, v132, v1
	v_dual_mul_f32 v1, v133, v3 :: v_dual_mul_f32 v164, v132, v3
	v_dual_mul_f32 v3, v133, v5 :: v_dual_mul_f32 v165, v132, v5
	v_dual_fma_f32 v41, v8, v0, -v41 :: v_dual_fmac_f32 v43, v9, v0
	v_dual_fma_f32 v45, v8, v2, -v45 :: v_dual_fmac_f32 v47, v9, v2
	;; [unrolled: 1-line block ×8, first 2 shown]
	v_pk_mul_f32 v[8:9], v[132:133], v[6:7] op_sel:[1,1] op_sel_hi:[0,1]
	v_dual_mul_f32 v5, v135, v13 :: v_dual_mul_f32 v166, v134, v13
	v_dual_mov_b32 v10, v135 :: v_dual_mov_b32 v11, v134
	v_dual_fma_f32 v73, v116, v0, -v73 :: v_dual_fmac_f32 v75, v117, v0
	v_dual_fma_f32 v77, v116, v2, -v77 :: v_dual_fmac_f32 v79, v117, v2
	;; [unrolled: 1-line block ×19, first 2 shown]
	v_pk_fma_f32 v[0:1], v[132:133], v[6:7], v[8:9] neg_lo:[0,0,1] neg_hi:[0,0,1]
	v_pk_fma_f32 v[2:3], v[132:133], v[6:7], v[8:9] op_sel_hi:[1,0,1]
	v_dual_fma_f32 v133, v134, v12, -v5 :: v_dual_fmac_f32 v166, v135, v12
	v_pk_mul_f32 v[4:5], v[10:11], v[18:19] op_sel:[0,1]
	v_dual_mul_f32 v13, v135, v15 :: v_dual_mul_f32 v119, v134, v15
	v_dual_mul_f32 v15, v135, v17 :: v_dual_mul_f32 v17, v134, v17
	;; [unrolled: 1-line block ×4, first 2 shown]
	v_pk_fma_f32 v[6:7], v[134:135], v[18:19], v[4:5] neg_lo:[0,0,1] neg_hi:[0,0,1]
	v_pk_fma_f32 v[4:5], v[134:135], v[18:19], v[4:5] op_sel_hi:[1,0,1]
	v_dual_mul_f32 v127, v97, v101 :: v_dual_mul_f32 v150, v96, v101
	v_dual_mul_f32 v8, v97, v107 :: v_dual_mul_f32 v132, v96, v107
	v_dual_fma_f32 v162, v134, v14, -v13 :: v_dual_fmac_f32 v119, v135, v14
	v_dual_mul_f32 v9, v99, v109 :: v_dual_mul_f32 v167, v98, v109
	v_dual_fma_f32 v168, v134, v16, -v15 :: v_dual_fmac_f32 v17, v135, v16
	v_dual_mul_f32 v4, v99, v111 :: v_dual_mul_f32 v16, v98, v111
	v_dual_mul_f32 v7, v99, v113 :: v_dual_mul_f32 v18, v98, v113
	;; [unrolled: 1-line block ×3, first 2 shown]
	v_dual_fma_f32 v135, v96, v102, -v156 :: v_dual_fmac_f32 v158, v97, v102
	v_dual_fma_f32 v156, v96, v104, -v1 :: v_dual_fmac_f32 v2, v97, v104
	v_dual_mul_f32 v1, v121, v103 :: v_dual_mul_f32 v11, v121, v101
	v_mul_f32_e32 v134, v120, v101
	v_dual_fma_f32 v127, v96, v100, -v127 :: v_dual_fmac_f32 v150, v97, v100
	v_fma_f32 v96, v96, v106, -v8
	v_dual_fmac_f32 v132, v97, v106 :: v_dual_fmac_f32 v167, v99, v108
	v_dual_fma_f32 v97, v98, v108, -v9 :: v_dual_fma_f32 v4, v98, v110, -v4
	v_dual_fma_f32 v169, v98, v112, -v7 :: v_dual_fmac_f32 v16, v99, v110
	v_fmac_f32_e32 v18, v99, v112
	v_dual_fma_f32 v98, v98, v114, -v10 :: v_dual_fmac_f32 v19, v99, v114
	v_dual_mul_f32 v99, v120, v103 :: v_dual_mul_f32 v7, v121, v105
	v_dual_mul_f32 v170, v120, v105 :: v_dual_fma_f32 v172, v120, v102, -v1
	v_dual_mul_f32 v1, v121, v107 :: v_dual_fma_f32 v171, v120, v100, -v11
	v_fmac_f32_e32 v134, v121, v100
	s_delay_alu instid0(VALU_DEP_3) | instskip(NEXT) | instid1(VALU_DEP_3)
	v_dual_fma_f32 v173, v120, v104, -v7 :: v_dual_fmac_f32 v170, v121, v104
	v_dual_fma_f32 v174, v120, v106, -v1 :: v_dual_mul_f32 v120, v120, v107
	v_dual_mul_f32 v1, v123, v109 :: v_dual_mul_f32 v175, v122, v109
	v_dual_fmac_f32 v99, v121, v102 :: v_dual_mul_f32 v177, v122, v111
	s_delay_alu instid0(VALU_DEP_2) | instskip(NEXT) | instid1(VALU_DEP_3)
	v_dual_fmac_f32 v120, v121, v106 :: v_dual_fma_f32 v121, v122, v108, -v1
	v_dual_fmac_f32 v175, v123, v108 :: v_dual_mul_f32 v1, v123, v111
	s_delay_alu instid0(VALU_DEP_3) | instskip(SKIP_1) | instid1(VALU_DEP_3)
	v_dual_fmac_f32 v177, v123, v110 :: v_dual_mul_f32 v179, v122, v113
	v_dual_mul_f32 v181, v128, v101 :: v_dual_mul_f32 v183, v128, v103
	v_dual_fma_f32 v176, v122, v110, -v1 :: v_dual_mul_f32 v1, v123, v113
	s_delay_alu instid0(VALU_DEP_3) | instskip(NEXT) | instid1(VALU_DEP_3)
	v_fmac_f32_e32 v179, v123, v112
	v_dual_fmac_f32 v181, v129, v100 :: v_dual_mul_f32 v185, v128, v105
	s_delay_alu instid0(VALU_DEP_3) | instskip(SKIP_1) | instid1(VALU_DEP_3)
	v_dual_fmac_f32 v183, v129, v102 :: v_dual_fma_f32 v178, v122, v112, -v1
	v_dual_mul_f32 v1, v123, v115 :: v_dual_mul_f32 v187, v130, v109
	v_dual_fmac_f32 v185, v129, v104 :: v_dual_mul_f32 v189, v130, v111
	v_mul_f32_e32 v191, v130, v113
	s_delay_alu instid0(VALU_DEP_3) | instskip(NEXT) | instid1(VALU_DEP_3)
	v_dual_fma_f32 v180, v122, v114, -v1 :: v_dual_mul_f32 v122, v122, v115
	v_dual_mul_f32 v1, v129, v101 :: v_dual_fmac_f32 v189, v131, v110
	v_fmac_f32_e32 v187, v131, v108
	s_delay_alu instid0(VALU_DEP_4) | instskip(NEXT) | instid1(VALU_DEP_3)
	v_fmac_f32_e32 v191, v131, v112
	v_dual_fmac_f32 v122, v123, v114 :: v_dual_fma_f32 v123, v128, v100, -v1
	v_mul_f32_e32 v1, v129, v103
	v_pk_mul_f32 v[8:9], v[136:137], v[106:107] op_sel:[1,1] op_sel_hi:[0,1]
	v_dual_mov_b32 v12, v139 :: v_dual_mov_b32 v13, v138
	v_add_f32_e32 v36, v36, v154
	s_delay_alu instid0(VALU_DEP_4) | instskip(NEXT) | instid1(VALU_DEP_4)
	v_dual_fma_f32 v182, v128, v102, -v1 :: v_dual_mul_f32 v1, v129, v105
	v_pk_fma_f32 v[10:11], v[136:137], v[106:107], v[8:9] neg_lo:[0,0,1] neg_hi:[0,0,1]
	v_pk_fma_f32 v[8:9], v[136:137], v[106:107], v[8:9] op_sel_hi:[1,0,1]
	v_pk_mul_f32 v[12:13], v[12:13], v[114:115] op_sel:[0,1]
	v_add_f32_e32 v72, v72, v75
	v_dual_fma_f32 v184, v128, v104, -v1 :: v_dual_mul_f32 v1, v129, v107
	v_dual_add_f32 v68, v68, v77 :: v_dual_add_f32 v70, v70, v79
	s_delay_alu instid0(VALU_DEP_4) | instskip(SKIP_1) | instid1(VALU_DEP_4)
	v_pk_fma_f32 v[14:15], v[138:139], v[114:115], v[12:13] neg_lo:[0,0,1] neg_hi:[0,0,1]
	v_pk_fma_f32 v[12:13], v[138:139], v[114:115], v[12:13] op_sel_hi:[1,0,1]
	v_dual_fma_f32 v186, v128, v106, -v1 :: v_dual_mul_f32 v128, v128, v107
	v_dual_mul_f32 v1, v131, v109 :: v_dual_mul_f32 v107, v138, v111
	v_dual_add_f32 v12, v88, v41 :: v_dual_add_f32 v41, v90, v43
	s_delay_alu instid0(VALU_DEP_2) | instskip(SKIP_3) | instid1(VALU_DEP_3)
	v_dual_fmac_f32 v128, v129, v106 :: v_dual_fma_f32 v129, v130, v108, -v1
	v_dual_mul_f32 v1, v131, v111 :: v_dual_add_f32 v43, v84, v45
	v_add_f32_e32 v45, v86, v47
	v_dual_add_f32 v47, v82, v49 :: v_dual_add_f32 v49, v80, v51
	v_dual_fma_f32 v188, v130, v110, -v1 :: v_dual_mul_f32 v1, v131, v113
	v_dual_add_f32 v51, v76, v53 :: v_dual_add_f32 v53, v78, v55
	v_add_f32_e32 v55, v74, v73
	v_dual_add_f32 v64, v64, v81 :: v_dual_add_f32 v66, v66, v83
	s_delay_alu instid0(VALU_DEP_4) | instskip(SKIP_2) | instid1(VALU_DEP_3)
	v_dual_fma_f32 v190, v130, v112, -v1 :: v_dual_mul_f32 v1, v131, v115
	v_dual_add_f32 v60, v60, v85 :: v_dual_add_f32 v62, v62, v87
	v_dual_add_f32 v56, v56, v140 :: v_dual_add_f32 v58, v58, v147
	v_dual_fma_f32 v192, v130, v114, -v1 :: v_dual_mul_f32 v130, v130, v115
	v_dual_mul_f32 v1, v137, v101 :: v_dual_mul_f32 v101, v136, v101
	v_dual_add_f32 v52, v52, v142 :: v_dual_add_f32 v54, v54, v149
	s_delay_alu instid0(VALU_DEP_2) | instskip(NEXT) | instid1(VALU_DEP_3)
	v_dual_fmac_f32 v130, v131, v114 :: v_dual_fma_f32 v131, v136, v100, -v1
	v_dual_mul_f32 v1, v137, v103 :: v_dual_fmac_f32 v101, v137, v100
	v_mul_f32_e32 v103, v136, v103
	v_dual_add_f32 v48, v48, v144 :: v_dual_add_f32 v50, v50, v151
	s_delay_alu instid0(VALU_DEP_3) | instskip(NEXT) | instid1(VALU_DEP_3)
	v_dual_fma_f32 v100, v136, v102, -v1 :: v_dual_mul_f32 v1, v137, v105
	v_dual_mul_f32 v105, v136, v105 :: v_dual_fmac_f32 v103, v137, v102
	v_dual_add_f32 v44, v44, v124 :: v_dual_add_f32 v46, v46, v153
	s_delay_alu instid0(VALU_DEP_3) | instskip(NEXT) | instid1(VALU_DEP_3)
	v_dual_fma_f32 v102, v136, v104, -v1 :: v_dual_mul_f32 v1, v139, v109
	v_dual_fmac_f32 v105, v137, v104 :: v_dual_mul_f32 v104, v138, v109
	v_dual_mul_f32 v109, v138, v113 :: v_dual_add_f32 v40, v40, v152
	v_add_f32_e32 v42, v42, v163
	s_delay_alu instid0(VALU_DEP_3) | instskip(NEXT) | instid1(VALU_DEP_3)
	v_dual_fma_f32 v8, v138, v108, -v1 :: v_dual_fmac_f32 v104, v139, v108
	v_dual_mul_f32 v1, v139, v111 :: v_dual_fmac_f32 v109, v139, v112
	v_dual_add_f32 v32, v32, v160 :: v_dual_add_f32 v34, v34, v165
	v_dual_mov_b32 v7, v5 :: v_dual_mov_b32 v15, v13
	s_delay_alu instid0(VALU_DEP_3) | instskip(SKIP_3) | instid1(VALU_DEP_3)
	v_dual_fma_f32 v106, v138, v110, -v1 :: v_dual_fmac_f32 v107, v139, v110
	v_dual_mul_f32 v1, v139, v113 :: v_dual_mov_b32 v11, v9
	v_dual_add_f32 v5, v12, v57 :: v_dual_add_f32 v9, v41, v59
	v_dual_add_f32 v12, v43, v61 :: v_dual_add_f32 v13, v45, v63
	v_dual_fma_f32 v108, v138, v112, -v1 :: v_dual_mov_b32 v1, v3
	v_dual_add_f32 v3, v38, v164 :: v_dual_add_f32 v38, v51, v69
	v_dual_add_f32 v41, v53, v71 :: v_dual_add_f32 v43, v55, v89
	v_add_f32_e32 v45, v72, v91
	s_delay_alu instid0(VALU_DEP_4)
	v_pk_add_f32 v[0:1], v[30:31], v[0:1]
	v_dual_add_f32 v30, v47, v65 :: v_dual_add_f32 v31, v49, v67
	v_dual_add_f32 v47, v68, v116 :: v_dual_add_f32 v49, v70, v141
	;; [unrolled: 1-line block ×11, first 2 shown]
	v_pk_add_f32 v[0:1], v[0:1], v[6:7]
	v_add_f32_e32 v5, v5, v127
	v_dual_add_f32 v6, v9, v150 :: v_dual_add_f32 v7, v12, v135
	v_dual_add_f32 v9, v13, v158 :: v_dual_add_f32 v13, v38, v96
	;; [unrolled: 1-line block ×6, first 2 shown]
	v_add_f32_e32 v45, v53, v170
	v_dual_add_f32 v47, v55, v174 :: v_dual_add_f32 v49, v57, v120
	v_dual_add_f32 v51, v56, v123 :: v_dual_add_f32 v53, v58, v181
	v_dual_add_f32 v52, v52, v182 :: v_dual_add_f32 v54, v54, v183
	v_dual_add_f32 v48, v48, v184 :: v_dual_add_f32 v50, v50, v185
	v_dual_add_f32 v44, v44, v186 :: v_dual_add_f32 v46, v46, v128
	v_dual_add_f32 v40, v40, v131 :: v_dual_add_f32 v42, v42, v101
	v_dual_add_f32 v36, v36, v100 :: v_dual_add_f32 v3, v3, v103
	v_dual_add_f32 v32, v32, v102 :: v_dual_add_f32 v17, v17, v105
	v_pk_add_f32 v[0:1], v[0:1], v[10:11]
	v_dual_add_f32 v88, v5, v97 :: v_dual_add_f32 v90, v6, v167
	v_dual_add_f32 v84, v7, v4 :: v_dual_add_f32 v82, v12, v169
	;; [unrolled: 1-line block ×15, first 2 shown]
	v_pk_add_f32 v[30:31], v[0:1], v[14:15]
	s_cbranch_vccnz .LBB504_5
.LBB504_6:                              ;   in Loop: Header=BB504_3 Depth=1
	s_mul_u64 s[30:31], s[22:23], s[2:3]
	s_and_not1_b32 vcc_lo, exec_lo, s1
	s_lshl_b64 s[30:31], s[30:31], 3
	s_mov_b32 s40, -1
	s_add_nc_u64 s[30:31], s[10:11], s[30:31]
                                        ; implicit-def: $vgpr2
                                        ; implicit-def: $vgpr0_vgpr1
	s_cbranch_vccz .LBB504_8
; %bb.7:                                ;   in Loop: Header=BB504_3 Depth=1
	s_and_not1_b32 vcc_lo, exec_lo, s40
	s_cbranch_vccnz .LBB504_2
	s_branch .LBB504_9
.LBB504_8:                              ;   in Loop: Header=BB504_3 Depth=1
	s_wait_xcnt 0x0
	v_mov_b64_e32 v[0:1], s[14:15]
	v_mov_b64_e32 v[6:7], s[26:27]
	v_lshlrev_b64_e32 v[2:3], 3, v[22:23]
	v_lshl_add_u64 v[4:5], v[20:21], 3, s[30:31]
	s_delay_alu instid0(VALU_DEP_4)
	v_pk_mul_f32 v[8:9], v[90:91], v[0:1] op_sel_hi:[0,1]
	v_pk_mul_f32 v[10:11], v[86:87], v[0:1] op_sel_hi:[0,1]
	;; [unrolled: 1-line block ×4, first 2 shown]
	v_add_nc_u64_e32 v[16:17], v[4:5], v[2:3]
	v_pk_fma_f32 v[18:19], v[88:89], v[6:7], v[8:9] neg_lo:[0,0,1] neg_hi:[0,0,1]
	v_pk_fma_f32 v[8:9], v[88:89], v[6:7], v[8:9] op_sel_hi:[0,1,1]
	v_pk_fma_f32 v[92:93], v[84:85], v[6:7], v[10:11] op_sel_hi:[0,1,1]
	;; [unrolled: 1-line block ×4, first 2 shown]
	v_pk_fma_f32 v[10:11], v[84:85], v[6:7], v[10:11] neg_lo:[0,0,1] neg_hi:[0,0,1]
	s_delay_alu instid0(VALU_DEP_4)
	v_dual_mov_b32 v19, v9 :: v_dual_mov_b32 v11, v93
	v_pk_fma_f32 v[8:9], v[82:83], v[6:7], v[12:13] neg_lo:[0,0,1] neg_hi:[0,0,1]
	v_mov_b32_e32 v9, v95
	v_pk_fma_f32 v[12:13], v[76:77], v[6:7], v[14:15] neg_lo:[0,0,1] neg_hi:[0,0,1]
	v_mov_b32_e32 v13, v97
	v_pk_mul_f32 v[14:15], v[72:73], v[0:1] op_sel_hi:[0,1]
	s_clause 0x3
	global_store_b64 v[16:17], v[18:19], off
	global_store_b64 v[16:17], v[10:11], off offset:128
	global_store_b64 v[16:17], v[8:9], off offset:256
	;; [unrolled: 1-line block ×3, first 2 shown]
	s_wait_xcnt 0x1
	v_pk_mul_f32 v[8:9], v[70:71], v[0:1] op_sel_hi:[0,1]
	s_wait_xcnt 0x0
	v_pk_mul_f32 v[16:17], v[66:67], v[0:1] op_sel_hi:[0,1]
	v_add_nc_u64_e32 v[4:5], s[28:29], v[4:5]
	v_pk_fma_f32 v[12:13], v[74:75], v[6:7], v[14:15] op_sel_hi:[0,1,1]
	v_pk_mul_f32 v[92:93], v[62:63], v[0:1] op_sel_hi:[0,1]
	v_pk_fma_f32 v[18:19], v[68:69], v[6:7], v[8:9] op_sel_hi:[0,1,1]
	v_pk_fma_f32 v[14:15], v[74:75], v[6:7], v[14:15] neg_lo:[0,0,1] neg_hi:[0,0,1]
	v_pk_fma_f32 v[8:9], v[68:69], v[6:7], v[8:9] neg_lo:[0,0,1] neg_hi:[0,0,1]
	v_mov_b32_e32 v15, v13
	v_pk_fma_f32 v[12:13], v[64:65], v[6:7], v[16:17] op_sel_hi:[0,1,1]
	v_mov_b32_e32 v9, v19
	v_pk_fma_f32 v[18:19], v[60:61], v[6:7], v[92:93] op_sel_hi:[0,1,1]
	v_add_nc_u64_e32 v[10:11], v[4:5], v[2:3]
	v_pk_fma_f32 v[16:17], v[64:65], v[6:7], v[16:17] neg_lo:[0,0,1] neg_hi:[0,0,1]
	v_mov_b32_e32 v17, v13
	v_pk_fma_f32 v[12:13], v[60:61], v[6:7], v[92:93] neg_lo:[0,0,1] neg_hi:[0,0,1]
	v_mov_b32_e32 v13, v19
	v_pk_mul_f32 v[18:19], v[58:59], v[0:1] op_sel_hi:[0,1]
	v_add_nc_u64_e32 v[4:5], s[28:29], v[4:5]
	s_clause 0x3
	global_store_b64 v[10:11], v[14:15], off
	global_store_b64 v[10:11], v[8:9], off offset:128
	global_store_b64 v[10:11], v[16:17], off offset:256
	global_store_b64 v[10:11], v[12:13], off offset:384
	s_wait_xcnt 0x0
	v_pk_mul_f32 v[10:11], v[54:55], v[0:1] op_sel_hi:[0,1]
	v_pk_mul_f32 v[14:15], v[50:51], v[0:1] op_sel_hi:[0,1]
	v_pk_fma_f32 v[12:13], v[56:57], v[6:7], v[18:19] op_sel_hi:[0,1,1]
	v_pk_fma_f32 v[16:17], v[56:57], v[6:7], v[18:19] neg_lo:[0,0,1] neg_hi:[0,0,1]
	v_pk_mul_f32 v[18:19], v[46:47], v[0:1] op_sel_hi:[0,1]
	v_pk_fma_f32 v[92:93], v[52:53], v[6:7], v[10:11] op_sel_hi:[0,1,1]
	v_add_nc_u64_e32 v[8:9], v[4:5], v[2:3]
	v_mov_b32_e32 v17, v13
	v_pk_fma_f32 v[12:13], v[48:49], v[6:7], v[14:15] op_sel_hi:[0,1,1]
	v_pk_fma_f32 v[94:95], v[44:45], v[6:7], v[18:19] op_sel_hi:[0,1,1]
	v_pk_fma_f32 v[10:11], v[52:53], v[6:7], v[10:11] neg_lo:[0,0,1] neg_hi:[0,0,1]
	v_mov_b32_e32 v11, v93
	v_pk_fma_f32 v[14:15], v[48:49], v[6:7], v[14:15] neg_lo:[0,0,1] neg_hi:[0,0,1]
	v_mov_b32_e32 v15, v13
	;; [unrolled: 2-line block ×3, first 2 shown]
	v_add_nc_u64_e32 v[4:5], s[28:29], v[4:5]
	v_pk_mul_f32 v[18:19], v[42:43], v[0:1] op_sel_hi:[0,1]
	s_clause 0x3
	global_store_b64 v[8:9], v[16:17], off
	global_store_b64 v[8:9], v[10:11], off offset:128
	global_store_b64 v[8:9], v[14:15], off offset:256
	;; [unrolled: 1-line block ×3, first 2 shown]
	s_wait_xcnt 0x0
	v_pk_mul_f32 v[8:9], v[38:39], v[0:1] op_sel_hi:[0,1]
	v_pk_fma_f32 v[10:11], v[40:41], v[6:7], v[18:19] op_sel_hi:[0,1,1]
	v_add_nc_u64_e32 v[4:5], v[4:5], v[2:3]
	v_pk_mul_f32 v[2:3], v[34:35], v[0:1] op_sel_hi:[0,1]
	s_delay_alu instid0(VALU_DEP_4)
	v_pk_fma_f32 v[14:15], v[36:37], v[6:7], v[8:9] op_sel_hi:[0,1,1]
	v_pk_fma_f32 v[12:13], v[40:41], v[6:7], v[18:19] neg_lo:[0,0,1] neg_hi:[0,0,1]
	v_pk_fma_f32 v[8:9], v[36:37], v[6:7], v[8:9] neg_lo:[0,0,1] neg_hi:[0,0,1]
	v_mov_b32_e32 v13, v11
	v_pk_fma_f32 v[10:11], v[32:33], v[6:7], v[2:3] op_sel_hi:[0,1,1]
	v_mov_b32_e32 v9, v15
	v_pk_mul_f32 v[14:15], v[30:31], v[0:1]
	v_mul_f32_e32 v10, s26, v30
	v_add_nc_u64_e32 v[0:1], 0x180, v[4:5]
	v_pk_fma_f32 v[6:7], v[32:33], v[6:7], v[2:3] neg_lo:[0,0,1] neg_hi:[0,0,1]
	s_delay_alu instid0(VALU_DEP_4) | instskip(NEXT) | instid1(VALU_DEP_4)
	v_dual_mov_b32 v7, v11 :: v_dual_add_f32 v2, v14, v15
	v_fma_f32 v3, -v31, s14, v10
	s_clause 0x3
	global_store_b64 v[4:5], v[12:13], off
	global_store_b64 v[4:5], v[8:9], off offset:128
	global_store_b64 v[4:5], v[6:7], off offset:256
	global_store_b32 v[4:5], v3, off offset:384
	s_cbranch_execnz .LBB504_2
.LBB504_9:                              ;   in Loop: Header=BB504_3 Depth=1
	s_mul_u64 s[40:41], s[8:9], s[2:3]
	s_wait_xcnt 0x0
	v_lshlrev_b64_e32 v[0:1], 3, v[22:23]
	s_wait_xcnt 0x0
	v_lshl_add_u64 v[2:3], s[40:41], 3, v[24:25]
	v_mov_b64_e32 v[8:9], s[14:15]
	v_mov_b64_e32 v[10:11], s[38:39]
	;; [unrolled: 1-line block ×4, first 2 shown]
	v_lshl_add_u64 v[94:95], v[20:21], 3, s[30:31]
	v_add_nc_u64_e32 v[4:5], v[2:3], v[0:1]
	v_add_nc_u64_e32 v[2:3], s[18:19], v[2:3]
	v_pk_mul_f32 v[14:15], v[90:91], v[8:9] op_sel_hi:[0,1]
	s_delay_alu instid0(VALU_DEP_1) | instskip(SKIP_4) | instid1(VALU_DEP_1)
	v_pk_fma_f32 v[90:91], v[88:89], v[12:13], v[14:15] op_sel_hi:[0,1,1]
	global_load_b64 v[6:7], v[4:5], off
	v_pk_fma_f32 v[14:15], v[88:89], v[12:13], v[14:15] neg_lo:[0,0,1] neg_hi:[0,0,1]
	s_wait_loadcnt 0x0
	v_pk_mul_f32 v[18:19], v[6:7], v[10:11]
	v_pk_fma_f32 v[92:93], v[6:7], v[16:17], v[18:19] op_sel:[0,0,1] op_sel_hi:[1,1,0]
	v_pk_fma_f32 v[6:7], v[6:7], v[16:17], v[18:19] op_sel:[0,0,1] op_sel_hi:[1,1,0] neg_lo:[0,0,1] neg_hi:[0,0,1]
	v_mov_b32_e32 v15, v91
	v_add_nc_u64_e32 v[18:19], v[94:95], v[0:1]
	s_delay_alu instid0(VALU_DEP_4) | instskip(NEXT) | instid1(VALU_DEP_1)
	v_mov_b32_e32 v7, v93
	v_pk_add_f32 v[6:7], v[14:15], v[6:7]
	v_pk_mul_f32 v[14:15], v[86:87], v[8:9] op_sel_hi:[0,1]
	global_store_b64 v[18:19], v[6:7], off
	global_load_b64 v[6:7], v[4:5], off offset:128
	v_pk_fma_f32 v[88:89], v[84:85], v[12:13], v[14:15] op_sel_hi:[0,1,1]
	v_pk_fma_f32 v[14:15], v[84:85], v[12:13], v[14:15] neg_lo:[0,0,1] neg_hi:[0,0,1]
	s_wait_loadcnt 0x0
	v_pk_mul_f32 v[86:87], v[6:7], v[10:11]
	s_delay_alu instid0(VALU_DEP_1) | instskip(SKIP_1) | instid1(VALU_DEP_2)
	v_pk_fma_f32 v[90:91], v[6:7], v[16:17], v[86:87] op_sel:[0,0,1] op_sel_hi:[1,1,0]
	v_pk_fma_f32 v[6:7], v[6:7], v[16:17], v[86:87] op_sel:[0,0,1] op_sel_hi:[1,1,0] neg_lo:[0,0,1] neg_hi:[0,0,1]
	v_dual_mov_b32 v15, v89 :: v_dual_mov_b32 v7, v91
	s_delay_alu instid0(VALU_DEP_1)
	v_pk_add_f32 v[6:7], v[14:15], v[6:7]
	v_pk_mul_f32 v[14:15], v[80:81], v[8:9] op_sel_hi:[0,1]
	global_store_b64 v[18:19], v[6:7], off offset:128
	global_load_b64 v[6:7], v[4:5], off offset:256
	v_pk_fma_f32 v[84:85], v[82:83], v[12:13], v[14:15] op_sel_hi:[0,1,1]
	v_pk_fma_f32 v[14:15], v[82:83], v[12:13], v[14:15] neg_lo:[0,0,1] neg_hi:[0,0,1]
	s_wait_loadcnt 0x0
	v_pk_mul_f32 v[80:81], v[6:7], v[10:11]
	s_delay_alu instid0(VALU_DEP_1) | instskip(SKIP_1) | instid1(VALU_DEP_2)
	v_pk_fma_f32 v[86:87], v[6:7], v[16:17], v[80:81] op_sel:[0,0,1] op_sel_hi:[1,1,0]
	v_pk_fma_f32 v[6:7], v[6:7], v[16:17], v[80:81] op_sel:[0,0,1] op_sel_hi:[1,1,0] neg_lo:[0,0,1] neg_hi:[0,0,1]
	v_dual_mov_b32 v15, v85 :: v_dual_mov_b32 v7, v87
	s_delay_alu instid0(VALU_DEP_1) | instskip(SKIP_4) | instid1(VALU_DEP_1)
	v_pk_add_f32 v[6:7], v[14:15], v[6:7]
	global_store_b64 v[18:19], v[6:7], off offset:256
	global_load_b64 v[4:5], v[4:5], off offset:384
	s_wait_xcnt 0x1
	v_pk_mul_f32 v[6:7], v[78:79], v[8:9] op_sel_hi:[0,1]
	v_pk_fma_f32 v[78:79], v[76:77], v[12:13], v[6:7] op_sel_hi:[0,1,1]
	v_pk_fma_f32 v[6:7], v[76:77], v[12:13], v[6:7] neg_lo:[0,0,1] neg_hi:[0,0,1]
	s_wait_loadcnt 0x0
	v_pk_mul_f32 v[14:15], v[4:5], v[10:11]
	s_delay_alu instid0(VALU_DEP_1)
	v_pk_fma_f32 v[80:81], v[4:5], v[16:17], v[14:15] op_sel:[0,0,1] op_sel_hi:[1,1,0]
	s_wait_xcnt 0x0
	v_pk_fma_f32 v[4:5], v[4:5], v[16:17], v[14:15] op_sel:[0,0,1] op_sel_hi:[1,1,0] neg_lo:[0,0,1] neg_hi:[0,0,1]
	v_mov_b32_e32 v7, v79
	v_add_nc_u64_e32 v[14:15], v[2:3], v[0:1]
	v_add_nc_u64_e32 v[78:79], s[28:29], v[94:95]
	v_mov_b32_e32 v5, v81
	v_add_nc_u64_e32 v[2:3], s[18:19], v[2:3]
	s_delay_alu instid0(VALU_DEP_2)
	v_pk_add_f32 v[4:5], v[6:7], v[4:5]
	v_pk_mul_f32 v[6:7], v[72:73], v[8:9] op_sel_hi:[0,1]
	global_store_b64 v[18:19], v[4:5], off offset:384
	global_load_b64 v[4:5], v[14:15], off
	v_pk_fma_f32 v[72:73], v[74:75], v[12:13], v[6:7] op_sel_hi:[0,1,1]
	v_pk_fma_f32 v[6:7], v[74:75], v[12:13], v[6:7] neg_lo:[0,0,1] neg_hi:[0,0,1]
	s_wait_loadcnt 0x0
	v_pk_mul_f32 v[18:19], v[4:5], v[10:11]
	s_delay_alu instid0(VALU_DEP_1) | instskip(SKIP_3) | instid1(VALU_DEP_4)
	v_pk_fma_f32 v[76:77], v[4:5], v[16:17], v[18:19] op_sel:[0,0,1] op_sel_hi:[1,1,0]
	v_pk_fma_f32 v[4:5], v[4:5], v[16:17], v[18:19] op_sel:[0,0,1] op_sel_hi:[1,1,0] neg_lo:[0,0,1] neg_hi:[0,0,1]
	v_mov_b32_e32 v7, v73
	v_add_nc_u64_e32 v[18:19], v[78:79], v[0:1]
	v_mov_b32_e32 v5, v77
	s_delay_alu instid0(VALU_DEP_1)
	v_pk_add_f32 v[4:5], v[6:7], v[4:5]
	v_pk_mul_f32 v[6:7], v[70:71], v[8:9] op_sel_hi:[0,1]
	global_store_b64 v[18:19], v[4:5], off
	global_load_b64 v[4:5], v[14:15], off offset:128
	v_pk_fma_f32 v[72:73], v[68:69], v[12:13], v[6:7] op_sel_hi:[0,1,1]
	v_pk_fma_f32 v[6:7], v[68:69], v[12:13], v[6:7] neg_lo:[0,0,1] neg_hi:[0,0,1]
	s_wait_loadcnt 0x0
	v_pk_mul_f32 v[70:71], v[4:5], v[10:11]
	s_delay_alu instid0(VALU_DEP_1) | instskip(SKIP_1) | instid1(VALU_DEP_2)
	v_pk_fma_f32 v[74:75], v[4:5], v[16:17], v[70:71] op_sel:[0,0,1] op_sel_hi:[1,1,0]
	v_pk_fma_f32 v[4:5], v[4:5], v[16:17], v[70:71] op_sel:[0,0,1] op_sel_hi:[1,1,0] neg_lo:[0,0,1] neg_hi:[0,0,1]
	v_dual_mov_b32 v7, v73 :: v_dual_mov_b32 v5, v75
	s_delay_alu instid0(VALU_DEP_1)
	v_pk_add_f32 v[4:5], v[6:7], v[4:5]
	v_pk_mul_f32 v[6:7], v[66:67], v[8:9] op_sel_hi:[0,1]
	global_store_b64 v[18:19], v[4:5], off offset:128
	global_load_b64 v[4:5], v[14:15], off offset:256
	v_pk_fma_f32 v[68:69], v[64:65], v[12:13], v[6:7] op_sel_hi:[0,1,1]
	v_pk_fma_f32 v[6:7], v[64:65], v[12:13], v[6:7] neg_lo:[0,0,1] neg_hi:[0,0,1]
	s_wait_loadcnt 0x0
	v_pk_mul_f32 v[66:67], v[4:5], v[10:11]
	s_delay_alu instid0(VALU_DEP_1) | instskip(SKIP_1) | instid1(VALU_DEP_2)
	v_pk_fma_f32 v[70:71], v[4:5], v[16:17], v[66:67] op_sel:[0,0,1] op_sel_hi:[1,1,0]
	v_pk_fma_f32 v[4:5], v[4:5], v[16:17], v[66:67] op_sel:[0,0,1] op_sel_hi:[1,1,0] neg_lo:[0,0,1] neg_hi:[0,0,1]
	v_dual_mov_b32 v7, v69 :: v_dual_mov_b32 v5, v71
	s_delay_alu instid0(VALU_DEP_1)
	v_pk_add_f32 v[4:5], v[6:7], v[4:5]
	v_pk_mul_f32 v[6:7], v[62:63], v[8:9] op_sel_hi:[0,1]
	global_store_b64 v[18:19], v[4:5], off offset:256
	global_load_b64 v[4:5], v[14:15], off offset:384
	v_pk_fma_f32 v[62:63], v[60:61], v[12:13], v[6:7] op_sel_hi:[0,1,1]
	v_pk_fma_f32 v[6:7], v[60:61], v[12:13], v[6:7] neg_lo:[0,0,1] neg_hi:[0,0,1]
	s_wait_loadcnt 0x0
	s_wait_xcnt 0x0
	v_pk_mul_f32 v[14:15], v[4:5], v[10:11]
	s_delay_alu instid0(VALU_DEP_1)
	v_pk_fma_f32 v[64:65], v[4:5], v[16:17], v[14:15] op_sel:[0,0,1] op_sel_hi:[1,1,0]
	v_pk_fma_f32 v[4:5], v[4:5], v[16:17], v[14:15] op_sel:[0,0,1] op_sel_hi:[1,1,0] neg_lo:[0,0,1] neg_hi:[0,0,1]
	v_mov_b32_e32 v7, v63
	v_add_nc_u64_e32 v[14:15], v[2:3], v[0:1]
	v_add_nc_u64_e32 v[62:63], s[28:29], v[78:79]
	v_mov_b32_e32 v5, v65
	v_add_nc_u64_e32 v[2:3], s[18:19], v[2:3]
	s_delay_alu instid0(VALU_DEP_2) | instskip(SKIP_1) | instid1(VALU_DEP_3)
	v_pk_add_f32 v[4:5], v[6:7], v[4:5]
	v_pk_mul_f32 v[6:7], v[58:59], v[8:9] op_sel_hi:[0,1]
	v_add_nc_u64_e32 v[2:3], v[2:3], v[0:1]
	global_store_b64 v[18:19], v[4:5], off offset:384
	global_load_b64 v[4:5], v[14:15], off
	v_pk_fma_f32 v[58:59], v[56:57], v[12:13], v[6:7] op_sel_hi:[0,1,1]
	v_pk_fma_f32 v[6:7], v[56:57], v[12:13], v[6:7] neg_lo:[0,0,1] neg_hi:[0,0,1]
	s_wait_loadcnt 0x0
	v_pk_mul_f32 v[18:19], v[4:5], v[10:11]
	s_delay_alu instid0(VALU_DEP_1) | instskip(SKIP_3) | instid1(VALU_DEP_4)
	v_pk_fma_f32 v[60:61], v[4:5], v[16:17], v[18:19] op_sel:[0,0,1] op_sel_hi:[1,1,0]
	v_pk_fma_f32 v[4:5], v[4:5], v[16:17], v[18:19] op_sel:[0,0,1] op_sel_hi:[1,1,0] neg_lo:[0,0,1] neg_hi:[0,0,1]
	v_mov_b32_e32 v7, v59
	v_add_nc_u64_e32 v[18:19], v[62:63], v[0:1]
	v_mov_b32_e32 v5, v61
	s_delay_alu instid0(VALU_DEP_1)
	v_pk_add_f32 v[4:5], v[6:7], v[4:5]
	v_pk_mul_f32 v[6:7], v[54:55], v[8:9] op_sel_hi:[0,1]
	global_store_b64 v[18:19], v[4:5], off
	global_load_b64 v[4:5], v[14:15], off offset:128
	v_pk_fma_f32 v[56:57], v[52:53], v[12:13], v[6:7] op_sel_hi:[0,1,1]
	v_pk_fma_f32 v[6:7], v[52:53], v[12:13], v[6:7] neg_lo:[0,0,1] neg_hi:[0,0,1]
	s_wait_loadcnt 0x0
	v_pk_mul_f32 v[54:55], v[4:5], v[10:11]
	s_delay_alu instid0(VALU_DEP_1) | instskip(SKIP_1) | instid1(VALU_DEP_2)
	v_pk_fma_f32 v[58:59], v[4:5], v[16:17], v[54:55] op_sel:[0,0,1] op_sel_hi:[1,1,0]
	v_pk_fma_f32 v[4:5], v[4:5], v[16:17], v[54:55] op_sel:[0,0,1] op_sel_hi:[1,1,0] neg_lo:[0,0,1] neg_hi:[0,0,1]
	v_dual_mov_b32 v7, v57 :: v_dual_mov_b32 v5, v59
	s_delay_alu instid0(VALU_DEP_1)
	v_pk_add_f32 v[4:5], v[6:7], v[4:5]
	v_pk_mul_f32 v[6:7], v[50:51], v[8:9] op_sel_hi:[0,1]
	global_store_b64 v[18:19], v[4:5], off offset:128
	global_load_b64 v[4:5], v[14:15], off offset:256
	v_pk_fma_f32 v[52:53], v[48:49], v[12:13], v[6:7] op_sel_hi:[0,1,1]
	v_pk_fma_f32 v[6:7], v[48:49], v[12:13], v[6:7] neg_lo:[0,0,1] neg_hi:[0,0,1]
	s_wait_loadcnt 0x0
	v_pk_mul_f32 v[50:51], v[4:5], v[10:11]
	s_delay_alu instid0(VALU_DEP_1) | instskip(SKIP_1) | instid1(VALU_DEP_2)
	v_pk_fma_f32 v[54:55], v[4:5], v[16:17], v[50:51] op_sel:[0,0,1] op_sel_hi:[1,1,0]
	v_pk_fma_f32 v[4:5], v[4:5], v[16:17], v[50:51] op_sel:[0,0,1] op_sel_hi:[1,1,0] neg_lo:[0,0,1] neg_hi:[0,0,1]
	v_dual_mov_b32 v7, v53 :: v_dual_mov_b32 v5, v55
	s_delay_alu instid0(VALU_DEP_1)
	v_pk_add_f32 v[4:5], v[6:7], v[4:5]
	v_pk_mul_f32 v[6:7], v[46:47], v[8:9] op_sel_hi:[0,1]
	global_store_b64 v[18:19], v[4:5], off offset:256
	global_load_b64 v[4:5], v[14:15], off offset:384
	v_pk_fma_f32 v[46:47], v[44:45], v[12:13], v[6:7] op_sel_hi:[0,1,1]
	v_pk_fma_f32 v[6:7], v[44:45], v[12:13], v[6:7] neg_lo:[0,0,1] neg_hi:[0,0,1]
	v_add_nc_u64_e32 v[44:45], s[28:29], v[62:63]
	s_wait_loadcnt 0x0
	s_wait_xcnt 0x0
	v_pk_mul_f32 v[14:15], v[4:5], v[10:11]
	s_delay_alu instid0(VALU_DEP_1) | instskip(SKIP_1) | instid1(VALU_DEP_2)
	v_pk_fma_f32 v[48:49], v[4:5], v[16:17], v[14:15] op_sel:[0,0,1] op_sel_hi:[1,1,0]
	v_pk_fma_f32 v[4:5], v[4:5], v[16:17], v[14:15] op_sel:[0,0,1] op_sel_hi:[1,1,0] neg_lo:[0,0,1] neg_hi:[0,0,1]
	v_dual_mov_b32 v7, v47 :: v_dual_mov_b32 v5, v49
	s_delay_alu instid0(VALU_DEP_1)
	v_pk_add_f32 v[4:5], v[6:7], v[4:5]
	v_pk_mul_f32 v[6:7], v[42:43], v[8:9] op_sel_hi:[0,1]
	global_store_b64 v[18:19], v[4:5], off offset:384
	global_load_b64 v[4:5], v[2:3], off
	v_pk_fma_f32 v[18:19], v[40:41], v[12:13], v[6:7] op_sel_hi:[0,1,1]
	v_pk_fma_f32 v[6:7], v[40:41], v[12:13], v[6:7] neg_lo:[0,0,1] neg_hi:[0,0,1]
	s_wait_loadcnt 0x0
	v_pk_mul_f32 v[14:15], v[4:5], v[10:11]
	s_delay_alu instid0(VALU_DEP_1) | instskip(SKIP_3) | instid1(VALU_DEP_4)
	v_pk_fma_f32 v[42:43], v[4:5], v[16:17], v[14:15] op_sel:[0,0,1] op_sel_hi:[1,1,0]
	v_pk_fma_f32 v[4:5], v[4:5], v[16:17], v[14:15] op_sel:[0,0,1] op_sel_hi:[1,1,0] neg_lo:[0,0,1] neg_hi:[0,0,1]
	v_mov_b32_e32 v7, v19
	v_add_nc_u64_e32 v[14:15], v[44:45], v[0:1]
	v_mov_b32_e32 v5, v43
	s_delay_alu instid0(VALU_DEP_1)
	v_pk_add_f32 v[0:1], v[6:7], v[4:5]
	v_pk_mul_f32 v[4:5], v[38:39], v[8:9] op_sel_hi:[0,1]
	global_store_b64 v[14:15], v[0:1], off
	global_load_b64 v[0:1], v[2:3], off offset:128
	v_pk_fma_f32 v[18:19], v[36:37], v[12:13], v[4:5] op_sel_hi:[0,1,1]
	v_pk_fma_f32 v[4:5], v[36:37], v[12:13], v[4:5] neg_lo:[0,0,1] neg_hi:[0,0,1]
	s_wait_loadcnt 0x0
	v_pk_mul_f32 v[6:7], v[0:1], v[10:11]
	s_delay_alu instid0(VALU_DEP_1) | instskip(SKIP_1) | instid1(VALU_DEP_2)
	v_pk_fma_f32 v[40:41], v[0:1], v[16:17], v[6:7] op_sel:[0,0,1] op_sel_hi:[1,1,0]
	v_pk_fma_f32 v[0:1], v[0:1], v[16:17], v[6:7] op_sel:[0,0,1] op_sel_hi:[1,1,0] neg_lo:[0,0,1] neg_hi:[0,0,1]
	v_dual_mov_b32 v5, v19 :: v_dual_mov_b32 v1, v41
	s_delay_alu instid0(VALU_DEP_1)
	v_pk_add_f32 v[0:1], v[4:5], v[0:1]
	v_pk_mul_f32 v[4:5], v[34:35], v[8:9] op_sel_hi:[0,1]
	global_store_b64 v[14:15], v[0:1], off offset:128
	global_load_b64 v[0:1], v[2:3], off offset:256
	v_pk_fma_f32 v[8:9], v[32:33], v[12:13], v[4:5] op_sel_hi:[0,1,1]
	v_pk_fma_f32 v[4:5], v[32:33], v[12:13], v[4:5] neg_lo:[0,0,1] neg_hi:[0,0,1]
	s_wait_loadcnt 0x0
	v_pk_mul_f32 v[6:7], v[0:1], v[10:11]
	s_delay_alu instid0(VALU_DEP_1) | instskip(SKIP_2) | instid1(VALU_DEP_3)
	v_pk_fma_f32 v[10:11], v[0:1], v[16:17], v[6:7] op_sel:[0,0,1] op_sel_hi:[1,1,0]
	v_pk_fma_f32 v[0:1], v[0:1], v[16:17], v[6:7] op_sel:[0,0,1] op_sel_hi:[1,1,0] neg_lo:[0,0,1] neg_hi:[0,0,1]
	v_dual_mov_b32 v5, v9 :: v_dual_mul_f32 v7, s26, v30
	v_mov_b32_e32 v1, v11
	s_delay_alu instid0(VALU_DEP_2) | instskip(NEXT) | instid1(VALU_DEP_2)
	v_fma_f32 v7, -v31, s14, v7
	v_pk_add_f32 v[0:1], v[4:5], v[0:1]
	global_store_b64 v[14:15], v[0:1], off offset:256
	global_load_b64 v[0:1], v[2:3], off offset:384
	s_wait_xcnt 0x0
	v_mov_b64_e32 v[2:3], s[20:21]
	s_wait_loadcnt 0x0
	v_dual_mul_f32 v4, s35, v1 :: v_dual_mov_b32 v5, v0
	s_delay_alu instid0(VALU_DEP_1) | instskip(SKIP_1) | instid1(VALU_DEP_1)
	v_fma_f32 v6, v0, s34, -v4
	v_dual_mov_b32 v0, v31 :: v_dual_mov_b32 v4, v30
	v_pk_mul_f32 v[0:1], v[0:1], v[2:3]
	v_mov_b64_e32 v[2:3], s[6:7]
	s_delay_alu instid0(VALU_DEP_1) | instskip(SKIP_1) | instid1(VALU_DEP_2)
	v_pk_fma_f32 v[2:3], v[4:5], v[2:3], v[0:1]
	v_add_nc_u64_e32 v[0:1], 0x180, v[14:15]
	v_dual_add_f32 v4, v7, v6 :: v_dual_add_f32 v2, v2, v3
	global_store_b32 v[14:15], v4, off offset:384
	s_branch .LBB504_2
.LBB504_10:
	s_sendmsg sendmsg(MSG_DEALLOC_VGPRS)
	s_endpgm
	.section	.rodata,"a",@progbits
	.p2align	6, 0x0
	.amdhsa_kernel _ZN12_GLOBAL__N_127rocblas_gemm_batched_kernelI19rocblas_complex_numIfELi16ELi16ELi64ELi64ELi4ELi64ELi4ELi4ELi64ELc84ELc84EKS2_S3_S2_EEvlllT_PT11_llS6_llS4_PT12_llPT13_lli
		.amdhsa_group_segment_fixed_size 4096
		.amdhsa_private_segment_fixed_size 0
		.amdhsa_kernarg_size 140
		.amdhsa_user_sgpr_count 2
		.amdhsa_user_sgpr_dispatch_ptr 0
		.amdhsa_user_sgpr_queue_ptr 0
		.amdhsa_user_sgpr_kernarg_segment_ptr 1
		.amdhsa_user_sgpr_dispatch_id 0
		.amdhsa_user_sgpr_kernarg_preload_length 0
		.amdhsa_user_sgpr_kernarg_preload_offset 0
		.amdhsa_user_sgpr_private_segment_size 0
		.amdhsa_wavefront_size32 1
		.amdhsa_uses_dynamic_stack 0
		.amdhsa_enable_private_segment 0
		.amdhsa_system_sgpr_workgroup_id_x 1
		.amdhsa_system_sgpr_workgroup_id_y 1
		.amdhsa_system_sgpr_workgroup_id_z 1
		.amdhsa_system_sgpr_workgroup_info 0
		.amdhsa_system_vgpr_workitem_id 1
		.amdhsa_next_free_vgpr 193
		.amdhsa_next_free_sgpr 44
		.amdhsa_named_barrier_count 0
		.amdhsa_reserve_vcc 1
		.amdhsa_float_round_mode_32 0
		.amdhsa_float_round_mode_16_64 0
		.amdhsa_float_denorm_mode_32 3
		.amdhsa_float_denorm_mode_16_64 3
		.amdhsa_fp16_overflow 0
		.amdhsa_memory_ordered 1
		.amdhsa_forward_progress 1
		.amdhsa_inst_pref_size 48
		.amdhsa_round_robin_scheduling 0
		.amdhsa_exception_fp_ieee_invalid_op 0
		.amdhsa_exception_fp_denorm_src 0
		.amdhsa_exception_fp_ieee_div_zero 0
		.amdhsa_exception_fp_ieee_overflow 0
		.amdhsa_exception_fp_ieee_underflow 0
		.amdhsa_exception_fp_ieee_inexact 0
		.amdhsa_exception_int_div_zero 0
	.end_amdhsa_kernel
	.section	.text._ZN12_GLOBAL__N_127rocblas_gemm_batched_kernelI19rocblas_complex_numIfELi16ELi16ELi64ELi64ELi4ELi64ELi4ELi4ELi64ELc84ELc84EKS2_S3_S2_EEvlllT_PT11_llS6_llS4_PT12_llPT13_lli,"axG",@progbits,_ZN12_GLOBAL__N_127rocblas_gemm_batched_kernelI19rocblas_complex_numIfELi16ELi16ELi64ELi64ELi4ELi64ELi4ELi4ELi64ELc84ELc84EKS2_S3_S2_EEvlllT_PT11_llS6_llS4_PT12_llPT13_lli,comdat
.Lfunc_end504:
	.size	_ZN12_GLOBAL__N_127rocblas_gemm_batched_kernelI19rocblas_complex_numIfELi16ELi16ELi64ELi64ELi4ELi64ELi4ELi4ELi64ELc84ELc84EKS2_S3_S2_EEvlllT_PT11_llS6_llS4_PT12_llPT13_lli, .Lfunc_end504-_ZN12_GLOBAL__N_127rocblas_gemm_batched_kernelI19rocblas_complex_numIfELi16ELi16ELi64ELi64ELi4ELi64ELi4ELi4ELi64ELc84ELc84EKS2_S3_S2_EEvlllT_PT11_llS6_llS4_PT12_llPT13_lli
                                        ; -- End function
	.set _ZN12_GLOBAL__N_127rocblas_gemm_batched_kernelI19rocblas_complex_numIfELi16ELi16ELi64ELi64ELi4ELi64ELi4ELi4ELi64ELc84ELc84EKS2_S3_S2_EEvlllT_PT11_llS6_llS4_PT12_llPT13_lli.num_vgpr, 193
	.set _ZN12_GLOBAL__N_127rocblas_gemm_batched_kernelI19rocblas_complex_numIfELi16ELi16ELi64ELi64ELi4ELi64ELi4ELi4ELi64ELc84ELc84EKS2_S3_S2_EEvlllT_PT11_llS6_llS4_PT12_llPT13_lli.num_agpr, 0
	.set _ZN12_GLOBAL__N_127rocblas_gemm_batched_kernelI19rocblas_complex_numIfELi16ELi16ELi64ELi64ELi4ELi64ELi4ELi4ELi64ELc84ELc84EKS2_S3_S2_EEvlllT_PT11_llS6_llS4_PT12_llPT13_lli.numbered_sgpr, 44
	.set _ZN12_GLOBAL__N_127rocblas_gemm_batched_kernelI19rocblas_complex_numIfELi16ELi16ELi64ELi64ELi4ELi64ELi4ELi4ELi64ELc84ELc84EKS2_S3_S2_EEvlllT_PT11_llS6_llS4_PT12_llPT13_lli.num_named_barrier, 0
	.set _ZN12_GLOBAL__N_127rocblas_gemm_batched_kernelI19rocblas_complex_numIfELi16ELi16ELi64ELi64ELi4ELi64ELi4ELi4ELi64ELc84ELc84EKS2_S3_S2_EEvlllT_PT11_llS6_llS4_PT12_llPT13_lli.private_seg_size, 0
	.set _ZN12_GLOBAL__N_127rocblas_gemm_batched_kernelI19rocblas_complex_numIfELi16ELi16ELi64ELi64ELi4ELi64ELi4ELi4ELi64ELc84ELc84EKS2_S3_S2_EEvlllT_PT11_llS6_llS4_PT12_llPT13_lli.uses_vcc, 1
	.set _ZN12_GLOBAL__N_127rocblas_gemm_batched_kernelI19rocblas_complex_numIfELi16ELi16ELi64ELi64ELi4ELi64ELi4ELi4ELi64ELc84ELc84EKS2_S3_S2_EEvlllT_PT11_llS6_llS4_PT12_llPT13_lli.uses_flat_scratch, 0
	.set _ZN12_GLOBAL__N_127rocblas_gemm_batched_kernelI19rocblas_complex_numIfELi16ELi16ELi64ELi64ELi4ELi64ELi4ELi4ELi64ELc84ELc84EKS2_S3_S2_EEvlllT_PT11_llS6_llS4_PT12_llPT13_lli.has_dyn_sized_stack, 0
	.set _ZN12_GLOBAL__N_127rocblas_gemm_batched_kernelI19rocblas_complex_numIfELi16ELi16ELi64ELi64ELi4ELi64ELi4ELi4ELi64ELc84ELc84EKS2_S3_S2_EEvlllT_PT11_llS6_llS4_PT12_llPT13_lli.has_recursion, 0
	.set _ZN12_GLOBAL__N_127rocblas_gemm_batched_kernelI19rocblas_complex_numIfELi16ELi16ELi64ELi64ELi4ELi64ELi4ELi4ELi64ELc84ELc84EKS2_S3_S2_EEvlllT_PT11_llS6_llS4_PT12_llPT13_lli.has_indirect_call, 0
	.section	.AMDGPU.csdata,"",@progbits
; Kernel info:
; codeLenInByte = 6048
; TotalNumSgprs: 46
; NumVgprs: 193
; ScratchSize: 0
; MemoryBound: 0
; FloatMode: 240
; IeeeMode: 1
; LDSByteSize: 4096 bytes/workgroup (compile time only)
; SGPRBlocks: 0
; VGPRBlocks: 12
; NumSGPRsForWavesPerEU: 46
; NumVGPRsForWavesPerEU: 193
; NamedBarCnt: 0
; Occupancy: 4
; WaveLimiterHint : 1
; COMPUTE_PGM_RSRC2:SCRATCH_EN: 0
; COMPUTE_PGM_RSRC2:USER_SGPR: 2
; COMPUTE_PGM_RSRC2:TRAP_HANDLER: 0
; COMPUTE_PGM_RSRC2:TGID_X_EN: 1
; COMPUTE_PGM_RSRC2:TGID_Y_EN: 1
; COMPUTE_PGM_RSRC2:TGID_Z_EN: 1
; COMPUTE_PGM_RSRC2:TIDIG_COMP_CNT: 1
	.section	.text._ZN12_GLOBAL__N_127rocblas_gemm_batched_kernelI19rocblas_complex_numIfELi16ELi16ELi64ELi64ELi4ELi64ELi4ELi4ELi64ELc67ELc67EKS2_S3_S2_EEvlllT_PT11_llS6_llS4_PT12_llPT13_lli,"axG",@progbits,_ZN12_GLOBAL__N_127rocblas_gemm_batched_kernelI19rocblas_complex_numIfELi16ELi16ELi64ELi64ELi4ELi64ELi4ELi4ELi64ELc67ELc67EKS2_S3_S2_EEvlllT_PT11_llS6_llS4_PT12_llPT13_lli,comdat
	.globl	_ZN12_GLOBAL__N_127rocblas_gemm_batched_kernelI19rocblas_complex_numIfELi16ELi16ELi64ELi64ELi4ELi64ELi4ELi4ELi64ELc67ELc67EKS2_S3_S2_EEvlllT_PT11_llS6_llS4_PT12_llPT13_lli ; -- Begin function _ZN12_GLOBAL__N_127rocblas_gemm_batched_kernelI19rocblas_complex_numIfELi16ELi16ELi64ELi64ELi4ELi64ELi4ELi4ELi64ELc67ELc67EKS2_S3_S2_EEvlllT_PT11_llS6_llS4_PT12_llPT13_lli
	.p2align	8
	.type	_ZN12_GLOBAL__N_127rocblas_gemm_batched_kernelI19rocblas_complex_numIfELi16ELi16ELi64ELi64ELi4ELi64ELi4ELi4ELi64ELc67ELc67EKS2_S3_S2_EEvlllT_PT11_llS6_llS4_PT12_llPT13_lli,@function
_ZN12_GLOBAL__N_127rocblas_gemm_batched_kernelI19rocblas_complex_numIfELi16ELi16ELi64ELi64ELi4ELi64ELi4ELi4ELi64ELc67ELc67EKS2_S3_S2_EEvlllT_PT11_llS6_llS4_PT12_llPT13_lli: ; @_ZN12_GLOBAL__N_127rocblas_gemm_batched_kernelI19rocblas_complex_numIfELi16ELi16ELi64ELi64ELi4ELi64ELi4ELi4ELi64ELc67ELc67EKS2_S3_S2_EEvlllT_PT11_llS6_llS4_PT12_llPT13_lli
; %bb.0:
	s_load_b32 s33, s[0:1], 0x88
	s_bfe_u32 s2, ttmp6, 0x40014
	s_lshr_b32 s3, ttmp7, 16
	s_add_co_i32 s2, s2, 1
	s_bfe_u32 s4, ttmp6, 0x40008
	s_mul_i32 s2, s3, s2
	s_getreg_b32 s24, hwreg(HW_REG_IB_STS2, 6, 4)
	s_add_co_i32 s4, s4, s2
	s_cmp_eq_u32 s24, 0
	s_cselect_b32 s2, s3, s4
	s_mov_b32 s3, 0
	s_wait_kmcnt 0x0
	s_cmp_ge_i32 s2, s33
	s_cbranch_scc1 .LBB505_10
; %bb.1:
	v_bfe_u32 v2, v0, 10, 10
	v_and_b32_e32 v4, 0x3ff, v0
	s_bfe_u32 s25, ttmp6, 0x4000c
	s_bfe_u32 s27, ttmp6, 0x40010
	s_clause 0x1
	s_load_b256 s[12:19], s[0:1], 0x20
	s_load_b128 s[20:23], s[0:1], 0x78
	s_add_co_i32 s25, s25, 1
	s_and_b32 s36, ttmp7, 0xffff
	s_add_co_i32 s27, s27, 1
	s_and_b32 s26, ttmp6, 15
	s_mul_i32 s25, ttmp9, s25
	s_mul_i32 s27, s36, s27
	s_bfe_u32 s37, ttmp6, 0x40004
	v_lshl_add_u32 v5, v2, 4, v4
	v_mov_b32_e32 v3, 0
	s_add_co_i32 s26, s26, s25
	s_add_co_i32 s37, s37, s27
	s_load_b256 s[4:11], s[0:1], 0x58
	s_cmp_eq_u32 s24, 0
	v_and_b32_e32 v14, 63, v5
	s_cselect_b32 s25, s36, s37
	s_cselect_b32 s24, ttmp9, s26
	v_dual_mov_b32 v7, v3 :: v_dual_lshrrev_b32 v6, 2, v5
	s_clause 0x1
	s_load_b128 s[28:31], s[0:1], 0x40
	s_load_b64 s[34:35], s[0:1], 0x50
	s_lshl_b32 s26, s25, 6
	s_ashr_i32 s25, s24, 31
	s_mov_b32 s27, s3
	s_lshl_b64 s[36:37], s[24:25], 6
	v_add_nc_u64_e32 v[8:9], s[26:27], v[6:7]
	v_dual_mov_b32 v11, s37 :: v_dual_bitop2_b32 v7, 3, v0 bitop3:0x40
	v_or_b32_e32 v10, s36, v14
	v_add_nc_u64_e32 v[0:1], s[26:27], v[2:3]
	s_load_b128 s[24:27], s[0:1], 0x10
	s_delay_alu instid0(VALU_DEP_3)
	v_dual_lshlrev_b32 v15, 3, v7 :: v_dual_lshrrev_b32 v16, 6, v5
	v_lshlrev_b32_e32 v14, 3, v14
	s_wait_kmcnt 0x0
	v_mul_u64_e32 v[10:11], s[14:15], v[10:11]
	v_lshl_add_u32 v39, v2, 5, 0x800
	v_mul_u64_e32 v[12:13], s[6:7], v[0:1]
	v_mul_u64_e32 v[20:21], s[20:21], v[0:1]
	v_lshlrev_b32_e32 v2, 3, v16
	v_mad_nc_u64_u32 v[8:9], s28, v7, v[8:9]
	s_or_b32 s0, s34, s35
	v_dual_mov_b32 v5, v3 :: v_dual_lshlrev_b32 v37, 3, v4
	s_bitset0_b32 s0, 31
	v_lshl_or_b32 v6, v6, 5, v15
	s_cmp_eq_u32 s0, 0
	s_delay_alu instid0(VALU_DEP_2)
	v_add_nc_u64_e32 v[22:23], s[36:37], v[4:5]
	v_lshl_or_b32 v33, v16, 9, v14
	s_cselect_b32 s1, -1, 0
	v_add_nc_u32_e32 v35, 0x800, v6
	v_mad_u32 v9, s29, v7, v9
	v_cmp_gt_i64_e64 s0, s[24:25], 0
	s_lshl_b64 s[40:41], s[20:21], 4
	s_lshl_b64 s[42:43], s[6:7], 4
	s_mov_b32 s14, s27
	s_mov_b32 s15, s26
	;; [unrolled: 1-line block ×4, first 2 shown]
	v_cndmask_b32_e64 v4, 0, 1, s0
	s_mov_b32 s20, s26
	s_mov_b32 s21, s34
	;; [unrolled: 1-line block ×4, first 2 shown]
	v_cmp_ne_u32_e64 s0, 1, v4
	s_mov_b32 s38, s35
	s_mov_b32 s39, s35
	v_lshl_add_u64 v[0:1], v[10:11], 3, v[2:3]
	v_lshl_add_u64 v[2:3], v[8:9], 3, s[18:19]
	;; [unrolled: 1-line block ×3, first 2 shown]
	s_lshl_b64 s[4:5], s[16:17], 3
	s_lshl_b64 s[16:17], s[28:29], 5
	v_add_nc_u64_e32 v[26:27], s[12:13], v[0:1]
	v_add_nc_u64_e32 v[28:29], 4, v[2:3]
	s_lshl_b64 s[12:13], s[30:31], 3
	s_lshl_b64 s[18:19], s[42:43], 3
	s_lshl_b64 s[28:29], s[40:41], 3
	s_branch .LBB505_3
.LBB505_2:                              ;   in Loop: Header=BB505_3 Depth=1
	s_add_co_i32 s2, s2, 0x10000
	global_store_b32 v[0:1], v2, off offset:4
	s_cmp_lt_i32 s2, s33
	s_cbranch_scc0 .LBB505_10
.LBB505_3:                              ; =>This Loop Header: Depth=1
                                        ;     Child Loop BB505_5 Depth 2
	v_dual_mov_b32 v31, 0 :: v_dual_mov_b32 v30, 0
	v_dual_mov_b32 v88, 0 :: v_dual_mov_b32 v90, 0
	;; [unrolled: 1-line block ×16, first 2 shown]
	s_and_b32 vcc_lo, exec_lo, s0
	s_cbranch_vccnz .LBB505_6
; %bb.4:                                ;   in Loop: Header=BB505_3 Depth=1
	v_mad_nc_u64_u32 v[92:93], s4, s2, v[26:27]
	v_mad_nc_u64_u32 v[94:95], s12, s2, v[28:29]
	v_dual_mov_b32 v34, 0 :: v_dual_mov_b32 v32, 0
	v_dual_mov_b32 v38, 0 :: v_dual_mov_b32 v36, 0
	;; [unrolled: 1-line block ×5, first 2 shown]
	v_mad_u32 v93, s5, s2, v93
	v_mad_u32 v95, s13, s2, v95
	v_dual_mov_b32 v54, 0 :: v_dual_mov_b32 v52, 0
	v_dual_mov_b32 v58, 0 :: v_dual_mov_b32 v56, 0
	;; [unrolled: 1-line block ×11, first 2 shown]
	s_mov_b64 s[30:31], 0
.LBB505_5:                              ;   Parent Loop BB505_3 Depth=1
                                        ; =>  This Inner Loop Header: Depth=2
	global_load_b64 v[0:1], v[92:93], off
	global_load_b64 v[2:3], v[94:95], off offset:-4
	s_add_nc_u64 s[30:31], s[30:31], 4
	s_wait_xcnt 0x1
	v_add_nc_u64_e32 v[92:93], 32, v[92:93]
	v_cmp_lt_i64_e64 s40, s[30:31], s[24:25]
	s_wait_xcnt 0x0
	v_add_nc_u64_e32 v[94:95], s[16:17], v[94:95]
	s_and_b32 vcc_lo, exec_lo, s40
	s_wait_loadcnt 0x1
	v_xor_b32_e32 v1, 0x80000000, v1
	s_wait_loadcnt 0x0
	v_xor_b32_e32 v3, 0x80000000, v3
	ds_store_b64 v33, v[0:1]
	ds_store_b64 v35, v[2:3]
	s_wait_dscnt 0x0
	s_barrier_signal -1
	s_barrier_wait -1
	ds_load_2addr_b64 v[0:3], v37 offset1:16
	ds_load_b128 v[8:11], v39
	ds_load_2addr_b64 v[4:7], v37 offset0:32 offset1:48
	ds_load_2addr_b64 v[12:15], v37 offset0:64 offset1:80
	;; [unrolled: 1-line block ×3, first 2 shown]
	ds_load_b128 v[96:99], v39 offset:16
	ds_load_2addr_b64 v[100:103], v37 offset0:128 offset1:144
	ds_load_2addr_b64 v[104:107], v37 offset0:160 offset1:176
	;; [unrolled: 1-line block ×4, first 2 shown]
	ds_load_b128 v[116:119], v39 offset:512
	ds_load_b128 v[120:123], v39 offset:528
	;; [unrolled: 1-line block ×6, first 2 shown]
	s_wait_dscnt 0x0
	s_barrier_signal -1
	s_barrier_wait -1
	v_dual_mul_f32 v41, v9, v1 :: v_dual_mul_f32 v43, v8, v1
	v_dual_mul_f32 v45, v9, v3 :: v_dual_mul_f32 v47, v8, v3
	;; [unrolled: 1-line block ×27, first 2 shown]
	v_dual_fma_f32 v41, v8, v0, -v41 :: v_dual_fmac_f32 v43, v9, v0
	v_dual_fma_f32 v45, v8, v2, -v45 :: v_dual_fmac_f32 v47, v9, v2
	;; [unrolled: 1-line block ×8, first 2 shown]
	v_pk_mul_f32 v[8:9], v[132:133], v[6:7] op_sel:[1,1] op_sel_hi:[0,1]
	v_dual_mul_f32 v5, v135, v13 :: v_dual_mul_f32 v166, v134, v13
	v_dual_mov_b32 v10, v135 :: v_dual_mov_b32 v11, v134
	v_dual_fma_f32 v73, v116, v0, -v73 :: v_dual_fmac_f32 v75, v117, v0
	v_dual_fma_f32 v77, v116, v2, -v77 :: v_dual_fmac_f32 v79, v117, v2
	;; [unrolled: 1-line block ×19, first 2 shown]
	v_pk_fma_f32 v[0:1], v[132:133], v[6:7], v[8:9] neg_lo:[0,0,1] neg_hi:[0,0,1]
	v_pk_fma_f32 v[2:3], v[132:133], v[6:7], v[8:9] op_sel_hi:[1,0,1]
	v_dual_fma_f32 v133, v134, v12, -v5 :: v_dual_fmac_f32 v166, v135, v12
	v_pk_mul_f32 v[4:5], v[10:11], v[18:19] op_sel:[0,1]
	v_dual_mul_f32 v13, v135, v15 :: v_dual_mul_f32 v119, v134, v15
	v_dual_mul_f32 v15, v135, v17 :: v_dual_mul_f32 v17, v134, v17
	;; [unrolled: 1-line block ×4, first 2 shown]
	v_pk_fma_f32 v[6:7], v[134:135], v[18:19], v[4:5] neg_lo:[0,0,1] neg_hi:[0,0,1]
	v_pk_fma_f32 v[4:5], v[134:135], v[18:19], v[4:5] op_sel_hi:[1,0,1]
	v_dual_mul_f32 v127, v97, v101 :: v_dual_mul_f32 v150, v96, v101
	v_dual_mul_f32 v8, v97, v107 :: v_dual_mul_f32 v132, v96, v107
	v_dual_fma_f32 v162, v134, v14, -v13 :: v_dual_fmac_f32 v119, v135, v14
	v_dual_mul_f32 v9, v99, v109 :: v_dual_mul_f32 v167, v98, v109
	v_dual_fma_f32 v168, v134, v16, -v15 :: v_dual_fmac_f32 v17, v135, v16
	v_dual_mul_f32 v4, v99, v111 :: v_dual_mul_f32 v16, v98, v111
	v_dual_mul_f32 v7, v99, v113 :: v_dual_mul_f32 v18, v98, v113
	;; [unrolled: 1-line block ×3, first 2 shown]
	v_dual_fma_f32 v135, v96, v102, -v156 :: v_dual_fmac_f32 v158, v97, v102
	v_dual_fma_f32 v156, v96, v104, -v1 :: v_dual_fmac_f32 v2, v97, v104
	v_dual_mul_f32 v1, v121, v103 :: v_dual_mul_f32 v11, v121, v101
	v_mul_f32_e32 v134, v120, v101
	v_dual_fma_f32 v127, v96, v100, -v127 :: v_dual_fmac_f32 v150, v97, v100
	v_fma_f32 v96, v96, v106, -v8
	v_dual_fmac_f32 v132, v97, v106 :: v_dual_fmac_f32 v167, v99, v108
	v_dual_fma_f32 v97, v98, v108, -v9 :: v_dual_fma_f32 v4, v98, v110, -v4
	v_dual_fma_f32 v169, v98, v112, -v7 :: v_dual_fmac_f32 v16, v99, v110
	v_fmac_f32_e32 v18, v99, v112
	v_dual_fma_f32 v98, v98, v114, -v10 :: v_dual_fmac_f32 v19, v99, v114
	v_dual_mul_f32 v99, v120, v103 :: v_dual_mul_f32 v7, v121, v105
	v_dual_mul_f32 v170, v120, v105 :: v_dual_fma_f32 v172, v120, v102, -v1
	v_dual_mul_f32 v1, v121, v107 :: v_dual_fma_f32 v171, v120, v100, -v11
	v_fmac_f32_e32 v134, v121, v100
	s_delay_alu instid0(VALU_DEP_3) | instskip(NEXT) | instid1(VALU_DEP_3)
	v_dual_fma_f32 v173, v120, v104, -v7 :: v_dual_fmac_f32 v170, v121, v104
	v_dual_fma_f32 v174, v120, v106, -v1 :: v_dual_mul_f32 v120, v120, v107
	v_dual_mul_f32 v1, v123, v109 :: v_dual_mul_f32 v175, v122, v109
	v_dual_fmac_f32 v99, v121, v102 :: v_dual_mul_f32 v177, v122, v111
	s_delay_alu instid0(VALU_DEP_2) | instskip(NEXT) | instid1(VALU_DEP_3)
	v_dual_fmac_f32 v120, v121, v106 :: v_dual_fma_f32 v121, v122, v108, -v1
	v_dual_fmac_f32 v175, v123, v108 :: v_dual_mul_f32 v1, v123, v111
	s_delay_alu instid0(VALU_DEP_3) | instskip(SKIP_1) | instid1(VALU_DEP_3)
	v_dual_fmac_f32 v177, v123, v110 :: v_dual_mul_f32 v179, v122, v113
	v_dual_mul_f32 v181, v128, v101 :: v_dual_mul_f32 v183, v128, v103
	v_dual_fma_f32 v176, v122, v110, -v1 :: v_dual_mul_f32 v1, v123, v113
	s_delay_alu instid0(VALU_DEP_3) | instskip(NEXT) | instid1(VALU_DEP_3)
	v_fmac_f32_e32 v179, v123, v112
	v_dual_fmac_f32 v181, v129, v100 :: v_dual_mul_f32 v185, v128, v105
	s_delay_alu instid0(VALU_DEP_3) | instskip(SKIP_1) | instid1(VALU_DEP_3)
	v_dual_fmac_f32 v183, v129, v102 :: v_dual_fma_f32 v178, v122, v112, -v1
	v_dual_mul_f32 v1, v123, v115 :: v_dual_mul_f32 v187, v130, v109
	v_dual_fmac_f32 v185, v129, v104 :: v_dual_mul_f32 v189, v130, v111
	v_mul_f32_e32 v191, v130, v113
	s_delay_alu instid0(VALU_DEP_3) | instskip(NEXT) | instid1(VALU_DEP_3)
	v_dual_fma_f32 v180, v122, v114, -v1 :: v_dual_mul_f32 v122, v122, v115
	v_dual_mul_f32 v1, v129, v101 :: v_dual_fmac_f32 v189, v131, v110
	v_fmac_f32_e32 v187, v131, v108
	s_delay_alu instid0(VALU_DEP_4) | instskip(NEXT) | instid1(VALU_DEP_3)
	v_fmac_f32_e32 v191, v131, v112
	v_dual_fmac_f32 v122, v123, v114 :: v_dual_fma_f32 v123, v128, v100, -v1
	v_mul_f32_e32 v1, v129, v103
	v_pk_mul_f32 v[8:9], v[136:137], v[106:107] op_sel:[1,1] op_sel_hi:[0,1]
	v_dual_mov_b32 v12, v139 :: v_dual_mov_b32 v13, v138
	v_add_f32_e32 v36, v36, v154
	s_delay_alu instid0(VALU_DEP_4) | instskip(NEXT) | instid1(VALU_DEP_4)
	v_dual_fma_f32 v182, v128, v102, -v1 :: v_dual_mul_f32 v1, v129, v105
	v_pk_fma_f32 v[10:11], v[136:137], v[106:107], v[8:9] neg_lo:[0,0,1] neg_hi:[0,0,1]
	v_pk_fma_f32 v[8:9], v[136:137], v[106:107], v[8:9] op_sel_hi:[1,0,1]
	v_pk_mul_f32 v[12:13], v[12:13], v[114:115] op_sel:[0,1]
	v_add_f32_e32 v72, v72, v75
	v_dual_fma_f32 v184, v128, v104, -v1 :: v_dual_mul_f32 v1, v129, v107
	v_dual_add_f32 v68, v68, v77 :: v_dual_add_f32 v70, v70, v79
	s_delay_alu instid0(VALU_DEP_4) | instskip(SKIP_1) | instid1(VALU_DEP_4)
	v_pk_fma_f32 v[14:15], v[138:139], v[114:115], v[12:13] neg_lo:[0,0,1] neg_hi:[0,0,1]
	v_pk_fma_f32 v[12:13], v[138:139], v[114:115], v[12:13] op_sel_hi:[1,0,1]
	v_dual_fma_f32 v186, v128, v106, -v1 :: v_dual_mul_f32 v128, v128, v107
	v_dual_mul_f32 v1, v131, v109 :: v_dual_mul_f32 v107, v138, v111
	v_dual_add_f32 v12, v88, v41 :: v_dual_add_f32 v41, v90, v43
	s_delay_alu instid0(VALU_DEP_2) | instskip(SKIP_3) | instid1(VALU_DEP_3)
	v_dual_fmac_f32 v128, v129, v106 :: v_dual_fma_f32 v129, v130, v108, -v1
	v_dual_mul_f32 v1, v131, v111 :: v_dual_add_f32 v43, v84, v45
	v_add_f32_e32 v45, v86, v47
	v_dual_add_f32 v47, v82, v49 :: v_dual_add_f32 v49, v80, v51
	v_dual_fma_f32 v188, v130, v110, -v1 :: v_dual_mul_f32 v1, v131, v113
	v_dual_add_f32 v51, v76, v53 :: v_dual_add_f32 v53, v78, v55
	v_add_f32_e32 v55, v74, v73
	v_dual_add_f32 v64, v64, v81 :: v_dual_add_f32 v66, v66, v83
	s_delay_alu instid0(VALU_DEP_4) | instskip(SKIP_2) | instid1(VALU_DEP_3)
	v_dual_fma_f32 v190, v130, v112, -v1 :: v_dual_mul_f32 v1, v131, v115
	v_dual_add_f32 v60, v60, v85 :: v_dual_add_f32 v62, v62, v87
	v_dual_add_f32 v56, v56, v140 :: v_dual_add_f32 v58, v58, v147
	v_dual_fma_f32 v192, v130, v114, -v1 :: v_dual_mul_f32 v130, v130, v115
	v_dual_mul_f32 v1, v137, v101 :: v_dual_mul_f32 v101, v136, v101
	v_dual_add_f32 v52, v52, v142 :: v_dual_add_f32 v54, v54, v149
	s_delay_alu instid0(VALU_DEP_2) | instskip(NEXT) | instid1(VALU_DEP_3)
	v_dual_fmac_f32 v130, v131, v114 :: v_dual_fma_f32 v131, v136, v100, -v1
	v_dual_mul_f32 v1, v137, v103 :: v_dual_fmac_f32 v101, v137, v100
	v_mul_f32_e32 v103, v136, v103
	v_dual_add_f32 v48, v48, v144 :: v_dual_add_f32 v50, v50, v151
	s_delay_alu instid0(VALU_DEP_3) | instskip(NEXT) | instid1(VALU_DEP_3)
	v_dual_fma_f32 v100, v136, v102, -v1 :: v_dual_mul_f32 v1, v137, v105
	v_dual_mul_f32 v105, v136, v105 :: v_dual_fmac_f32 v103, v137, v102
	v_dual_add_f32 v44, v44, v124 :: v_dual_add_f32 v46, v46, v153
	s_delay_alu instid0(VALU_DEP_3) | instskip(NEXT) | instid1(VALU_DEP_3)
	v_dual_fma_f32 v102, v136, v104, -v1 :: v_dual_mul_f32 v1, v139, v109
	v_dual_fmac_f32 v105, v137, v104 :: v_dual_mul_f32 v104, v138, v109
	v_dual_mul_f32 v109, v138, v113 :: v_dual_add_f32 v40, v40, v152
	v_add_f32_e32 v42, v42, v163
	s_delay_alu instid0(VALU_DEP_3) | instskip(NEXT) | instid1(VALU_DEP_3)
	v_dual_fma_f32 v8, v138, v108, -v1 :: v_dual_fmac_f32 v104, v139, v108
	v_dual_mul_f32 v1, v139, v111 :: v_dual_fmac_f32 v109, v139, v112
	v_dual_add_f32 v32, v32, v160 :: v_dual_add_f32 v34, v34, v165
	v_dual_mov_b32 v7, v5 :: v_dual_mov_b32 v15, v13
	s_delay_alu instid0(VALU_DEP_3) | instskip(SKIP_3) | instid1(VALU_DEP_3)
	v_dual_fma_f32 v106, v138, v110, -v1 :: v_dual_fmac_f32 v107, v139, v110
	v_dual_mul_f32 v1, v139, v113 :: v_dual_mov_b32 v11, v9
	v_dual_add_f32 v5, v12, v57 :: v_dual_add_f32 v9, v41, v59
	v_dual_add_f32 v12, v43, v61 :: v_dual_add_f32 v13, v45, v63
	v_dual_fma_f32 v108, v138, v112, -v1 :: v_dual_mov_b32 v1, v3
	v_dual_add_f32 v3, v38, v164 :: v_dual_add_f32 v38, v51, v69
	v_dual_add_f32 v41, v53, v71 :: v_dual_add_f32 v43, v55, v89
	v_add_f32_e32 v45, v72, v91
	s_delay_alu instid0(VALU_DEP_4)
	v_pk_add_f32 v[0:1], v[30:31], v[0:1]
	v_dual_add_f32 v30, v47, v65 :: v_dual_add_f32 v31, v49, v67
	v_dual_add_f32 v47, v68, v116 :: v_dual_add_f32 v49, v70, v141
	;; [unrolled: 1-line block ×11, first 2 shown]
	v_pk_add_f32 v[0:1], v[0:1], v[6:7]
	v_add_f32_e32 v5, v5, v127
	v_dual_add_f32 v6, v9, v150 :: v_dual_add_f32 v7, v12, v135
	v_dual_add_f32 v9, v13, v158 :: v_dual_add_f32 v13, v38, v96
	;; [unrolled: 1-line block ×6, first 2 shown]
	v_add_f32_e32 v45, v53, v170
	v_dual_add_f32 v47, v55, v174 :: v_dual_add_f32 v49, v57, v120
	v_dual_add_f32 v51, v56, v123 :: v_dual_add_f32 v53, v58, v181
	;; [unrolled: 1-line block ×8, first 2 shown]
	v_pk_add_f32 v[0:1], v[0:1], v[10:11]
	v_dual_add_f32 v88, v5, v97 :: v_dual_add_f32 v90, v6, v167
	v_dual_add_f32 v84, v7, v4 :: v_dual_add_f32 v82, v12, v169
	;; [unrolled: 1-line block ×15, first 2 shown]
	v_pk_add_f32 v[30:31], v[0:1], v[14:15]
	s_cbranch_vccnz .LBB505_5
.LBB505_6:                              ;   in Loop: Header=BB505_3 Depth=1
	s_mul_u64 s[30:31], s[22:23], s[2:3]
	s_and_not1_b32 vcc_lo, exec_lo, s1
	s_lshl_b64 s[30:31], s[30:31], 3
	s_mov_b32 s40, -1
	s_add_nc_u64 s[30:31], s[10:11], s[30:31]
                                        ; implicit-def: $vgpr2
                                        ; implicit-def: $vgpr0_vgpr1
	s_cbranch_vccz .LBB505_8
; %bb.7:                                ;   in Loop: Header=BB505_3 Depth=1
	s_and_not1_b32 vcc_lo, exec_lo, s40
	s_cbranch_vccnz .LBB505_2
	s_branch .LBB505_9
.LBB505_8:                              ;   in Loop: Header=BB505_3 Depth=1
	s_wait_xcnt 0x0
	v_mov_b64_e32 v[0:1], s[14:15]
	v_mov_b64_e32 v[6:7], s[26:27]
	v_lshlrev_b64_e32 v[2:3], 3, v[22:23]
	v_lshl_add_u64 v[4:5], v[20:21], 3, s[30:31]
	s_delay_alu instid0(VALU_DEP_4)
	v_pk_mul_f32 v[8:9], v[90:91], v[0:1] op_sel_hi:[0,1]
	v_pk_mul_f32 v[10:11], v[86:87], v[0:1] op_sel_hi:[0,1]
	;; [unrolled: 1-line block ×4, first 2 shown]
	v_add_nc_u64_e32 v[16:17], v[4:5], v[2:3]
	v_pk_fma_f32 v[18:19], v[88:89], v[6:7], v[8:9] neg_lo:[0,0,1] neg_hi:[0,0,1]
	v_pk_fma_f32 v[8:9], v[88:89], v[6:7], v[8:9] op_sel_hi:[0,1,1]
	v_pk_fma_f32 v[92:93], v[84:85], v[6:7], v[10:11] op_sel_hi:[0,1,1]
	;; [unrolled: 1-line block ×4, first 2 shown]
	v_pk_fma_f32 v[10:11], v[84:85], v[6:7], v[10:11] neg_lo:[0,0,1] neg_hi:[0,0,1]
	s_delay_alu instid0(VALU_DEP_4)
	v_dual_mov_b32 v19, v9 :: v_dual_mov_b32 v11, v93
	v_pk_fma_f32 v[8:9], v[82:83], v[6:7], v[12:13] neg_lo:[0,0,1] neg_hi:[0,0,1]
	v_mov_b32_e32 v9, v95
	v_pk_fma_f32 v[12:13], v[76:77], v[6:7], v[14:15] neg_lo:[0,0,1] neg_hi:[0,0,1]
	v_mov_b32_e32 v13, v97
	v_pk_mul_f32 v[14:15], v[72:73], v[0:1] op_sel_hi:[0,1]
	s_clause 0x3
	global_store_b64 v[16:17], v[18:19], off
	global_store_b64 v[16:17], v[10:11], off offset:128
	global_store_b64 v[16:17], v[8:9], off offset:256
	;; [unrolled: 1-line block ×3, first 2 shown]
	s_wait_xcnt 0x1
	v_pk_mul_f32 v[8:9], v[70:71], v[0:1] op_sel_hi:[0,1]
	s_wait_xcnt 0x0
	v_pk_mul_f32 v[16:17], v[66:67], v[0:1] op_sel_hi:[0,1]
	v_add_nc_u64_e32 v[4:5], s[28:29], v[4:5]
	v_pk_fma_f32 v[12:13], v[74:75], v[6:7], v[14:15] op_sel_hi:[0,1,1]
	v_pk_mul_f32 v[92:93], v[62:63], v[0:1] op_sel_hi:[0,1]
	v_pk_fma_f32 v[18:19], v[68:69], v[6:7], v[8:9] op_sel_hi:[0,1,1]
	v_pk_fma_f32 v[14:15], v[74:75], v[6:7], v[14:15] neg_lo:[0,0,1] neg_hi:[0,0,1]
	v_pk_fma_f32 v[8:9], v[68:69], v[6:7], v[8:9] neg_lo:[0,0,1] neg_hi:[0,0,1]
	v_mov_b32_e32 v15, v13
	v_pk_fma_f32 v[12:13], v[64:65], v[6:7], v[16:17] op_sel_hi:[0,1,1]
	v_mov_b32_e32 v9, v19
	v_pk_fma_f32 v[18:19], v[60:61], v[6:7], v[92:93] op_sel_hi:[0,1,1]
	v_add_nc_u64_e32 v[10:11], v[4:5], v[2:3]
	v_pk_fma_f32 v[16:17], v[64:65], v[6:7], v[16:17] neg_lo:[0,0,1] neg_hi:[0,0,1]
	v_mov_b32_e32 v17, v13
	v_pk_fma_f32 v[12:13], v[60:61], v[6:7], v[92:93] neg_lo:[0,0,1] neg_hi:[0,0,1]
	v_mov_b32_e32 v13, v19
	v_pk_mul_f32 v[18:19], v[58:59], v[0:1] op_sel_hi:[0,1]
	v_add_nc_u64_e32 v[4:5], s[28:29], v[4:5]
	s_clause 0x3
	global_store_b64 v[10:11], v[14:15], off
	global_store_b64 v[10:11], v[8:9], off offset:128
	global_store_b64 v[10:11], v[16:17], off offset:256
	;; [unrolled: 1-line block ×3, first 2 shown]
	s_wait_xcnt 0x0
	v_pk_mul_f32 v[10:11], v[54:55], v[0:1] op_sel_hi:[0,1]
	v_pk_mul_f32 v[14:15], v[50:51], v[0:1] op_sel_hi:[0,1]
	v_pk_fma_f32 v[12:13], v[56:57], v[6:7], v[18:19] op_sel_hi:[0,1,1]
	v_pk_fma_f32 v[16:17], v[56:57], v[6:7], v[18:19] neg_lo:[0,0,1] neg_hi:[0,0,1]
	v_pk_mul_f32 v[18:19], v[46:47], v[0:1] op_sel_hi:[0,1]
	v_pk_fma_f32 v[92:93], v[52:53], v[6:7], v[10:11] op_sel_hi:[0,1,1]
	v_add_nc_u64_e32 v[8:9], v[4:5], v[2:3]
	v_mov_b32_e32 v17, v13
	v_pk_fma_f32 v[12:13], v[48:49], v[6:7], v[14:15] op_sel_hi:[0,1,1]
	v_pk_fma_f32 v[94:95], v[44:45], v[6:7], v[18:19] op_sel_hi:[0,1,1]
	v_pk_fma_f32 v[10:11], v[52:53], v[6:7], v[10:11] neg_lo:[0,0,1] neg_hi:[0,0,1]
	v_mov_b32_e32 v11, v93
	v_pk_fma_f32 v[14:15], v[48:49], v[6:7], v[14:15] neg_lo:[0,0,1] neg_hi:[0,0,1]
	v_mov_b32_e32 v15, v13
	;; [unrolled: 2-line block ×3, first 2 shown]
	v_add_nc_u64_e32 v[4:5], s[28:29], v[4:5]
	v_pk_mul_f32 v[18:19], v[42:43], v[0:1] op_sel_hi:[0,1]
	s_clause 0x3
	global_store_b64 v[8:9], v[16:17], off
	global_store_b64 v[8:9], v[10:11], off offset:128
	global_store_b64 v[8:9], v[14:15], off offset:256
	;; [unrolled: 1-line block ×3, first 2 shown]
	s_wait_xcnt 0x0
	v_pk_mul_f32 v[8:9], v[38:39], v[0:1] op_sel_hi:[0,1]
	v_pk_fma_f32 v[10:11], v[40:41], v[6:7], v[18:19] op_sel_hi:[0,1,1]
	v_add_nc_u64_e32 v[4:5], v[4:5], v[2:3]
	v_pk_mul_f32 v[2:3], v[34:35], v[0:1] op_sel_hi:[0,1]
	s_delay_alu instid0(VALU_DEP_4)
	v_pk_fma_f32 v[14:15], v[36:37], v[6:7], v[8:9] op_sel_hi:[0,1,1]
	v_pk_fma_f32 v[12:13], v[40:41], v[6:7], v[18:19] neg_lo:[0,0,1] neg_hi:[0,0,1]
	v_pk_fma_f32 v[8:9], v[36:37], v[6:7], v[8:9] neg_lo:[0,0,1] neg_hi:[0,0,1]
	v_mov_b32_e32 v13, v11
	v_pk_fma_f32 v[10:11], v[32:33], v[6:7], v[2:3] op_sel_hi:[0,1,1]
	v_mov_b32_e32 v9, v15
	v_pk_mul_f32 v[14:15], v[30:31], v[0:1]
	v_mul_f32_e32 v10, s26, v30
	v_add_nc_u64_e32 v[0:1], 0x180, v[4:5]
	v_pk_fma_f32 v[6:7], v[32:33], v[6:7], v[2:3] neg_lo:[0,0,1] neg_hi:[0,0,1]
	s_delay_alu instid0(VALU_DEP_4) | instskip(NEXT) | instid1(VALU_DEP_4)
	v_dual_mov_b32 v7, v11 :: v_dual_add_f32 v2, v14, v15
	v_fma_f32 v3, -v31, s14, v10
	s_clause 0x3
	global_store_b64 v[4:5], v[12:13], off
	global_store_b64 v[4:5], v[8:9], off offset:128
	global_store_b64 v[4:5], v[6:7], off offset:256
	global_store_b32 v[4:5], v3, off offset:384
	s_cbranch_execnz .LBB505_2
.LBB505_9:                              ;   in Loop: Header=BB505_3 Depth=1
	s_mul_u64 s[40:41], s[8:9], s[2:3]
	s_wait_xcnt 0x0
	v_lshlrev_b64_e32 v[0:1], 3, v[22:23]
	s_wait_xcnt 0x0
	v_lshl_add_u64 v[2:3], s[40:41], 3, v[24:25]
	v_mov_b64_e32 v[8:9], s[14:15]
	v_mov_b64_e32 v[10:11], s[38:39]
	;; [unrolled: 1-line block ×4, first 2 shown]
	v_lshl_add_u64 v[94:95], v[20:21], 3, s[30:31]
	v_add_nc_u64_e32 v[4:5], v[2:3], v[0:1]
	v_add_nc_u64_e32 v[2:3], s[18:19], v[2:3]
	v_pk_mul_f32 v[14:15], v[90:91], v[8:9] op_sel_hi:[0,1]
	s_delay_alu instid0(VALU_DEP_1) | instskip(SKIP_4) | instid1(VALU_DEP_1)
	v_pk_fma_f32 v[90:91], v[88:89], v[12:13], v[14:15] op_sel_hi:[0,1,1]
	global_load_b64 v[6:7], v[4:5], off
	v_pk_fma_f32 v[14:15], v[88:89], v[12:13], v[14:15] neg_lo:[0,0,1] neg_hi:[0,0,1]
	s_wait_loadcnt 0x0
	v_pk_mul_f32 v[18:19], v[6:7], v[10:11]
	v_pk_fma_f32 v[92:93], v[6:7], v[16:17], v[18:19] op_sel:[0,0,1] op_sel_hi:[1,1,0]
	v_pk_fma_f32 v[6:7], v[6:7], v[16:17], v[18:19] op_sel:[0,0,1] op_sel_hi:[1,1,0] neg_lo:[0,0,1] neg_hi:[0,0,1]
	v_mov_b32_e32 v15, v91
	v_add_nc_u64_e32 v[18:19], v[94:95], v[0:1]
	s_delay_alu instid0(VALU_DEP_4) | instskip(NEXT) | instid1(VALU_DEP_1)
	v_mov_b32_e32 v7, v93
	v_pk_add_f32 v[6:7], v[14:15], v[6:7]
	v_pk_mul_f32 v[14:15], v[86:87], v[8:9] op_sel_hi:[0,1]
	global_store_b64 v[18:19], v[6:7], off
	global_load_b64 v[6:7], v[4:5], off offset:128
	v_pk_fma_f32 v[88:89], v[84:85], v[12:13], v[14:15] op_sel_hi:[0,1,1]
	v_pk_fma_f32 v[14:15], v[84:85], v[12:13], v[14:15] neg_lo:[0,0,1] neg_hi:[0,0,1]
	s_wait_loadcnt 0x0
	v_pk_mul_f32 v[86:87], v[6:7], v[10:11]
	s_delay_alu instid0(VALU_DEP_1) | instskip(SKIP_1) | instid1(VALU_DEP_2)
	v_pk_fma_f32 v[90:91], v[6:7], v[16:17], v[86:87] op_sel:[0,0,1] op_sel_hi:[1,1,0]
	v_pk_fma_f32 v[6:7], v[6:7], v[16:17], v[86:87] op_sel:[0,0,1] op_sel_hi:[1,1,0] neg_lo:[0,0,1] neg_hi:[0,0,1]
	v_dual_mov_b32 v15, v89 :: v_dual_mov_b32 v7, v91
	s_delay_alu instid0(VALU_DEP_1)
	v_pk_add_f32 v[6:7], v[14:15], v[6:7]
	v_pk_mul_f32 v[14:15], v[80:81], v[8:9] op_sel_hi:[0,1]
	global_store_b64 v[18:19], v[6:7], off offset:128
	global_load_b64 v[6:7], v[4:5], off offset:256
	v_pk_fma_f32 v[84:85], v[82:83], v[12:13], v[14:15] op_sel_hi:[0,1,1]
	v_pk_fma_f32 v[14:15], v[82:83], v[12:13], v[14:15] neg_lo:[0,0,1] neg_hi:[0,0,1]
	s_wait_loadcnt 0x0
	v_pk_mul_f32 v[80:81], v[6:7], v[10:11]
	s_delay_alu instid0(VALU_DEP_1) | instskip(SKIP_1) | instid1(VALU_DEP_2)
	v_pk_fma_f32 v[86:87], v[6:7], v[16:17], v[80:81] op_sel:[0,0,1] op_sel_hi:[1,1,0]
	v_pk_fma_f32 v[6:7], v[6:7], v[16:17], v[80:81] op_sel:[0,0,1] op_sel_hi:[1,1,0] neg_lo:[0,0,1] neg_hi:[0,0,1]
	v_dual_mov_b32 v15, v85 :: v_dual_mov_b32 v7, v87
	s_delay_alu instid0(VALU_DEP_1) | instskip(SKIP_4) | instid1(VALU_DEP_1)
	v_pk_add_f32 v[6:7], v[14:15], v[6:7]
	global_store_b64 v[18:19], v[6:7], off offset:256
	global_load_b64 v[4:5], v[4:5], off offset:384
	s_wait_xcnt 0x1
	v_pk_mul_f32 v[6:7], v[78:79], v[8:9] op_sel_hi:[0,1]
	v_pk_fma_f32 v[78:79], v[76:77], v[12:13], v[6:7] op_sel_hi:[0,1,1]
	v_pk_fma_f32 v[6:7], v[76:77], v[12:13], v[6:7] neg_lo:[0,0,1] neg_hi:[0,0,1]
	s_wait_loadcnt 0x0
	v_pk_mul_f32 v[14:15], v[4:5], v[10:11]
	s_delay_alu instid0(VALU_DEP_1)
	v_pk_fma_f32 v[80:81], v[4:5], v[16:17], v[14:15] op_sel:[0,0,1] op_sel_hi:[1,1,0]
	s_wait_xcnt 0x0
	v_pk_fma_f32 v[4:5], v[4:5], v[16:17], v[14:15] op_sel:[0,0,1] op_sel_hi:[1,1,0] neg_lo:[0,0,1] neg_hi:[0,0,1]
	v_mov_b32_e32 v7, v79
	v_add_nc_u64_e32 v[14:15], v[2:3], v[0:1]
	v_add_nc_u64_e32 v[78:79], s[28:29], v[94:95]
	v_mov_b32_e32 v5, v81
	v_add_nc_u64_e32 v[2:3], s[18:19], v[2:3]
	s_delay_alu instid0(VALU_DEP_2)
	v_pk_add_f32 v[4:5], v[6:7], v[4:5]
	v_pk_mul_f32 v[6:7], v[72:73], v[8:9] op_sel_hi:[0,1]
	global_store_b64 v[18:19], v[4:5], off offset:384
	global_load_b64 v[4:5], v[14:15], off
	v_pk_fma_f32 v[72:73], v[74:75], v[12:13], v[6:7] op_sel_hi:[0,1,1]
	v_pk_fma_f32 v[6:7], v[74:75], v[12:13], v[6:7] neg_lo:[0,0,1] neg_hi:[0,0,1]
	s_wait_loadcnt 0x0
	v_pk_mul_f32 v[18:19], v[4:5], v[10:11]
	s_delay_alu instid0(VALU_DEP_1) | instskip(SKIP_3) | instid1(VALU_DEP_4)
	v_pk_fma_f32 v[76:77], v[4:5], v[16:17], v[18:19] op_sel:[0,0,1] op_sel_hi:[1,1,0]
	v_pk_fma_f32 v[4:5], v[4:5], v[16:17], v[18:19] op_sel:[0,0,1] op_sel_hi:[1,1,0] neg_lo:[0,0,1] neg_hi:[0,0,1]
	v_mov_b32_e32 v7, v73
	v_add_nc_u64_e32 v[18:19], v[78:79], v[0:1]
	v_mov_b32_e32 v5, v77
	s_delay_alu instid0(VALU_DEP_1)
	v_pk_add_f32 v[4:5], v[6:7], v[4:5]
	v_pk_mul_f32 v[6:7], v[70:71], v[8:9] op_sel_hi:[0,1]
	global_store_b64 v[18:19], v[4:5], off
	global_load_b64 v[4:5], v[14:15], off offset:128
	v_pk_fma_f32 v[72:73], v[68:69], v[12:13], v[6:7] op_sel_hi:[0,1,1]
	v_pk_fma_f32 v[6:7], v[68:69], v[12:13], v[6:7] neg_lo:[0,0,1] neg_hi:[0,0,1]
	s_wait_loadcnt 0x0
	v_pk_mul_f32 v[70:71], v[4:5], v[10:11]
	s_delay_alu instid0(VALU_DEP_1) | instskip(SKIP_1) | instid1(VALU_DEP_2)
	v_pk_fma_f32 v[74:75], v[4:5], v[16:17], v[70:71] op_sel:[0,0,1] op_sel_hi:[1,1,0]
	v_pk_fma_f32 v[4:5], v[4:5], v[16:17], v[70:71] op_sel:[0,0,1] op_sel_hi:[1,1,0] neg_lo:[0,0,1] neg_hi:[0,0,1]
	v_dual_mov_b32 v7, v73 :: v_dual_mov_b32 v5, v75
	s_delay_alu instid0(VALU_DEP_1)
	v_pk_add_f32 v[4:5], v[6:7], v[4:5]
	v_pk_mul_f32 v[6:7], v[66:67], v[8:9] op_sel_hi:[0,1]
	global_store_b64 v[18:19], v[4:5], off offset:128
	global_load_b64 v[4:5], v[14:15], off offset:256
	v_pk_fma_f32 v[68:69], v[64:65], v[12:13], v[6:7] op_sel_hi:[0,1,1]
	v_pk_fma_f32 v[6:7], v[64:65], v[12:13], v[6:7] neg_lo:[0,0,1] neg_hi:[0,0,1]
	s_wait_loadcnt 0x0
	v_pk_mul_f32 v[66:67], v[4:5], v[10:11]
	s_delay_alu instid0(VALU_DEP_1) | instskip(SKIP_1) | instid1(VALU_DEP_2)
	v_pk_fma_f32 v[70:71], v[4:5], v[16:17], v[66:67] op_sel:[0,0,1] op_sel_hi:[1,1,0]
	v_pk_fma_f32 v[4:5], v[4:5], v[16:17], v[66:67] op_sel:[0,0,1] op_sel_hi:[1,1,0] neg_lo:[0,0,1] neg_hi:[0,0,1]
	v_dual_mov_b32 v7, v69 :: v_dual_mov_b32 v5, v71
	s_delay_alu instid0(VALU_DEP_1)
	v_pk_add_f32 v[4:5], v[6:7], v[4:5]
	v_pk_mul_f32 v[6:7], v[62:63], v[8:9] op_sel_hi:[0,1]
	global_store_b64 v[18:19], v[4:5], off offset:256
	global_load_b64 v[4:5], v[14:15], off offset:384
	v_pk_fma_f32 v[62:63], v[60:61], v[12:13], v[6:7] op_sel_hi:[0,1,1]
	v_pk_fma_f32 v[6:7], v[60:61], v[12:13], v[6:7] neg_lo:[0,0,1] neg_hi:[0,0,1]
	s_wait_loadcnt 0x0
	s_wait_xcnt 0x0
	v_pk_mul_f32 v[14:15], v[4:5], v[10:11]
	s_delay_alu instid0(VALU_DEP_1)
	v_pk_fma_f32 v[64:65], v[4:5], v[16:17], v[14:15] op_sel:[0,0,1] op_sel_hi:[1,1,0]
	v_pk_fma_f32 v[4:5], v[4:5], v[16:17], v[14:15] op_sel:[0,0,1] op_sel_hi:[1,1,0] neg_lo:[0,0,1] neg_hi:[0,0,1]
	v_mov_b32_e32 v7, v63
	v_add_nc_u64_e32 v[14:15], v[2:3], v[0:1]
	v_add_nc_u64_e32 v[62:63], s[28:29], v[78:79]
	v_mov_b32_e32 v5, v65
	v_add_nc_u64_e32 v[2:3], s[18:19], v[2:3]
	s_delay_alu instid0(VALU_DEP_2) | instskip(SKIP_1) | instid1(VALU_DEP_3)
	v_pk_add_f32 v[4:5], v[6:7], v[4:5]
	v_pk_mul_f32 v[6:7], v[58:59], v[8:9] op_sel_hi:[0,1]
	v_add_nc_u64_e32 v[2:3], v[2:3], v[0:1]
	global_store_b64 v[18:19], v[4:5], off offset:384
	global_load_b64 v[4:5], v[14:15], off
	v_pk_fma_f32 v[58:59], v[56:57], v[12:13], v[6:7] op_sel_hi:[0,1,1]
	v_pk_fma_f32 v[6:7], v[56:57], v[12:13], v[6:7] neg_lo:[0,0,1] neg_hi:[0,0,1]
	s_wait_loadcnt 0x0
	v_pk_mul_f32 v[18:19], v[4:5], v[10:11]
	s_delay_alu instid0(VALU_DEP_1) | instskip(SKIP_3) | instid1(VALU_DEP_4)
	v_pk_fma_f32 v[60:61], v[4:5], v[16:17], v[18:19] op_sel:[0,0,1] op_sel_hi:[1,1,0]
	v_pk_fma_f32 v[4:5], v[4:5], v[16:17], v[18:19] op_sel:[0,0,1] op_sel_hi:[1,1,0] neg_lo:[0,0,1] neg_hi:[0,0,1]
	v_mov_b32_e32 v7, v59
	v_add_nc_u64_e32 v[18:19], v[62:63], v[0:1]
	v_mov_b32_e32 v5, v61
	s_delay_alu instid0(VALU_DEP_1)
	v_pk_add_f32 v[4:5], v[6:7], v[4:5]
	v_pk_mul_f32 v[6:7], v[54:55], v[8:9] op_sel_hi:[0,1]
	global_store_b64 v[18:19], v[4:5], off
	global_load_b64 v[4:5], v[14:15], off offset:128
	v_pk_fma_f32 v[56:57], v[52:53], v[12:13], v[6:7] op_sel_hi:[0,1,1]
	v_pk_fma_f32 v[6:7], v[52:53], v[12:13], v[6:7] neg_lo:[0,0,1] neg_hi:[0,0,1]
	s_wait_loadcnt 0x0
	v_pk_mul_f32 v[54:55], v[4:5], v[10:11]
	s_delay_alu instid0(VALU_DEP_1) | instskip(SKIP_1) | instid1(VALU_DEP_2)
	v_pk_fma_f32 v[58:59], v[4:5], v[16:17], v[54:55] op_sel:[0,0,1] op_sel_hi:[1,1,0]
	v_pk_fma_f32 v[4:5], v[4:5], v[16:17], v[54:55] op_sel:[0,0,1] op_sel_hi:[1,1,0] neg_lo:[0,0,1] neg_hi:[0,0,1]
	v_dual_mov_b32 v7, v57 :: v_dual_mov_b32 v5, v59
	s_delay_alu instid0(VALU_DEP_1)
	v_pk_add_f32 v[4:5], v[6:7], v[4:5]
	v_pk_mul_f32 v[6:7], v[50:51], v[8:9] op_sel_hi:[0,1]
	global_store_b64 v[18:19], v[4:5], off offset:128
	global_load_b64 v[4:5], v[14:15], off offset:256
	v_pk_fma_f32 v[52:53], v[48:49], v[12:13], v[6:7] op_sel_hi:[0,1,1]
	v_pk_fma_f32 v[6:7], v[48:49], v[12:13], v[6:7] neg_lo:[0,0,1] neg_hi:[0,0,1]
	s_wait_loadcnt 0x0
	v_pk_mul_f32 v[50:51], v[4:5], v[10:11]
	s_delay_alu instid0(VALU_DEP_1) | instskip(SKIP_1) | instid1(VALU_DEP_2)
	v_pk_fma_f32 v[54:55], v[4:5], v[16:17], v[50:51] op_sel:[0,0,1] op_sel_hi:[1,1,0]
	v_pk_fma_f32 v[4:5], v[4:5], v[16:17], v[50:51] op_sel:[0,0,1] op_sel_hi:[1,1,0] neg_lo:[0,0,1] neg_hi:[0,0,1]
	v_dual_mov_b32 v7, v53 :: v_dual_mov_b32 v5, v55
	s_delay_alu instid0(VALU_DEP_1)
	v_pk_add_f32 v[4:5], v[6:7], v[4:5]
	v_pk_mul_f32 v[6:7], v[46:47], v[8:9] op_sel_hi:[0,1]
	global_store_b64 v[18:19], v[4:5], off offset:256
	global_load_b64 v[4:5], v[14:15], off offset:384
	v_pk_fma_f32 v[46:47], v[44:45], v[12:13], v[6:7] op_sel_hi:[0,1,1]
	v_pk_fma_f32 v[6:7], v[44:45], v[12:13], v[6:7] neg_lo:[0,0,1] neg_hi:[0,0,1]
	v_add_nc_u64_e32 v[44:45], s[28:29], v[62:63]
	s_wait_loadcnt 0x0
	s_wait_xcnt 0x0
	v_pk_mul_f32 v[14:15], v[4:5], v[10:11]
	s_delay_alu instid0(VALU_DEP_1) | instskip(SKIP_1) | instid1(VALU_DEP_2)
	v_pk_fma_f32 v[48:49], v[4:5], v[16:17], v[14:15] op_sel:[0,0,1] op_sel_hi:[1,1,0]
	v_pk_fma_f32 v[4:5], v[4:5], v[16:17], v[14:15] op_sel:[0,0,1] op_sel_hi:[1,1,0] neg_lo:[0,0,1] neg_hi:[0,0,1]
	v_dual_mov_b32 v7, v47 :: v_dual_mov_b32 v5, v49
	s_delay_alu instid0(VALU_DEP_1)
	v_pk_add_f32 v[4:5], v[6:7], v[4:5]
	v_pk_mul_f32 v[6:7], v[42:43], v[8:9] op_sel_hi:[0,1]
	global_store_b64 v[18:19], v[4:5], off offset:384
	global_load_b64 v[4:5], v[2:3], off
	v_pk_fma_f32 v[18:19], v[40:41], v[12:13], v[6:7] op_sel_hi:[0,1,1]
	v_pk_fma_f32 v[6:7], v[40:41], v[12:13], v[6:7] neg_lo:[0,0,1] neg_hi:[0,0,1]
	s_wait_loadcnt 0x0
	v_pk_mul_f32 v[14:15], v[4:5], v[10:11]
	s_delay_alu instid0(VALU_DEP_1) | instskip(SKIP_3) | instid1(VALU_DEP_4)
	v_pk_fma_f32 v[42:43], v[4:5], v[16:17], v[14:15] op_sel:[0,0,1] op_sel_hi:[1,1,0]
	v_pk_fma_f32 v[4:5], v[4:5], v[16:17], v[14:15] op_sel:[0,0,1] op_sel_hi:[1,1,0] neg_lo:[0,0,1] neg_hi:[0,0,1]
	v_mov_b32_e32 v7, v19
	v_add_nc_u64_e32 v[14:15], v[44:45], v[0:1]
	v_mov_b32_e32 v5, v43
	s_delay_alu instid0(VALU_DEP_1)
	v_pk_add_f32 v[0:1], v[6:7], v[4:5]
	v_pk_mul_f32 v[4:5], v[38:39], v[8:9] op_sel_hi:[0,1]
	global_store_b64 v[14:15], v[0:1], off
	global_load_b64 v[0:1], v[2:3], off offset:128
	v_pk_fma_f32 v[18:19], v[36:37], v[12:13], v[4:5] op_sel_hi:[0,1,1]
	v_pk_fma_f32 v[4:5], v[36:37], v[12:13], v[4:5] neg_lo:[0,0,1] neg_hi:[0,0,1]
	s_wait_loadcnt 0x0
	v_pk_mul_f32 v[6:7], v[0:1], v[10:11]
	s_delay_alu instid0(VALU_DEP_1) | instskip(SKIP_1) | instid1(VALU_DEP_2)
	v_pk_fma_f32 v[40:41], v[0:1], v[16:17], v[6:7] op_sel:[0,0,1] op_sel_hi:[1,1,0]
	v_pk_fma_f32 v[0:1], v[0:1], v[16:17], v[6:7] op_sel:[0,0,1] op_sel_hi:[1,1,0] neg_lo:[0,0,1] neg_hi:[0,0,1]
	v_dual_mov_b32 v5, v19 :: v_dual_mov_b32 v1, v41
	s_delay_alu instid0(VALU_DEP_1)
	v_pk_add_f32 v[0:1], v[4:5], v[0:1]
	v_pk_mul_f32 v[4:5], v[34:35], v[8:9] op_sel_hi:[0,1]
	global_store_b64 v[14:15], v[0:1], off offset:128
	global_load_b64 v[0:1], v[2:3], off offset:256
	v_pk_fma_f32 v[8:9], v[32:33], v[12:13], v[4:5] op_sel_hi:[0,1,1]
	v_pk_fma_f32 v[4:5], v[32:33], v[12:13], v[4:5] neg_lo:[0,0,1] neg_hi:[0,0,1]
	s_wait_loadcnt 0x0
	v_pk_mul_f32 v[6:7], v[0:1], v[10:11]
	s_delay_alu instid0(VALU_DEP_1) | instskip(SKIP_2) | instid1(VALU_DEP_3)
	v_pk_fma_f32 v[10:11], v[0:1], v[16:17], v[6:7] op_sel:[0,0,1] op_sel_hi:[1,1,0]
	v_pk_fma_f32 v[0:1], v[0:1], v[16:17], v[6:7] op_sel:[0,0,1] op_sel_hi:[1,1,0] neg_lo:[0,0,1] neg_hi:[0,0,1]
	v_dual_mov_b32 v5, v9 :: v_dual_mul_f32 v7, s26, v30
	v_mov_b32_e32 v1, v11
	s_delay_alu instid0(VALU_DEP_2) | instskip(NEXT) | instid1(VALU_DEP_2)
	v_fma_f32 v7, -v31, s14, v7
	v_pk_add_f32 v[0:1], v[4:5], v[0:1]
	global_store_b64 v[14:15], v[0:1], off offset:256
	global_load_b64 v[0:1], v[2:3], off offset:384
	s_wait_xcnt 0x0
	v_mov_b64_e32 v[2:3], s[20:21]
	s_wait_loadcnt 0x0
	v_dual_mul_f32 v4, s35, v1 :: v_dual_mov_b32 v5, v0
	s_delay_alu instid0(VALU_DEP_1) | instskip(SKIP_1) | instid1(VALU_DEP_1)
	v_fma_f32 v6, v0, s34, -v4
	v_dual_mov_b32 v0, v31 :: v_dual_mov_b32 v4, v30
	v_pk_mul_f32 v[0:1], v[0:1], v[2:3]
	v_mov_b64_e32 v[2:3], s[6:7]
	s_delay_alu instid0(VALU_DEP_1) | instskip(SKIP_1) | instid1(VALU_DEP_2)
	v_pk_fma_f32 v[2:3], v[4:5], v[2:3], v[0:1]
	v_add_nc_u64_e32 v[0:1], 0x180, v[14:15]
	v_dual_add_f32 v4, v7, v6 :: v_dual_add_f32 v2, v2, v3
	global_store_b32 v[14:15], v4, off offset:384
	s_branch .LBB505_2
.LBB505_10:
	s_sendmsg sendmsg(MSG_DEALLOC_VGPRS)
	s_endpgm
	.section	.rodata,"a",@progbits
	.p2align	6, 0x0
	.amdhsa_kernel _ZN12_GLOBAL__N_127rocblas_gemm_batched_kernelI19rocblas_complex_numIfELi16ELi16ELi64ELi64ELi4ELi64ELi4ELi4ELi64ELc67ELc67EKS2_S3_S2_EEvlllT_PT11_llS6_llS4_PT12_llPT13_lli
		.amdhsa_group_segment_fixed_size 4096
		.amdhsa_private_segment_fixed_size 0
		.amdhsa_kernarg_size 140
		.amdhsa_user_sgpr_count 2
		.amdhsa_user_sgpr_dispatch_ptr 0
		.amdhsa_user_sgpr_queue_ptr 0
		.amdhsa_user_sgpr_kernarg_segment_ptr 1
		.amdhsa_user_sgpr_dispatch_id 0
		.amdhsa_user_sgpr_kernarg_preload_length 0
		.amdhsa_user_sgpr_kernarg_preload_offset 0
		.amdhsa_user_sgpr_private_segment_size 0
		.amdhsa_wavefront_size32 1
		.amdhsa_uses_dynamic_stack 0
		.amdhsa_enable_private_segment 0
		.amdhsa_system_sgpr_workgroup_id_x 1
		.amdhsa_system_sgpr_workgroup_id_y 1
		.amdhsa_system_sgpr_workgroup_id_z 1
		.amdhsa_system_sgpr_workgroup_info 0
		.amdhsa_system_vgpr_workitem_id 1
		.amdhsa_next_free_vgpr 193
		.amdhsa_next_free_sgpr 44
		.amdhsa_named_barrier_count 0
		.amdhsa_reserve_vcc 1
		.amdhsa_float_round_mode_32 0
		.amdhsa_float_round_mode_16_64 0
		.amdhsa_float_denorm_mode_32 3
		.amdhsa_float_denorm_mode_16_64 3
		.amdhsa_fp16_overflow 0
		.amdhsa_memory_ordered 1
		.amdhsa_forward_progress 1
		.amdhsa_inst_pref_size 48
		.amdhsa_round_robin_scheduling 0
		.amdhsa_exception_fp_ieee_invalid_op 0
		.amdhsa_exception_fp_denorm_src 0
		.amdhsa_exception_fp_ieee_div_zero 0
		.amdhsa_exception_fp_ieee_overflow 0
		.amdhsa_exception_fp_ieee_underflow 0
		.amdhsa_exception_fp_ieee_inexact 0
		.amdhsa_exception_int_div_zero 0
	.end_amdhsa_kernel
	.section	.text._ZN12_GLOBAL__N_127rocblas_gemm_batched_kernelI19rocblas_complex_numIfELi16ELi16ELi64ELi64ELi4ELi64ELi4ELi4ELi64ELc67ELc67EKS2_S3_S2_EEvlllT_PT11_llS6_llS4_PT12_llPT13_lli,"axG",@progbits,_ZN12_GLOBAL__N_127rocblas_gemm_batched_kernelI19rocblas_complex_numIfELi16ELi16ELi64ELi64ELi4ELi64ELi4ELi4ELi64ELc67ELc67EKS2_S3_S2_EEvlllT_PT11_llS6_llS4_PT12_llPT13_lli,comdat
.Lfunc_end505:
	.size	_ZN12_GLOBAL__N_127rocblas_gemm_batched_kernelI19rocblas_complex_numIfELi16ELi16ELi64ELi64ELi4ELi64ELi4ELi4ELi64ELc67ELc67EKS2_S3_S2_EEvlllT_PT11_llS6_llS4_PT12_llPT13_lli, .Lfunc_end505-_ZN12_GLOBAL__N_127rocblas_gemm_batched_kernelI19rocblas_complex_numIfELi16ELi16ELi64ELi64ELi4ELi64ELi4ELi4ELi64ELc67ELc67EKS2_S3_S2_EEvlllT_PT11_llS6_llS4_PT12_llPT13_lli
                                        ; -- End function
	.set _ZN12_GLOBAL__N_127rocblas_gemm_batched_kernelI19rocblas_complex_numIfELi16ELi16ELi64ELi64ELi4ELi64ELi4ELi4ELi64ELc67ELc67EKS2_S3_S2_EEvlllT_PT11_llS6_llS4_PT12_llPT13_lli.num_vgpr, 193
	.set _ZN12_GLOBAL__N_127rocblas_gemm_batched_kernelI19rocblas_complex_numIfELi16ELi16ELi64ELi64ELi4ELi64ELi4ELi4ELi64ELc67ELc67EKS2_S3_S2_EEvlllT_PT11_llS6_llS4_PT12_llPT13_lli.num_agpr, 0
	.set _ZN12_GLOBAL__N_127rocblas_gemm_batched_kernelI19rocblas_complex_numIfELi16ELi16ELi64ELi64ELi4ELi64ELi4ELi4ELi64ELc67ELc67EKS2_S3_S2_EEvlllT_PT11_llS6_llS4_PT12_llPT13_lli.numbered_sgpr, 44
	.set _ZN12_GLOBAL__N_127rocblas_gemm_batched_kernelI19rocblas_complex_numIfELi16ELi16ELi64ELi64ELi4ELi64ELi4ELi4ELi64ELc67ELc67EKS2_S3_S2_EEvlllT_PT11_llS6_llS4_PT12_llPT13_lli.num_named_barrier, 0
	.set _ZN12_GLOBAL__N_127rocblas_gemm_batched_kernelI19rocblas_complex_numIfELi16ELi16ELi64ELi64ELi4ELi64ELi4ELi4ELi64ELc67ELc67EKS2_S3_S2_EEvlllT_PT11_llS6_llS4_PT12_llPT13_lli.private_seg_size, 0
	.set _ZN12_GLOBAL__N_127rocblas_gemm_batched_kernelI19rocblas_complex_numIfELi16ELi16ELi64ELi64ELi4ELi64ELi4ELi4ELi64ELc67ELc67EKS2_S3_S2_EEvlllT_PT11_llS6_llS4_PT12_llPT13_lli.uses_vcc, 1
	.set _ZN12_GLOBAL__N_127rocblas_gemm_batched_kernelI19rocblas_complex_numIfELi16ELi16ELi64ELi64ELi4ELi64ELi4ELi4ELi64ELc67ELc67EKS2_S3_S2_EEvlllT_PT11_llS6_llS4_PT12_llPT13_lli.uses_flat_scratch, 0
	.set _ZN12_GLOBAL__N_127rocblas_gemm_batched_kernelI19rocblas_complex_numIfELi16ELi16ELi64ELi64ELi4ELi64ELi4ELi4ELi64ELc67ELc67EKS2_S3_S2_EEvlllT_PT11_llS6_llS4_PT12_llPT13_lli.has_dyn_sized_stack, 0
	.set _ZN12_GLOBAL__N_127rocblas_gemm_batched_kernelI19rocblas_complex_numIfELi16ELi16ELi64ELi64ELi4ELi64ELi4ELi4ELi64ELc67ELc67EKS2_S3_S2_EEvlllT_PT11_llS6_llS4_PT12_llPT13_lli.has_recursion, 0
	.set _ZN12_GLOBAL__N_127rocblas_gemm_batched_kernelI19rocblas_complex_numIfELi16ELi16ELi64ELi64ELi4ELi64ELi4ELi4ELi64ELc67ELc67EKS2_S3_S2_EEvlllT_PT11_llS6_llS4_PT12_llPT13_lli.has_indirect_call, 0
	.section	.AMDGPU.csdata,"",@progbits
; Kernel info:
; codeLenInByte = 6052
; TotalNumSgprs: 46
; NumVgprs: 193
; ScratchSize: 0
; MemoryBound: 0
; FloatMode: 240
; IeeeMode: 1
; LDSByteSize: 4096 bytes/workgroup (compile time only)
; SGPRBlocks: 0
; VGPRBlocks: 12
; NumSGPRsForWavesPerEU: 46
; NumVGPRsForWavesPerEU: 193
; NamedBarCnt: 0
; Occupancy: 4
; WaveLimiterHint : 1
; COMPUTE_PGM_RSRC2:SCRATCH_EN: 0
; COMPUTE_PGM_RSRC2:USER_SGPR: 2
; COMPUTE_PGM_RSRC2:TRAP_HANDLER: 0
; COMPUTE_PGM_RSRC2:TGID_X_EN: 1
; COMPUTE_PGM_RSRC2:TGID_Y_EN: 1
; COMPUTE_PGM_RSRC2:TGID_Z_EN: 1
; COMPUTE_PGM_RSRC2:TIDIG_COMP_CNT: 1
	.section	.text._ZN12_GLOBAL__N_127rocblas_gemm_batched_kernelI19rocblas_complex_numIfELi16ELi16ELi64ELi64ELi4ELi64ELi4ELi4ELi64ELc67ELc78EKS2_S3_S2_EEvlllT_PT11_llS6_llS4_PT12_llPT13_lli,"axG",@progbits,_ZN12_GLOBAL__N_127rocblas_gemm_batched_kernelI19rocblas_complex_numIfELi16ELi16ELi64ELi64ELi4ELi64ELi4ELi4ELi64ELc67ELc78EKS2_S3_S2_EEvlllT_PT11_llS6_llS4_PT12_llPT13_lli,comdat
	.globl	_ZN12_GLOBAL__N_127rocblas_gemm_batched_kernelI19rocblas_complex_numIfELi16ELi16ELi64ELi64ELi4ELi64ELi4ELi4ELi64ELc67ELc78EKS2_S3_S2_EEvlllT_PT11_llS6_llS4_PT12_llPT13_lli ; -- Begin function _ZN12_GLOBAL__N_127rocblas_gemm_batched_kernelI19rocblas_complex_numIfELi16ELi16ELi64ELi64ELi4ELi64ELi4ELi4ELi64ELc67ELc78EKS2_S3_S2_EEvlllT_PT11_llS6_llS4_PT12_llPT13_lli
	.p2align	8
	.type	_ZN12_GLOBAL__N_127rocblas_gemm_batched_kernelI19rocblas_complex_numIfELi16ELi16ELi64ELi64ELi4ELi64ELi4ELi4ELi64ELc67ELc78EKS2_S3_S2_EEvlllT_PT11_llS6_llS4_PT12_llPT13_lli,@function
_ZN12_GLOBAL__N_127rocblas_gemm_batched_kernelI19rocblas_complex_numIfELi16ELi16ELi64ELi64ELi4ELi64ELi4ELi4ELi64ELc67ELc78EKS2_S3_S2_EEvlllT_PT11_llS6_llS4_PT12_llPT13_lli: ; @_ZN12_GLOBAL__N_127rocblas_gemm_batched_kernelI19rocblas_complex_numIfELi16ELi16ELi64ELi64ELi4ELi64ELi4ELi4ELi64ELc67ELc78EKS2_S3_S2_EEvlllT_PT11_llS6_llS4_PT12_llPT13_lli
; %bb.0:
	s_load_b32 s33, s[0:1], 0x88
	s_bfe_u32 s2, ttmp6, 0x40014
	s_lshr_b32 s3, ttmp7, 16
	s_add_co_i32 s2, s2, 1
	s_bfe_u32 s4, ttmp6, 0x40008
	s_mul_i32 s2, s3, s2
	s_getreg_b32 s24, hwreg(HW_REG_IB_STS2, 6, 4)
	s_add_co_i32 s4, s4, s2
	s_cmp_eq_u32 s24, 0
	s_cselect_b32 s2, s3, s4
	s_mov_b32 s3, 0
	s_wait_kmcnt 0x0
	s_cmp_ge_i32 s2, s33
	s_cbranch_scc1 .LBB506_10
; %bb.1:
	s_load_b256 s[12:19], s[0:1], 0x20
	v_bfe_u32 v2, v0, 10, 10
	v_and_b32_e32 v4, 0x3ff, v0
	s_bfe_u32 s25, ttmp6, 0x4000c
	s_bfe_u32 s27, ttmp6, 0x40010
	s_add_co_i32 s25, s25, 1
	s_and_b32 s34, ttmp7, 0xffff
	s_add_co_i32 s27, s27, 1
	s_and_b32 s26, ttmp6, 15
	s_mul_i32 s25, ttmp9, s25
	s_mul_i32 s27, s34, s27
	s_bfe_u32 s35, ttmp6, 0x40004
	v_lshl_add_u32 v5, v2, 4, v4
	s_add_co_i32 s26, s26, s25
	s_add_co_i32 s35, s35, s27
	s_cmp_eq_u32 s24, 0
	s_clause 0x2
	s_load_b128 s[28:31], s[0:1], 0x40
	s_load_b128 s[20:23], s[0:1], 0x78
	s_load_b256 s[4:11], s[0:1], 0x58
	s_cselect_b32 s24, ttmp9, s26
	v_dual_mov_b32 v3, 0 :: v_dual_bitop2_b32 v13, 63, v5 bitop3:0x40
	s_cselect_b32 s26, s34, s35
	s_ashr_i32 s25, s24, 31
	s_lshl_b32 s38, s26, 6
	s_lshl_b64 s[36:37], s[24:25], 6
	s_delay_alu instid0(SALU_CYCLE_1) | instskip(SKIP_4) | instid1(VALU_DEP_2)
	v_dual_mov_b32 v9, s37 :: v_dual_lshrrev_b32 v6, 2, v5
	v_dual_mov_b32 v7, v3 :: v_dual_bitop2_b32 v8, s36, v13 bitop3:0x54
	s_mov_b32 s39, s3
	v_dual_lshlrev_b32 v12, 3, v0 :: v_dual_lshrrev_b32 v14, 6, v5
	s_wait_kmcnt 0x0
	v_mul_u64_e32 v[0:1], s[14:15], v[8:9]
	v_add_nc_u64_e32 v[8:9], s[38:39], v[6:7]
	v_add_nc_u64_e32 v[10:11], s[38:39], v[2:3]
	v_dual_lshlrev_b32 v13, 3, v13 :: v_dual_bitop2_b32 v12, 24, v12 bitop3:0x40
	s_clause 0x1
	s_load_b64 s[34:35], s[0:1], 0x50
	s_load_b128 s[24:27], s[0:1], 0x10
	v_lshl_add_u32 v39, v2, 5, 0x800
	v_mul_u64_e32 v[8:9], s[28:29], v[8:9]
	v_lshl_or_b32 v15, v6, 5, v12
	v_mul_u64_e32 v[6:7], s[6:7], v[10:11]
	v_mul_u64_e32 v[20:21], s[20:21], v[10:11]
	v_lshlrev_b32_e32 v2, 3, v14
	v_lshl_or_b32 v33, v14, 9, v13
	v_dual_mov_b32 v13, v3 :: v_dual_mov_b32 v5, v3
	v_lshlrev_b32_e32 v37, 3, v4
	v_add_nc_u32_e32 v35, 0x800, v15
	s_delay_alu instid0(VALU_DEP_3)
	v_add_nc_u64_e32 v[22:23], s[36:37], v[4:5]
	s_wait_kmcnt 0x0
	s_or_b32 s0, s34, s35
	s_mov_b32 s14, s27
	s_bitset0_b32 s0, 31
	s_mov_b32 s15, s26
	s_cmp_eq_u32 s0, 0
	v_cmp_gt_i64_e64 s0, s[24:25], 0
	s_cselect_b32 s1, -1, 0
	v_lshl_add_u64 v[0:1], v[0:1], 3, v[2:3]
	s_lshl_b64 s[36:37], s[20:21], 4
	s_lshl_b64 s[38:39], s[6:7], 4
	s_mov_b32 s6, s27
	s_mov_b32 s7, s35
	v_add_nc_u64_e32 v[0:1], s[12:13], v[0:1]
	v_cndmask_b32_e64 v4, 0, 1, s0
	s_mov_b32 s20, s26
	v_lshl_add_u64 v[2:3], v[8:9], 3, v[12:13]
	s_mov_b32 s21, s34
	v_lshl_add_u64 v[24:25], v[6:7], 3, s[4:5]
	v_cmp_ne_u32_e64 s0, 1, v4
	v_add_nc_u64_e32 v[26:27], 4, v[0:1]
	v_add_nc_u64_e32 v[28:29], s[18:19], v[2:3]
	s_mov_b32 s28, s34
	s_mov_b32 s29, s34
	;; [unrolled: 1-line block ×4, first 2 shown]
	s_lshl_b64 s[4:5], s[16:17], 3
	s_lshl_b64 s[16:17], s[30:31], 3
	s_lshl_b64 s[18:19], s[38:39], 3
	s_lshl_b64 s[30:31], s[36:37], 3
	s_branch .LBB506_3
.LBB506_2:                              ;   in Loop: Header=BB506_3 Depth=1
	s_add_co_i32 s2, s2, 0x10000
	global_store_b32 v[0:1], v2, off offset:4
	s_cmp_lt_i32 s2, s33
	s_cbranch_scc0 .LBB506_10
.LBB506_3:                              ; =>This Loop Header: Depth=1
                                        ;     Child Loop BB506_5 Depth 2
	v_dual_mov_b32 v31, 0 :: v_dual_mov_b32 v30, 0
	v_dual_mov_b32 v88, 0 :: v_dual_mov_b32 v90, 0
	;; [unrolled: 1-line block ×16, first 2 shown]
	s_and_b32 vcc_lo, exec_lo, s0
	s_cbranch_vccnz .LBB506_6
; %bb.4:                                ;   in Loop: Header=BB506_3 Depth=1
	v_mad_nc_u64_u32 v[92:93], s4, s2, v[26:27]
	v_mad_nc_u64_u32 v[94:95], s16, s2, v[28:29]
	v_dual_mov_b32 v34, 0 :: v_dual_mov_b32 v32, 0
	v_dual_mov_b32 v38, 0 :: v_dual_mov_b32 v36, 0
	v_dual_mov_b32 v42, 0 :: v_dual_mov_b32 v40, 0
	v_dual_mov_b32 v46, 0 :: v_dual_mov_b32 v44, 0
	v_dual_mov_b32 v50, 0 :: v_dual_mov_b32 v48, 0
	v_mad_u32 v93, s5, s2, v93
	v_mad_u32 v95, s17, s2, v95
	v_dual_mov_b32 v54, 0 :: v_dual_mov_b32 v52, 0
	v_dual_mov_b32 v58, 0 :: v_dual_mov_b32 v56, 0
	;; [unrolled: 1-line block ×11, first 2 shown]
	s_mov_b64 s[36:37], 0
.LBB506_5:                              ;   Parent Loop BB506_3 Depth=1
                                        ; =>  This Inner Loop Header: Depth=2
	global_load_b64 v[0:1], v[92:93], off offset:-4
	global_load_b64 v[2:3], v[94:95], off
	s_add_nc_u64 s[36:37], s[36:37], 4
	s_wait_xcnt 0x1
	v_add_nc_u64_e32 v[92:93], 32, v[92:93]
	v_cmp_lt_i64_e64 s38, s[36:37], s[24:25]
	s_wait_xcnt 0x0
	v_add_nc_u64_e32 v[94:95], 32, v[94:95]
	s_and_b32 vcc_lo, exec_lo, s38
	s_wait_loadcnt 0x1
	v_xor_b32_e32 v1, 0x80000000, v1
	s_wait_loadcnt 0x0
	ds_store_b64 v35, v[2:3]
	ds_store_b64 v33, v[0:1]
	s_wait_dscnt 0x0
	s_barrier_signal -1
	s_barrier_wait -1
	ds_load_2addr_b64 v[0:3], v37 offset1:16
	ds_load_b128 v[8:11], v39
	ds_load_2addr_b64 v[4:7], v37 offset0:32 offset1:48
	ds_load_2addr_b64 v[12:15], v37 offset0:64 offset1:80
	;; [unrolled: 1-line block ×3, first 2 shown]
	ds_load_b128 v[96:99], v39 offset:16
	ds_load_2addr_b64 v[100:103], v37 offset0:128 offset1:144
	ds_load_2addr_b64 v[104:107], v37 offset0:160 offset1:176
	;; [unrolled: 1-line block ×4, first 2 shown]
	ds_load_b128 v[116:119], v39 offset:512
	ds_load_b128 v[120:123], v39 offset:528
	;; [unrolled: 1-line block ×6, first 2 shown]
	s_wait_dscnt 0x0
	s_barrier_signal -1
	s_barrier_wait -1
	v_dual_mul_f32 v41, v9, v1 :: v_dual_mul_f32 v43, v8, v1
	v_dual_mul_f32 v45, v9, v3 :: v_dual_mul_f32 v47, v8, v3
	;; [unrolled: 1-line block ×27, first 2 shown]
	v_dual_fma_f32 v41, v8, v0, -v41 :: v_dual_fmac_f32 v43, v9, v0
	v_dual_fma_f32 v45, v8, v2, -v45 :: v_dual_fmac_f32 v47, v9, v2
	;; [unrolled: 1-line block ×8, first 2 shown]
	v_pk_mul_f32 v[8:9], v[132:133], v[6:7] op_sel:[1,1] op_sel_hi:[0,1]
	v_dual_mul_f32 v5, v135, v13 :: v_dual_mul_f32 v166, v134, v13
	v_dual_mov_b32 v10, v135 :: v_dual_mov_b32 v11, v134
	v_dual_fma_f32 v73, v116, v0, -v73 :: v_dual_fmac_f32 v75, v117, v0
	v_dual_fma_f32 v77, v116, v2, -v77 :: v_dual_fmac_f32 v79, v117, v2
	;; [unrolled: 1-line block ×19, first 2 shown]
	v_pk_fma_f32 v[0:1], v[132:133], v[6:7], v[8:9] neg_lo:[0,0,1] neg_hi:[0,0,1]
	v_pk_fma_f32 v[2:3], v[132:133], v[6:7], v[8:9] op_sel_hi:[1,0,1]
	v_dual_fma_f32 v133, v134, v12, -v5 :: v_dual_fmac_f32 v166, v135, v12
	v_pk_mul_f32 v[4:5], v[10:11], v[18:19] op_sel:[0,1]
	v_dual_mul_f32 v13, v135, v15 :: v_dual_mul_f32 v119, v134, v15
	v_dual_mul_f32 v15, v135, v17 :: v_dual_mul_f32 v17, v134, v17
	;; [unrolled: 1-line block ×4, first 2 shown]
	v_pk_fma_f32 v[6:7], v[134:135], v[18:19], v[4:5] neg_lo:[0,0,1] neg_hi:[0,0,1]
	v_pk_fma_f32 v[4:5], v[134:135], v[18:19], v[4:5] op_sel_hi:[1,0,1]
	v_dual_mul_f32 v127, v97, v101 :: v_dual_mul_f32 v150, v96, v101
	v_dual_mul_f32 v8, v97, v107 :: v_dual_mul_f32 v132, v96, v107
	v_dual_fma_f32 v162, v134, v14, -v13 :: v_dual_fmac_f32 v119, v135, v14
	v_dual_mul_f32 v9, v99, v109 :: v_dual_mul_f32 v167, v98, v109
	v_dual_fma_f32 v168, v134, v16, -v15 :: v_dual_fmac_f32 v17, v135, v16
	v_dual_mul_f32 v4, v99, v111 :: v_dual_mul_f32 v16, v98, v111
	v_dual_mul_f32 v7, v99, v113 :: v_dual_mul_f32 v18, v98, v113
	;; [unrolled: 1-line block ×3, first 2 shown]
	v_dual_fma_f32 v135, v96, v102, -v156 :: v_dual_fmac_f32 v158, v97, v102
	v_dual_fma_f32 v156, v96, v104, -v1 :: v_dual_fmac_f32 v2, v97, v104
	v_dual_mul_f32 v1, v121, v103 :: v_dual_mul_f32 v11, v121, v101
	v_mul_f32_e32 v134, v120, v101
	v_dual_fma_f32 v127, v96, v100, -v127 :: v_dual_fmac_f32 v150, v97, v100
	v_fma_f32 v96, v96, v106, -v8
	v_dual_fmac_f32 v132, v97, v106 :: v_dual_fmac_f32 v167, v99, v108
	v_dual_fma_f32 v97, v98, v108, -v9 :: v_dual_fma_f32 v4, v98, v110, -v4
	v_dual_fma_f32 v169, v98, v112, -v7 :: v_dual_fmac_f32 v16, v99, v110
	v_fmac_f32_e32 v18, v99, v112
	v_dual_fma_f32 v98, v98, v114, -v10 :: v_dual_fmac_f32 v19, v99, v114
	v_dual_mul_f32 v99, v120, v103 :: v_dual_mul_f32 v7, v121, v105
	v_dual_mul_f32 v170, v120, v105 :: v_dual_fma_f32 v172, v120, v102, -v1
	v_dual_mul_f32 v1, v121, v107 :: v_dual_fma_f32 v171, v120, v100, -v11
	v_fmac_f32_e32 v134, v121, v100
	s_delay_alu instid0(VALU_DEP_3) | instskip(NEXT) | instid1(VALU_DEP_3)
	v_dual_fma_f32 v173, v120, v104, -v7 :: v_dual_fmac_f32 v170, v121, v104
	v_dual_fma_f32 v174, v120, v106, -v1 :: v_dual_mul_f32 v120, v120, v107
	v_dual_mul_f32 v1, v123, v109 :: v_dual_mul_f32 v175, v122, v109
	v_dual_fmac_f32 v99, v121, v102 :: v_dual_mul_f32 v177, v122, v111
	s_delay_alu instid0(VALU_DEP_2) | instskip(NEXT) | instid1(VALU_DEP_3)
	v_dual_fmac_f32 v120, v121, v106 :: v_dual_fma_f32 v121, v122, v108, -v1
	v_dual_fmac_f32 v175, v123, v108 :: v_dual_mul_f32 v1, v123, v111
	s_delay_alu instid0(VALU_DEP_3) | instskip(SKIP_1) | instid1(VALU_DEP_3)
	v_dual_fmac_f32 v177, v123, v110 :: v_dual_mul_f32 v179, v122, v113
	v_dual_mul_f32 v181, v128, v101 :: v_dual_mul_f32 v183, v128, v103
	v_dual_fma_f32 v176, v122, v110, -v1 :: v_dual_mul_f32 v1, v123, v113
	s_delay_alu instid0(VALU_DEP_3) | instskip(NEXT) | instid1(VALU_DEP_3)
	v_fmac_f32_e32 v179, v123, v112
	v_dual_fmac_f32 v181, v129, v100 :: v_dual_mul_f32 v185, v128, v105
	s_delay_alu instid0(VALU_DEP_3) | instskip(SKIP_1) | instid1(VALU_DEP_3)
	v_dual_fmac_f32 v183, v129, v102 :: v_dual_fma_f32 v178, v122, v112, -v1
	v_dual_mul_f32 v1, v123, v115 :: v_dual_mul_f32 v187, v130, v109
	v_dual_fmac_f32 v185, v129, v104 :: v_dual_mul_f32 v189, v130, v111
	v_mul_f32_e32 v191, v130, v113
	s_delay_alu instid0(VALU_DEP_3) | instskip(NEXT) | instid1(VALU_DEP_3)
	v_dual_fma_f32 v180, v122, v114, -v1 :: v_dual_mul_f32 v122, v122, v115
	v_dual_mul_f32 v1, v129, v101 :: v_dual_fmac_f32 v189, v131, v110
	v_fmac_f32_e32 v187, v131, v108
	s_delay_alu instid0(VALU_DEP_4) | instskip(NEXT) | instid1(VALU_DEP_3)
	v_fmac_f32_e32 v191, v131, v112
	v_dual_fmac_f32 v122, v123, v114 :: v_dual_fma_f32 v123, v128, v100, -v1
	v_mul_f32_e32 v1, v129, v103
	v_pk_mul_f32 v[8:9], v[136:137], v[106:107] op_sel:[1,1] op_sel_hi:[0,1]
	v_dual_mov_b32 v12, v139 :: v_dual_mov_b32 v13, v138
	v_add_f32_e32 v36, v36, v154
	s_delay_alu instid0(VALU_DEP_4) | instskip(NEXT) | instid1(VALU_DEP_4)
	v_dual_fma_f32 v182, v128, v102, -v1 :: v_dual_mul_f32 v1, v129, v105
	v_pk_fma_f32 v[10:11], v[136:137], v[106:107], v[8:9] neg_lo:[0,0,1] neg_hi:[0,0,1]
	v_pk_fma_f32 v[8:9], v[136:137], v[106:107], v[8:9] op_sel_hi:[1,0,1]
	v_pk_mul_f32 v[12:13], v[12:13], v[114:115] op_sel:[0,1]
	v_add_f32_e32 v72, v72, v75
	v_dual_fma_f32 v184, v128, v104, -v1 :: v_dual_mul_f32 v1, v129, v107
	v_dual_add_f32 v68, v68, v77 :: v_dual_add_f32 v70, v70, v79
	s_delay_alu instid0(VALU_DEP_4) | instskip(SKIP_1) | instid1(VALU_DEP_4)
	v_pk_fma_f32 v[14:15], v[138:139], v[114:115], v[12:13] neg_lo:[0,0,1] neg_hi:[0,0,1]
	v_pk_fma_f32 v[12:13], v[138:139], v[114:115], v[12:13] op_sel_hi:[1,0,1]
	v_dual_fma_f32 v186, v128, v106, -v1 :: v_dual_mul_f32 v128, v128, v107
	v_dual_mul_f32 v1, v131, v109 :: v_dual_mul_f32 v107, v138, v111
	v_dual_add_f32 v12, v88, v41 :: v_dual_add_f32 v41, v90, v43
	s_delay_alu instid0(VALU_DEP_2) | instskip(SKIP_3) | instid1(VALU_DEP_3)
	v_dual_fmac_f32 v128, v129, v106 :: v_dual_fma_f32 v129, v130, v108, -v1
	v_dual_mul_f32 v1, v131, v111 :: v_dual_add_f32 v43, v84, v45
	v_add_f32_e32 v45, v86, v47
	v_dual_add_f32 v47, v82, v49 :: v_dual_add_f32 v49, v80, v51
	v_dual_fma_f32 v188, v130, v110, -v1 :: v_dual_mul_f32 v1, v131, v113
	v_dual_add_f32 v51, v76, v53 :: v_dual_add_f32 v53, v78, v55
	v_add_f32_e32 v55, v74, v73
	v_dual_add_f32 v64, v64, v81 :: v_dual_add_f32 v66, v66, v83
	s_delay_alu instid0(VALU_DEP_4) | instskip(SKIP_2) | instid1(VALU_DEP_3)
	v_dual_fma_f32 v190, v130, v112, -v1 :: v_dual_mul_f32 v1, v131, v115
	v_dual_add_f32 v60, v60, v85 :: v_dual_add_f32 v62, v62, v87
	v_dual_add_f32 v56, v56, v140 :: v_dual_add_f32 v58, v58, v147
	v_dual_fma_f32 v192, v130, v114, -v1 :: v_dual_mul_f32 v130, v130, v115
	v_dual_mul_f32 v1, v137, v101 :: v_dual_mul_f32 v101, v136, v101
	v_dual_add_f32 v52, v52, v142 :: v_dual_add_f32 v54, v54, v149
	s_delay_alu instid0(VALU_DEP_2) | instskip(NEXT) | instid1(VALU_DEP_3)
	v_dual_fmac_f32 v130, v131, v114 :: v_dual_fma_f32 v131, v136, v100, -v1
	v_dual_mul_f32 v1, v137, v103 :: v_dual_fmac_f32 v101, v137, v100
	v_mul_f32_e32 v103, v136, v103
	v_dual_add_f32 v48, v48, v144 :: v_dual_add_f32 v50, v50, v151
	s_delay_alu instid0(VALU_DEP_3) | instskip(NEXT) | instid1(VALU_DEP_3)
	v_dual_fma_f32 v100, v136, v102, -v1 :: v_dual_mul_f32 v1, v137, v105
	v_dual_mul_f32 v105, v136, v105 :: v_dual_fmac_f32 v103, v137, v102
	v_dual_add_f32 v44, v44, v124 :: v_dual_add_f32 v46, v46, v153
	s_delay_alu instid0(VALU_DEP_3) | instskip(NEXT) | instid1(VALU_DEP_3)
	v_dual_fma_f32 v102, v136, v104, -v1 :: v_dual_mul_f32 v1, v139, v109
	v_dual_fmac_f32 v105, v137, v104 :: v_dual_mul_f32 v104, v138, v109
	v_dual_mul_f32 v109, v138, v113 :: v_dual_add_f32 v40, v40, v152
	v_add_f32_e32 v42, v42, v163
	s_delay_alu instid0(VALU_DEP_3) | instskip(NEXT) | instid1(VALU_DEP_3)
	v_dual_fma_f32 v8, v138, v108, -v1 :: v_dual_fmac_f32 v104, v139, v108
	v_dual_mul_f32 v1, v139, v111 :: v_dual_fmac_f32 v109, v139, v112
	v_dual_add_f32 v32, v32, v160 :: v_dual_add_f32 v34, v34, v165
	v_dual_mov_b32 v7, v5 :: v_dual_mov_b32 v15, v13
	s_delay_alu instid0(VALU_DEP_3) | instskip(SKIP_3) | instid1(VALU_DEP_3)
	v_dual_fma_f32 v106, v138, v110, -v1 :: v_dual_fmac_f32 v107, v139, v110
	v_dual_mul_f32 v1, v139, v113 :: v_dual_mov_b32 v11, v9
	v_dual_add_f32 v5, v12, v57 :: v_dual_add_f32 v9, v41, v59
	v_dual_add_f32 v12, v43, v61 :: v_dual_add_f32 v13, v45, v63
	v_dual_fma_f32 v108, v138, v112, -v1 :: v_dual_mov_b32 v1, v3
	v_dual_add_f32 v3, v38, v164 :: v_dual_add_f32 v38, v51, v69
	v_dual_add_f32 v41, v53, v71 :: v_dual_add_f32 v43, v55, v89
	v_add_f32_e32 v45, v72, v91
	s_delay_alu instid0(VALU_DEP_4)
	v_pk_add_f32 v[0:1], v[30:31], v[0:1]
	v_dual_add_f32 v30, v47, v65 :: v_dual_add_f32 v31, v49, v67
	v_dual_add_f32 v47, v68, v116 :: v_dual_add_f32 v49, v70, v141
	;; [unrolled: 1-line block ×11, first 2 shown]
	v_pk_add_f32 v[0:1], v[0:1], v[6:7]
	v_add_f32_e32 v5, v5, v127
	v_dual_add_f32 v6, v9, v150 :: v_dual_add_f32 v7, v12, v135
	v_dual_add_f32 v9, v13, v158 :: v_dual_add_f32 v13, v38, v96
	;; [unrolled: 1-line block ×6, first 2 shown]
	v_add_f32_e32 v45, v53, v170
	v_dual_add_f32 v47, v55, v174 :: v_dual_add_f32 v49, v57, v120
	v_dual_add_f32 v51, v56, v123 :: v_dual_add_f32 v53, v58, v181
	;; [unrolled: 1-line block ×8, first 2 shown]
	v_pk_add_f32 v[0:1], v[0:1], v[10:11]
	v_dual_add_f32 v88, v5, v97 :: v_dual_add_f32 v90, v6, v167
	v_dual_add_f32 v84, v7, v4 :: v_dual_add_f32 v82, v12, v169
	;; [unrolled: 1-line block ×15, first 2 shown]
	v_pk_add_f32 v[30:31], v[0:1], v[14:15]
	s_cbranch_vccnz .LBB506_5
.LBB506_6:                              ;   in Loop: Header=BB506_3 Depth=1
	s_mul_u64 s[36:37], s[22:23], s[2:3]
	s_and_not1_b32 vcc_lo, exec_lo, s1
	s_lshl_b64 s[36:37], s[36:37], 3
	s_mov_b32 s38, -1
	s_add_nc_u64 s[36:37], s[10:11], s[36:37]
                                        ; implicit-def: $vgpr2
                                        ; implicit-def: $vgpr0_vgpr1
	s_cbranch_vccz .LBB506_8
; %bb.7:                                ;   in Loop: Header=BB506_3 Depth=1
	s_and_not1_b32 vcc_lo, exec_lo, s38
	s_cbranch_vccnz .LBB506_2
	s_branch .LBB506_9
.LBB506_8:                              ;   in Loop: Header=BB506_3 Depth=1
	s_wait_xcnt 0x0
	v_mov_b64_e32 v[0:1], s[14:15]
	v_mov_b64_e32 v[6:7], s[26:27]
	v_lshlrev_b64_e32 v[2:3], 3, v[22:23]
	v_lshl_add_u64 v[4:5], v[20:21], 3, s[36:37]
	s_delay_alu instid0(VALU_DEP_4)
	v_pk_mul_f32 v[8:9], v[90:91], v[0:1] op_sel_hi:[0,1]
	v_pk_mul_f32 v[10:11], v[86:87], v[0:1] op_sel_hi:[0,1]
	;; [unrolled: 1-line block ×4, first 2 shown]
	v_add_nc_u64_e32 v[16:17], v[4:5], v[2:3]
	v_pk_fma_f32 v[18:19], v[88:89], v[6:7], v[8:9] neg_lo:[0,0,1] neg_hi:[0,0,1]
	v_pk_fma_f32 v[8:9], v[88:89], v[6:7], v[8:9] op_sel_hi:[0,1,1]
	v_pk_fma_f32 v[92:93], v[84:85], v[6:7], v[10:11] op_sel_hi:[0,1,1]
	;; [unrolled: 1-line block ×4, first 2 shown]
	v_pk_fma_f32 v[10:11], v[84:85], v[6:7], v[10:11] neg_lo:[0,0,1] neg_hi:[0,0,1]
	s_delay_alu instid0(VALU_DEP_4)
	v_dual_mov_b32 v19, v9 :: v_dual_mov_b32 v11, v93
	v_pk_fma_f32 v[8:9], v[82:83], v[6:7], v[12:13] neg_lo:[0,0,1] neg_hi:[0,0,1]
	v_mov_b32_e32 v9, v95
	v_pk_fma_f32 v[12:13], v[76:77], v[6:7], v[14:15] neg_lo:[0,0,1] neg_hi:[0,0,1]
	v_mov_b32_e32 v13, v97
	v_pk_mul_f32 v[14:15], v[72:73], v[0:1] op_sel_hi:[0,1]
	s_clause 0x3
	global_store_b64 v[16:17], v[18:19], off
	global_store_b64 v[16:17], v[10:11], off offset:128
	global_store_b64 v[16:17], v[8:9], off offset:256
	;; [unrolled: 1-line block ×3, first 2 shown]
	s_wait_xcnt 0x1
	v_pk_mul_f32 v[8:9], v[70:71], v[0:1] op_sel_hi:[0,1]
	s_wait_xcnt 0x0
	v_pk_mul_f32 v[16:17], v[66:67], v[0:1] op_sel_hi:[0,1]
	v_add_nc_u64_e32 v[4:5], s[30:31], v[4:5]
	v_pk_fma_f32 v[12:13], v[74:75], v[6:7], v[14:15] op_sel_hi:[0,1,1]
	v_pk_mul_f32 v[92:93], v[62:63], v[0:1] op_sel_hi:[0,1]
	v_pk_fma_f32 v[18:19], v[68:69], v[6:7], v[8:9] op_sel_hi:[0,1,1]
	v_pk_fma_f32 v[14:15], v[74:75], v[6:7], v[14:15] neg_lo:[0,0,1] neg_hi:[0,0,1]
	v_pk_fma_f32 v[8:9], v[68:69], v[6:7], v[8:9] neg_lo:[0,0,1] neg_hi:[0,0,1]
	v_mov_b32_e32 v15, v13
	v_pk_fma_f32 v[12:13], v[64:65], v[6:7], v[16:17] op_sel_hi:[0,1,1]
	v_mov_b32_e32 v9, v19
	v_pk_fma_f32 v[18:19], v[60:61], v[6:7], v[92:93] op_sel_hi:[0,1,1]
	v_add_nc_u64_e32 v[10:11], v[4:5], v[2:3]
	v_pk_fma_f32 v[16:17], v[64:65], v[6:7], v[16:17] neg_lo:[0,0,1] neg_hi:[0,0,1]
	v_mov_b32_e32 v17, v13
	v_pk_fma_f32 v[12:13], v[60:61], v[6:7], v[92:93] neg_lo:[0,0,1] neg_hi:[0,0,1]
	v_mov_b32_e32 v13, v19
	v_pk_mul_f32 v[18:19], v[58:59], v[0:1] op_sel_hi:[0,1]
	v_add_nc_u64_e32 v[4:5], s[30:31], v[4:5]
	s_clause 0x3
	global_store_b64 v[10:11], v[14:15], off
	global_store_b64 v[10:11], v[8:9], off offset:128
	global_store_b64 v[10:11], v[16:17], off offset:256
	;; [unrolled: 1-line block ×3, first 2 shown]
	s_wait_xcnt 0x0
	v_pk_mul_f32 v[10:11], v[54:55], v[0:1] op_sel_hi:[0,1]
	v_pk_mul_f32 v[14:15], v[50:51], v[0:1] op_sel_hi:[0,1]
	v_pk_fma_f32 v[12:13], v[56:57], v[6:7], v[18:19] op_sel_hi:[0,1,1]
	v_pk_fma_f32 v[16:17], v[56:57], v[6:7], v[18:19] neg_lo:[0,0,1] neg_hi:[0,0,1]
	v_pk_mul_f32 v[18:19], v[46:47], v[0:1] op_sel_hi:[0,1]
	v_pk_fma_f32 v[92:93], v[52:53], v[6:7], v[10:11] op_sel_hi:[0,1,1]
	v_add_nc_u64_e32 v[8:9], v[4:5], v[2:3]
	v_mov_b32_e32 v17, v13
	v_pk_fma_f32 v[12:13], v[48:49], v[6:7], v[14:15] op_sel_hi:[0,1,1]
	v_pk_fma_f32 v[94:95], v[44:45], v[6:7], v[18:19] op_sel_hi:[0,1,1]
	v_pk_fma_f32 v[10:11], v[52:53], v[6:7], v[10:11] neg_lo:[0,0,1] neg_hi:[0,0,1]
	v_mov_b32_e32 v11, v93
	v_pk_fma_f32 v[14:15], v[48:49], v[6:7], v[14:15] neg_lo:[0,0,1] neg_hi:[0,0,1]
	v_mov_b32_e32 v15, v13
	v_pk_fma_f32 v[12:13], v[44:45], v[6:7], v[18:19] neg_lo:[0,0,1] neg_hi:[0,0,1]
	v_mov_b32_e32 v13, v95
	v_add_nc_u64_e32 v[4:5], s[30:31], v[4:5]
	v_pk_mul_f32 v[18:19], v[42:43], v[0:1] op_sel_hi:[0,1]
	s_clause 0x3
	global_store_b64 v[8:9], v[16:17], off
	global_store_b64 v[8:9], v[10:11], off offset:128
	global_store_b64 v[8:9], v[14:15], off offset:256
	;; [unrolled: 1-line block ×3, first 2 shown]
	s_wait_xcnt 0x0
	v_pk_mul_f32 v[8:9], v[38:39], v[0:1] op_sel_hi:[0,1]
	v_pk_fma_f32 v[10:11], v[40:41], v[6:7], v[18:19] op_sel_hi:[0,1,1]
	v_add_nc_u64_e32 v[4:5], v[4:5], v[2:3]
	v_pk_mul_f32 v[2:3], v[34:35], v[0:1] op_sel_hi:[0,1]
	s_delay_alu instid0(VALU_DEP_4)
	v_pk_fma_f32 v[14:15], v[36:37], v[6:7], v[8:9] op_sel_hi:[0,1,1]
	v_pk_fma_f32 v[12:13], v[40:41], v[6:7], v[18:19] neg_lo:[0,0,1] neg_hi:[0,0,1]
	v_pk_fma_f32 v[8:9], v[36:37], v[6:7], v[8:9] neg_lo:[0,0,1] neg_hi:[0,0,1]
	v_mov_b32_e32 v13, v11
	v_pk_fma_f32 v[10:11], v[32:33], v[6:7], v[2:3] op_sel_hi:[0,1,1]
	v_mov_b32_e32 v9, v15
	v_pk_mul_f32 v[14:15], v[30:31], v[0:1]
	v_mul_f32_e32 v10, s26, v30
	v_add_nc_u64_e32 v[0:1], 0x180, v[4:5]
	v_pk_fma_f32 v[6:7], v[32:33], v[6:7], v[2:3] neg_lo:[0,0,1] neg_hi:[0,0,1]
	s_delay_alu instid0(VALU_DEP_4) | instskip(NEXT) | instid1(VALU_DEP_4)
	v_dual_mov_b32 v7, v11 :: v_dual_add_f32 v2, v14, v15
	v_fma_f32 v3, -v31, s14, v10
	s_clause 0x3
	global_store_b64 v[4:5], v[12:13], off
	global_store_b64 v[4:5], v[8:9], off offset:128
	global_store_b64 v[4:5], v[6:7], off offset:256
	global_store_b32 v[4:5], v3, off offset:384
	s_cbranch_execnz .LBB506_2
.LBB506_9:                              ;   in Loop: Header=BB506_3 Depth=1
	s_mul_u64 s[38:39], s[8:9], s[2:3]
	s_wait_xcnt 0x0
	v_lshlrev_b64_e32 v[0:1], 3, v[22:23]
	s_wait_xcnt 0x0
	v_lshl_add_u64 v[2:3], s[38:39], 3, v[24:25]
	v_mov_b64_e32 v[8:9], s[14:15]
	v_mov_b64_e32 v[10:11], s[12:13]
	;; [unrolled: 1-line block ×4, first 2 shown]
	v_lshl_add_u64 v[94:95], v[20:21], 3, s[36:37]
	v_add_nc_u64_e32 v[4:5], v[2:3], v[0:1]
	v_add_nc_u64_e32 v[2:3], s[18:19], v[2:3]
	v_pk_mul_f32 v[14:15], v[90:91], v[8:9] op_sel_hi:[0,1]
	s_delay_alu instid0(VALU_DEP_1) | instskip(SKIP_4) | instid1(VALU_DEP_1)
	v_pk_fma_f32 v[90:91], v[88:89], v[12:13], v[14:15] op_sel_hi:[0,1,1]
	global_load_b64 v[6:7], v[4:5], off
	v_pk_fma_f32 v[14:15], v[88:89], v[12:13], v[14:15] neg_lo:[0,0,1] neg_hi:[0,0,1]
	s_wait_loadcnt 0x0
	v_pk_mul_f32 v[18:19], v[6:7], v[10:11]
	v_pk_fma_f32 v[92:93], v[6:7], v[16:17], v[18:19] op_sel:[0,0,1] op_sel_hi:[1,1,0]
	v_pk_fma_f32 v[6:7], v[6:7], v[16:17], v[18:19] op_sel:[0,0,1] op_sel_hi:[1,1,0] neg_lo:[0,0,1] neg_hi:[0,0,1]
	v_mov_b32_e32 v15, v91
	v_add_nc_u64_e32 v[18:19], v[94:95], v[0:1]
	s_delay_alu instid0(VALU_DEP_4) | instskip(NEXT) | instid1(VALU_DEP_1)
	v_mov_b32_e32 v7, v93
	v_pk_add_f32 v[6:7], v[14:15], v[6:7]
	v_pk_mul_f32 v[14:15], v[86:87], v[8:9] op_sel_hi:[0,1]
	global_store_b64 v[18:19], v[6:7], off
	global_load_b64 v[6:7], v[4:5], off offset:128
	v_pk_fma_f32 v[88:89], v[84:85], v[12:13], v[14:15] op_sel_hi:[0,1,1]
	v_pk_fma_f32 v[14:15], v[84:85], v[12:13], v[14:15] neg_lo:[0,0,1] neg_hi:[0,0,1]
	s_wait_loadcnt 0x0
	v_pk_mul_f32 v[86:87], v[6:7], v[10:11]
	s_delay_alu instid0(VALU_DEP_1) | instskip(SKIP_1) | instid1(VALU_DEP_2)
	v_pk_fma_f32 v[90:91], v[6:7], v[16:17], v[86:87] op_sel:[0,0,1] op_sel_hi:[1,1,0]
	v_pk_fma_f32 v[6:7], v[6:7], v[16:17], v[86:87] op_sel:[0,0,1] op_sel_hi:[1,1,0] neg_lo:[0,0,1] neg_hi:[0,0,1]
	v_dual_mov_b32 v15, v89 :: v_dual_mov_b32 v7, v91
	s_delay_alu instid0(VALU_DEP_1)
	v_pk_add_f32 v[6:7], v[14:15], v[6:7]
	v_pk_mul_f32 v[14:15], v[80:81], v[8:9] op_sel_hi:[0,1]
	global_store_b64 v[18:19], v[6:7], off offset:128
	global_load_b64 v[6:7], v[4:5], off offset:256
	v_pk_fma_f32 v[84:85], v[82:83], v[12:13], v[14:15] op_sel_hi:[0,1,1]
	v_pk_fma_f32 v[14:15], v[82:83], v[12:13], v[14:15] neg_lo:[0,0,1] neg_hi:[0,0,1]
	s_wait_loadcnt 0x0
	v_pk_mul_f32 v[80:81], v[6:7], v[10:11]
	s_delay_alu instid0(VALU_DEP_1) | instskip(SKIP_1) | instid1(VALU_DEP_2)
	v_pk_fma_f32 v[86:87], v[6:7], v[16:17], v[80:81] op_sel:[0,0,1] op_sel_hi:[1,1,0]
	v_pk_fma_f32 v[6:7], v[6:7], v[16:17], v[80:81] op_sel:[0,0,1] op_sel_hi:[1,1,0] neg_lo:[0,0,1] neg_hi:[0,0,1]
	v_dual_mov_b32 v15, v85 :: v_dual_mov_b32 v7, v87
	s_delay_alu instid0(VALU_DEP_1) | instskip(SKIP_4) | instid1(VALU_DEP_1)
	v_pk_add_f32 v[6:7], v[14:15], v[6:7]
	global_store_b64 v[18:19], v[6:7], off offset:256
	global_load_b64 v[4:5], v[4:5], off offset:384
	s_wait_xcnt 0x1
	v_pk_mul_f32 v[6:7], v[78:79], v[8:9] op_sel_hi:[0,1]
	v_pk_fma_f32 v[78:79], v[76:77], v[12:13], v[6:7] op_sel_hi:[0,1,1]
	v_pk_fma_f32 v[6:7], v[76:77], v[12:13], v[6:7] neg_lo:[0,0,1] neg_hi:[0,0,1]
	s_wait_loadcnt 0x0
	v_pk_mul_f32 v[14:15], v[4:5], v[10:11]
	s_delay_alu instid0(VALU_DEP_1)
	v_pk_fma_f32 v[80:81], v[4:5], v[16:17], v[14:15] op_sel:[0,0,1] op_sel_hi:[1,1,0]
	s_wait_xcnt 0x0
	v_pk_fma_f32 v[4:5], v[4:5], v[16:17], v[14:15] op_sel:[0,0,1] op_sel_hi:[1,1,0] neg_lo:[0,0,1] neg_hi:[0,0,1]
	v_mov_b32_e32 v7, v79
	v_add_nc_u64_e32 v[14:15], v[2:3], v[0:1]
	v_add_nc_u64_e32 v[78:79], s[30:31], v[94:95]
	v_mov_b32_e32 v5, v81
	v_add_nc_u64_e32 v[2:3], s[18:19], v[2:3]
	s_delay_alu instid0(VALU_DEP_2)
	v_pk_add_f32 v[4:5], v[6:7], v[4:5]
	v_pk_mul_f32 v[6:7], v[72:73], v[8:9] op_sel_hi:[0,1]
	global_store_b64 v[18:19], v[4:5], off offset:384
	global_load_b64 v[4:5], v[14:15], off
	v_pk_fma_f32 v[72:73], v[74:75], v[12:13], v[6:7] op_sel_hi:[0,1,1]
	v_pk_fma_f32 v[6:7], v[74:75], v[12:13], v[6:7] neg_lo:[0,0,1] neg_hi:[0,0,1]
	s_wait_loadcnt 0x0
	v_pk_mul_f32 v[18:19], v[4:5], v[10:11]
	s_delay_alu instid0(VALU_DEP_1) | instskip(SKIP_3) | instid1(VALU_DEP_4)
	v_pk_fma_f32 v[76:77], v[4:5], v[16:17], v[18:19] op_sel:[0,0,1] op_sel_hi:[1,1,0]
	v_pk_fma_f32 v[4:5], v[4:5], v[16:17], v[18:19] op_sel:[0,0,1] op_sel_hi:[1,1,0] neg_lo:[0,0,1] neg_hi:[0,0,1]
	v_mov_b32_e32 v7, v73
	v_add_nc_u64_e32 v[18:19], v[78:79], v[0:1]
	v_mov_b32_e32 v5, v77
	s_delay_alu instid0(VALU_DEP_1)
	v_pk_add_f32 v[4:5], v[6:7], v[4:5]
	v_pk_mul_f32 v[6:7], v[70:71], v[8:9] op_sel_hi:[0,1]
	global_store_b64 v[18:19], v[4:5], off
	global_load_b64 v[4:5], v[14:15], off offset:128
	v_pk_fma_f32 v[72:73], v[68:69], v[12:13], v[6:7] op_sel_hi:[0,1,1]
	v_pk_fma_f32 v[6:7], v[68:69], v[12:13], v[6:7] neg_lo:[0,0,1] neg_hi:[0,0,1]
	s_wait_loadcnt 0x0
	v_pk_mul_f32 v[70:71], v[4:5], v[10:11]
	s_delay_alu instid0(VALU_DEP_1) | instskip(SKIP_1) | instid1(VALU_DEP_2)
	v_pk_fma_f32 v[74:75], v[4:5], v[16:17], v[70:71] op_sel:[0,0,1] op_sel_hi:[1,1,0]
	v_pk_fma_f32 v[4:5], v[4:5], v[16:17], v[70:71] op_sel:[0,0,1] op_sel_hi:[1,1,0] neg_lo:[0,0,1] neg_hi:[0,0,1]
	v_dual_mov_b32 v7, v73 :: v_dual_mov_b32 v5, v75
	s_delay_alu instid0(VALU_DEP_1)
	v_pk_add_f32 v[4:5], v[6:7], v[4:5]
	v_pk_mul_f32 v[6:7], v[66:67], v[8:9] op_sel_hi:[0,1]
	global_store_b64 v[18:19], v[4:5], off offset:128
	global_load_b64 v[4:5], v[14:15], off offset:256
	v_pk_fma_f32 v[68:69], v[64:65], v[12:13], v[6:7] op_sel_hi:[0,1,1]
	v_pk_fma_f32 v[6:7], v[64:65], v[12:13], v[6:7] neg_lo:[0,0,1] neg_hi:[0,0,1]
	s_wait_loadcnt 0x0
	v_pk_mul_f32 v[66:67], v[4:5], v[10:11]
	s_delay_alu instid0(VALU_DEP_1) | instskip(SKIP_1) | instid1(VALU_DEP_2)
	v_pk_fma_f32 v[70:71], v[4:5], v[16:17], v[66:67] op_sel:[0,0,1] op_sel_hi:[1,1,0]
	v_pk_fma_f32 v[4:5], v[4:5], v[16:17], v[66:67] op_sel:[0,0,1] op_sel_hi:[1,1,0] neg_lo:[0,0,1] neg_hi:[0,0,1]
	v_dual_mov_b32 v7, v69 :: v_dual_mov_b32 v5, v71
	s_delay_alu instid0(VALU_DEP_1)
	v_pk_add_f32 v[4:5], v[6:7], v[4:5]
	v_pk_mul_f32 v[6:7], v[62:63], v[8:9] op_sel_hi:[0,1]
	global_store_b64 v[18:19], v[4:5], off offset:256
	global_load_b64 v[4:5], v[14:15], off offset:384
	v_pk_fma_f32 v[62:63], v[60:61], v[12:13], v[6:7] op_sel_hi:[0,1,1]
	v_pk_fma_f32 v[6:7], v[60:61], v[12:13], v[6:7] neg_lo:[0,0,1] neg_hi:[0,0,1]
	s_wait_loadcnt 0x0
	s_wait_xcnt 0x0
	v_pk_mul_f32 v[14:15], v[4:5], v[10:11]
	s_delay_alu instid0(VALU_DEP_1)
	v_pk_fma_f32 v[64:65], v[4:5], v[16:17], v[14:15] op_sel:[0,0,1] op_sel_hi:[1,1,0]
	v_pk_fma_f32 v[4:5], v[4:5], v[16:17], v[14:15] op_sel:[0,0,1] op_sel_hi:[1,1,0] neg_lo:[0,0,1] neg_hi:[0,0,1]
	v_mov_b32_e32 v7, v63
	v_add_nc_u64_e32 v[14:15], v[2:3], v[0:1]
	v_add_nc_u64_e32 v[62:63], s[30:31], v[78:79]
	v_mov_b32_e32 v5, v65
	v_add_nc_u64_e32 v[2:3], s[18:19], v[2:3]
	s_delay_alu instid0(VALU_DEP_2) | instskip(SKIP_1) | instid1(VALU_DEP_3)
	v_pk_add_f32 v[4:5], v[6:7], v[4:5]
	v_pk_mul_f32 v[6:7], v[58:59], v[8:9] op_sel_hi:[0,1]
	v_add_nc_u64_e32 v[2:3], v[2:3], v[0:1]
	global_store_b64 v[18:19], v[4:5], off offset:384
	global_load_b64 v[4:5], v[14:15], off
	v_pk_fma_f32 v[58:59], v[56:57], v[12:13], v[6:7] op_sel_hi:[0,1,1]
	v_pk_fma_f32 v[6:7], v[56:57], v[12:13], v[6:7] neg_lo:[0,0,1] neg_hi:[0,0,1]
	s_wait_loadcnt 0x0
	v_pk_mul_f32 v[18:19], v[4:5], v[10:11]
	s_delay_alu instid0(VALU_DEP_1) | instskip(SKIP_3) | instid1(VALU_DEP_4)
	v_pk_fma_f32 v[60:61], v[4:5], v[16:17], v[18:19] op_sel:[0,0,1] op_sel_hi:[1,1,0]
	v_pk_fma_f32 v[4:5], v[4:5], v[16:17], v[18:19] op_sel:[0,0,1] op_sel_hi:[1,1,0] neg_lo:[0,0,1] neg_hi:[0,0,1]
	v_mov_b32_e32 v7, v59
	v_add_nc_u64_e32 v[18:19], v[62:63], v[0:1]
	v_mov_b32_e32 v5, v61
	s_delay_alu instid0(VALU_DEP_1)
	v_pk_add_f32 v[4:5], v[6:7], v[4:5]
	v_pk_mul_f32 v[6:7], v[54:55], v[8:9] op_sel_hi:[0,1]
	global_store_b64 v[18:19], v[4:5], off
	global_load_b64 v[4:5], v[14:15], off offset:128
	v_pk_fma_f32 v[56:57], v[52:53], v[12:13], v[6:7] op_sel_hi:[0,1,1]
	v_pk_fma_f32 v[6:7], v[52:53], v[12:13], v[6:7] neg_lo:[0,0,1] neg_hi:[0,0,1]
	s_wait_loadcnt 0x0
	v_pk_mul_f32 v[54:55], v[4:5], v[10:11]
	s_delay_alu instid0(VALU_DEP_1) | instskip(SKIP_1) | instid1(VALU_DEP_2)
	v_pk_fma_f32 v[58:59], v[4:5], v[16:17], v[54:55] op_sel:[0,0,1] op_sel_hi:[1,1,0]
	v_pk_fma_f32 v[4:5], v[4:5], v[16:17], v[54:55] op_sel:[0,0,1] op_sel_hi:[1,1,0] neg_lo:[0,0,1] neg_hi:[0,0,1]
	v_dual_mov_b32 v7, v57 :: v_dual_mov_b32 v5, v59
	s_delay_alu instid0(VALU_DEP_1)
	v_pk_add_f32 v[4:5], v[6:7], v[4:5]
	v_pk_mul_f32 v[6:7], v[50:51], v[8:9] op_sel_hi:[0,1]
	global_store_b64 v[18:19], v[4:5], off offset:128
	global_load_b64 v[4:5], v[14:15], off offset:256
	v_pk_fma_f32 v[52:53], v[48:49], v[12:13], v[6:7] op_sel_hi:[0,1,1]
	v_pk_fma_f32 v[6:7], v[48:49], v[12:13], v[6:7] neg_lo:[0,0,1] neg_hi:[0,0,1]
	s_wait_loadcnt 0x0
	v_pk_mul_f32 v[50:51], v[4:5], v[10:11]
	s_delay_alu instid0(VALU_DEP_1) | instskip(SKIP_1) | instid1(VALU_DEP_2)
	v_pk_fma_f32 v[54:55], v[4:5], v[16:17], v[50:51] op_sel:[0,0,1] op_sel_hi:[1,1,0]
	v_pk_fma_f32 v[4:5], v[4:5], v[16:17], v[50:51] op_sel:[0,0,1] op_sel_hi:[1,1,0] neg_lo:[0,0,1] neg_hi:[0,0,1]
	v_dual_mov_b32 v7, v53 :: v_dual_mov_b32 v5, v55
	s_delay_alu instid0(VALU_DEP_1)
	v_pk_add_f32 v[4:5], v[6:7], v[4:5]
	v_pk_mul_f32 v[6:7], v[46:47], v[8:9] op_sel_hi:[0,1]
	global_store_b64 v[18:19], v[4:5], off offset:256
	global_load_b64 v[4:5], v[14:15], off offset:384
	v_pk_fma_f32 v[46:47], v[44:45], v[12:13], v[6:7] op_sel_hi:[0,1,1]
	v_pk_fma_f32 v[6:7], v[44:45], v[12:13], v[6:7] neg_lo:[0,0,1] neg_hi:[0,0,1]
	v_add_nc_u64_e32 v[44:45], s[30:31], v[62:63]
	s_wait_loadcnt 0x0
	s_wait_xcnt 0x0
	v_pk_mul_f32 v[14:15], v[4:5], v[10:11]
	s_delay_alu instid0(VALU_DEP_1) | instskip(SKIP_1) | instid1(VALU_DEP_2)
	v_pk_fma_f32 v[48:49], v[4:5], v[16:17], v[14:15] op_sel:[0,0,1] op_sel_hi:[1,1,0]
	v_pk_fma_f32 v[4:5], v[4:5], v[16:17], v[14:15] op_sel:[0,0,1] op_sel_hi:[1,1,0] neg_lo:[0,0,1] neg_hi:[0,0,1]
	v_dual_mov_b32 v7, v47 :: v_dual_mov_b32 v5, v49
	s_delay_alu instid0(VALU_DEP_1)
	v_pk_add_f32 v[4:5], v[6:7], v[4:5]
	v_pk_mul_f32 v[6:7], v[42:43], v[8:9] op_sel_hi:[0,1]
	global_store_b64 v[18:19], v[4:5], off offset:384
	global_load_b64 v[4:5], v[2:3], off
	v_pk_fma_f32 v[18:19], v[40:41], v[12:13], v[6:7] op_sel_hi:[0,1,1]
	v_pk_fma_f32 v[6:7], v[40:41], v[12:13], v[6:7] neg_lo:[0,0,1] neg_hi:[0,0,1]
	s_wait_loadcnt 0x0
	v_pk_mul_f32 v[14:15], v[4:5], v[10:11]
	s_delay_alu instid0(VALU_DEP_1) | instskip(SKIP_3) | instid1(VALU_DEP_4)
	v_pk_fma_f32 v[42:43], v[4:5], v[16:17], v[14:15] op_sel:[0,0,1] op_sel_hi:[1,1,0]
	v_pk_fma_f32 v[4:5], v[4:5], v[16:17], v[14:15] op_sel:[0,0,1] op_sel_hi:[1,1,0] neg_lo:[0,0,1] neg_hi:[0,0,1]
	v_mov_b32_e32 v7, v19
	v_add_nc_u64_e32 v[14:15], v[44:45], v[0:1]
	v_mov_b32_e32 v5, v43
	s_delay_alu instid0(VALU_DEP_1)
	v_pk_add_f32 v[0:1], v[6:7], v[4:5]
	v_pk_mul_f32 v[4:5], v[38:39], v[8:9] op_sel_hi:[0,1]
	global_store_b64 v[14:15], v[0:1], off
	global_load_b64 v[0:1], v[2:3], off offset:128
	v_pk_fma_f32 v[18:19], v[36:37], v[12:13], v[4:5] op_sel_hi:[0,1,1]
	v_pk_fma_f32 v[4:5], v[36:37], v[12:13], v[4:5] neg_lo:[0,0,1] neg_hi:[0,0,1]
	s_wait_loadcnt 0x0
	v_pk_mul_f32 v[6:7], v[0:1], v[10:11]
	s_delay_alu instid0(VALU_DEP_1) | instskip(SKIP_1) | instid1(VALU_DEP_2)
	v_pk_fma_f32 v[40:41], v[0:1], v[16:17], v[6:7] op_sel:[0,0,1] op_sel_hi:[1,1,0]
	v_pk_fma_f32 v[0:1], v[0:1], v[16:17], v[6:7] op_sel:[0,0,1] op_sel_hi:[1,1,0] neg_lo:[0,0,1] neg_hi:[0,0,1]
	v_dual_mov_b32 v5, v19 :: v_dual_mov_b32 v1, v41
	s_delay_alu instid0(VALU_DEP_1)
	v_pk_add_f32 v[0:1], v[4:5], v[0:1]
	v_pk_mul_f32 v[4:5], v[34:35], v[8:9] op_sel_hi:[0,1]
	global_store_b64 v[14:15], v[0:1], off offset:128
	global_load_b64 v[0:1], v[2:3], off offset:256
	v_pk_fma_f32 v[8:9], v[32:33], v[12:13], v[4:5] op_sel_hi:[0,1,1]
	v_pk_fma_f32 v[4:5], v[32:33], v[12:13], v[4:5] neg_lo:[0,0,1] neg_hi:[0,0,1]
	s_wait_loadcnt 0x0
	v_pk_mul_f32 v[6:7], v[0:1], v[10:11]
	s_delay_alu instid0(VALU_DEP_1) | instskip(SKIP_2) | instid1(VALU_DEP_3)
	v_pk_fma_f32 v[10:11], v[0:1], v[16:17], v[6:7] op_sel:[0,0,1] op_sel_hi:[1,1,0]
	v_pk_fma_f32 v[0:1], v[0:1], v[16:17], v[6:7] op_sel:[0,0,1] op_sel_hi:[1,1,0] neg_lo:[0,0,1] neg_hi:[0,0,1]
	v_dual_mov_b32 v5, v9 :: v_dual_mul_f32 v7, s26, v30
	v_mov_b32_e32 v1, v11
	s_delay_alu instid0(VALU_DEP_2) | instskip(NEXT) | instid1(VALU_DEP_2)
	v_fma_f32 v7, -v31, s14, v7
	v_pk_add_f32 v[0:1], v[4:5], v[0:1]
	global_store_b64 v[14:15], v[0:1], off offset:256
	global_load_b64 v[0:1], v[2:3], off offset:384
	s_wait_xcnt 0x0
	v_mov_b64_e32 v[2:3], s[20:21]
	s_wait_loadcnt 0x0
	v_dual_mul_f32 v4, s35, v1 :: v_dual_mov_b32 v5, v0
	s_delay_alu instid0(VALU_DEP_1) | instskip(SKIP_1) | instid1(VALU_DEP_1)
	v_fma_f32 v6, v0, s34, -v4
	v_dual_mov_b32 v0, v31 :: v_dual_mov_b32 v4, v30
	v_pk_mul_f32 v[0:1], v[0:1], v[2:3]
	v_mov_b64_e32 v[2:3], s[6:7]
	s_delay_alu instid0(VALU_DEP_1) | instskip(SKIP_1) | instid1(VALU_DEP_2)
	v_pk_fma_f32 v[2:3], v[4:5], v[2:3], v[0:1]
	v_add_nc_u64_e32 v[0:1], 0x180, v[14:15]
	v_dual_add_f32 v4, v7, v6 :: v_dual_add_f32 v2, v2, v3
	global_store_b32 v[14:15], v4, off offset:384
	s_branch .LBB506_2
.LBB506_10:
	s_sendmsg sendmsg(MSG_DEALLOC_VGPRS)
	s_endpgm
	.section	.rodata,"a",@progbits
	.p2align	6, 0x0
	.amdhsa_kernel _ZN12_GLOBAL__N_127rocblas_gemm_batched_kernelI19rocblas_complex_numIfELi16ELi16ELi64ELi64ELi4ELi64ELi4ELi4ELi64ELc67ELc78EKS2_S3_S2_EEvlllT_PT11_llS6_llS4_PT12_llPT13_lli
		.amdhsa_group_segment_fixed_size 4096
		.amdhsa_private_segment_fixed_size 0
		.amdhsa_kernarg_size 140
		.amdhsa_user_sgpr_count 2
		.amdhsa_user_sgpr_dispatch_ptr 0
		.amdhsa_user_sgpr_queue_ptr 0
		.amdhsa_user_sgpr_kernarg_segment_ptr 1
		.amdhsa_user_sgpr_dispatch_id 0
		.amdhsa_user_sgpr_kernarg_preload_length 0
		.amdhsa_user_sgpr_kernarg_preload_offset 0
		.amdhsa_user_sgpr_private_segment_size 0
		.amdhsa_wavefront_size32 1
		.amdhsa_uses_dynamic_stack 0
		.amdhsa_enable_private_segment 0
		.amdhsa_system_sgpr_workgroup_id_x 1
		.amdhsa_system_sgpr_workgroup_id_y 1
		.amdhsa_system_sgpr_workgroup_id_z 1
		.amdhsa_system_sgpr_workgroup_info 0
		.amdhsa_system_vgpr_workitem_id 1
		.amdhsa_next_free_vgpr 193
		.amdhsa_next_free_sgpr 40
		.amdhsa_named_barrier_count 0
		.amdhsa_reserve_vcc 1
		.amdhsa_float_round_mode_32 0
		.amdhsa_float_round_mode_16_64 0
		.amdhsa_float_denorm_mode_32 3
		.amdhsa_float_denorm_mode_16_64 3
		.amdhsa_fp16_overflow 0
		.amdhsa_memory_ordered 1
		.amdhsa_forward_progress 1
		.amdhsa_inst_pref_size 48
		.amdhsa_round_robin_scheduling 0
		.amdhsa_exception_fp_ieee_invalid_op 0
		.amdhsa_exception_fp_denorm_src 0
		.amdhsa_exception_fp_ieee_div_zero 0
		.amdhsa_exception_fp_ieee_overflow 0
		.amdhsa_exception_fp_ieee_underflow 0
		.amdhsa_exception_fp_ieee_inexact 0
		.amdhsa_exception_int_div_zero 0
	.end_amdhsa_kernel
	.section	.text._ZN12_GLOBAL__N_127rocblas_gemm_batched_kernelI19rocblas_complex_numIfELi16ELi16ELi64ELi64ELi4ELi64ELi4ELi4ELi64ELc67ELc78EKS2_S3_S2_EEvlllT_PT11_llS6_llS4_PT12_llPT13_lli,"axG",@progbits,_ZN12_GLOBAL__N_127rocblas_gemm_batched_kernelI19rocblas_complex_numIfELi16ELi16ELi64ELi64ELi4ELi64ELi4ELi4ELi64ELc67ELc78EKS2_S3_S2_EEvlllT_PT11_llS6_llS4_PT12_llPT13_lli,comdat
.Lfunc_end506:
	.size	_ZN12_GLOBAL__N_127rocblas_gemm_batched_kernelI19rocblas_complex_numIfELi16ELi16ELi64ELi64ELi4ELi64ELi4ELi4ELi64ELc67ELc78EKS2_S3_S2_EEvlllT_PT11_llS6_llS4_PT12_llPT13_lli, .Lfunc_end506-_ZN12_GLOBAL__N_127rocblas_gemm_batched_kernelI19rocblas_complex_numIfELi16ELi16ELi64ELi64ELi4ELi64ELi4ELi4ELi64ELc67ELc78EKS2_S3_S2_EEvlllT_PT11_llS6_llS4_PT12_llPT13_lli
                                        ; -- End function
	.set _ZN12_GLOBAL__N_127rocblas_gemm_batched_kernelI19rocblas_complex_numIfELi16ELi16ELi64ELi64ELi4ELi64ELi4ELi4ELi64ELc67ELc78EKS2_S3_S2_EEvlllT_PT11_llS6_llS4_PT12_llPT13_lli.num_vgpr, 193
	.set _ZN12_GLOBAL__N_127rocblas_gemm_batched_kernelI19rocblas_complex_numIfELi16ELi16ELi64ELi64ELi4ELi64ELi4ELi4ELi64ELc67ELc78EKS2_S3_S2_EEvlllT_PT11_llS6_llS4_PT12_llPT13_lli.num_agpr, 0
	.set _ZN12_GLOBAL__N_127rocblas_gemm_batched_kernelI19rocblas_complex_numIfELi16ELi16ELi64ELi64ELi4ELi64ELi4ELi4ELi64ELc67ELc78EKS2_S3_S2_EEvlllT_PT11_llS6_llS4_PT12_llPT13_lli.numbered_sgpr, 40
	.set _ZN12_GLOBAL__N_127rocblas_gemm_batched_kernelI19rocblas_complex_numIfELi16ELi16ELi64ELi64ELi4ELi64ELi4ELi4ELi64ELc67ELc78EKS2_S3_S2_EEvlllT_PT11_llS6_llS4_PT12_llPT13_lli.num_named_barrier, 0
	.set _ZN12_GLOBAL__N_127rocblas_gemm_batched_kernelI19rocblas_complex_numIfELi16ELi16ELi64ELi64ELi4ELi64ELi4ELi4ELi64ELc67ELc78EKS2_S3_S2_EEvlllT_PT11_llS6_llS4_PT12_llPT13_lli.private_seg_size, 0
	.set _ZN12_GLOBAL__N_127rocblas_gemm_batched_kernelI19rocblas_complex_numIfELi16ELi16ELi64ELi64ELi4ELi64ELi4ELi4ELi64ELc67ELc78EKS2_S3_S2_EEvlllT_PT11_llS6_llS4_PT12_llPT13_lli.uses_vcc, 1
	.set _ZN12_GLOBAL__N_127rocblas_gemm_batched_kernelI19rocblas_complex_numIfELi16ELi16ELi64ELi64ELi4ELi64ELi4ELi4ELi64ELc67ELc78EKS2_S3_S2_EEvlllT_PT11_llS6_llS4_PT12_llPT13_lli.uses_flat_scratch, 0
	.set _ZN12_GLOBAL__N_127rocblas_gemm_batched_kernelI19rocblas_complex_numIfELi16ELi16ELi64ELi64ELi4ELi64ELi4ELi4ELi64ELc67ELc78EKS2_S3_S2_EEvlllT_PT11_llS6_llS4_PT12_llPT13_lli.has_dyn_sized_stack, 0
	.set _ZN12_GLOBAL__N_127rocblas_gemm_batched_kernelI19rocblas_complex_numIfELi16ELi16ELi64ELi64ELi4ELi64ELi4ELi4ELi64ELc67ELc78EKS2_S3_S2_EEvlllT_PT11_llS6_llS4_PT12_llPT13_lli.has_recursion, 0
	.set _ZN12_GLOBAL__N_127rocblas_gemm_batched_kernelI19rocblas_complex_numIfELi16ELi16ELi64ELi64ELi4ELi64ELi4ELi4ELi64ELc67ELc78EKS2_S3_S2_EEvlllT_PT11_llS6_llS4_PT12_llPT13_lli.has_indirect_call, 0
	.section	.AMDGPU.csdata,"",@progbits
; Kernel info:
; codeLenInByte = 6048
; TotalNumSgprs: 42
; NumVgprs: 193
; ScratchSize: 0
; MemoryBound: 0
; FloatMode: 240
; IeeeMode: 1
; LDSByteSize: 4096 bytes/workgroup (compile time only)
; SGPRBlocks: 0
; VGPRBlocks: 12
; NumSGPRsForWavesPerEU: 42
; NumVGPRsForWavesPerEU: 193
; NamedBarCnt: 0
; Occupancy: 4
; WaveLimiterHint : 1
; COMPUTE_PGM_RSRC2:SCRATCH_EN: 0
; COMPUTE_PGM_RSRC2:USER_SGPR: 2
; COMPUTE_PGM_RSRC2:TRAP_HANDLER: 0
; COMPUTE_PGM_RSRC2:TGID_X_EN: 1
; COMPUTE_PGM_RSRC2:TGID_Y_EN: 1
; COMPUTE_PGM_RSRC2:TGID_Z_EN: 1
; COMPUTE_PGM_RSRC2:TIDIG_COMP_CNT: 1
	.section	.text._ZN12_GLOBAL__N_127rocblas_gemm_batched_kernelI19rocblas_complex_numIfELi16ELi16ELi64ELi64ELi4ELi64ELi4ELi4ELi64ELc67ELc84EKS2_S3_S2_EEvlllT_PT11_llS6_llS4_PT12_llPT13_lli,"axG",@progbits,_ZN12_GLOBAL__N_127rocblas_gemm_batched_kernelI19rocblas_complex_numIfELi16ELi16ELi64ELi64ELi4ELi64ELi4ELi4ELi64ELc67ELc84EKS2_S3_S2_EEvlllT_PT11_llS6_llS4_PT12_llPT13_lli,comdat
	.globl	_ZN12_GLOBAL__N_127rocblas_gemm_batched_kernelI19rocblas_complex_numIfELi16ELi16ELi64ELi64ELi4ELi64ELi4ELi4ELi64ELc67ELc84EKS2_S3_S2_EEvlllT_PT11_llS6_llS4_PT12_llPT13_lli ; -- Begin function _ZN12_GLOBAL__N_127rocblas_gemm_batched_kernelI19rocblas_complex_numIfELi16ELi16ELi64ELi64ELi4ELi64ELi4ELi4ELi64ELc67ELc84EKS2_S3_S2_EEvlllT_PT11_llS6_llS4_PT12_llPT13_lli
	.p2align	8
	.type	_ZN12_GLOBAL__N_127rocblas_gemm_batched_kernelI19rocblas_complex_numIfELi16ELi16ELi64ELi64ELi4ELi64ELi4ELi4ELi64ELc67ELc84EKS2_S3_S2_EEvlllT_PT11_llS6_llS4_PT12_llPT13_lli,@function
_ZN12_GLOBAL__N_127rocblas_gemm_batched_kernelI19rocblas_complex_numIfELi16ELi16ELi64ELi64ELi4ELi64ELi4ELi4ELi64ELc67ELc84EKS2_S3_S2_EEvlllT_PT11_llS6_llS4_PT12_llPT13_lli: ; @_ZN12_GLOBAL__N_127rocblas_gemm_batched_kernelI19rocblas_complex_numIfELi16ELi16ELi64ELi64ELi4ELi64ELi4ELi4ELi64ELc67ELc84EKS2_S3_S2_EEvlllT_PT11_llS6_llS4_PT12_llPT13_lli
; %bb.0:
	s_load_b32 s33, s[0:1], 0x88
	s_bfe_u32 s2, ttmp6, 0x40014
	s_lshr_b32 s3, ttmp7, 16
	s_add_co_i32 s2, s2, 1
	s_bfe_u32 s4, ttmp6, 0x40008
	s_mul_i32 s2, s3, s2
	s_getreg_b32 s20, hwreg(HW_REG_IB_STS2, 6, 4)
	s_add_co_i32 s4, s4, s2
	s_cmp_eq_u32 s20, 0
	s_cselect_b32 s2, s3, s4
	s_mov_b32 s3, 0
	s_wait_kmcnt 0x0
	s_cmp_ge_i32 s2, s33
	s_cbranch_scc1 .LBB507_10
; %bb.1:
	v_bfe_u32 v2, v0, 10, 10
	v_and_b32_e32 v4, 0x3ff, v0
	s_bfe_u32 s21, ttmp6, 0x4000c
	s_bfe_u32 s23, ttmp6, 0x40010
	s_clause 0x2
	s_load_b256 s[12:19], s[0:1], 0x20
	s_load_b128 s[28:31], s[0:1], 0x40
	s_load_b256 s[4:11], s[0:1], 0x58
	s_add_co_i32 s21, s21, 1
	s_and_b32 s24, ttmp7, 0xffff
	s_add_co_i32 s23, s23, 1
	s_and_b32 s22, ttmp6, 15
	s_mul_i32 s21, ttmp9, s21
	s_mul_i32 s23, s24, s23
	s_bfe_u32 s25, ttmp6, 0x40004
	v_lshl_add_u32 v5, v2, 4, v4
	s_add_co_i32 s22, s22, s21
	s_add_co_i32 s25, s25, s23
	s_cmp_eq_u32 s20, 0
	s_delay_alu instid0(VALU_DEP_1) | instskip(SKIP_3) | instid1(VALU_DEP_1)
	v_dual_mov_b32 v3, 0 :: v_dual_bitop2_b32 v14, 63, v5 bitop3:0x40
	s_cselect_b32 s20, ttmp9, s22
	s_cselect_b32 s22, s24, s25
	s_ashr_i32 s21, s20, 31
	v_dual_mov_b32 v7, v3 :: v_dual_lshrrev_b32 v6, 2, v5
	s_lshl_b64 s[36:37], s[20:21], 6
	s_lshl_b32 s24, s22, 6
	v_dual_mov_b32 v9, s37 :: v_dual_bitop2_b32 v8, s36, v14 bitop3:0x54
	s_mov_b32 s25, s3
	s_load_b128 s[20:23], s[0:1], 0x78
	v_add_nc_u64_e32 v[10:11], s[24:25], v[6:7]
	v_dual_lshrrev_b32 v16, 6, v5 :: v_dual_bitop2_b32 v7, 3, v0 bitop3:0x40
	s_wait_kmcnt 0x0
	v_mul_u64_e32 v[0:1], s[14:15], v[8:9]
	v_add_nc_u64_e32 v[8:9], s[24:25], v[2:3]
	s_clause 0x1
	s_load_b64 s[34:35], s[0:1], 0x50
	s_load_b128 s[24:27], s[0:1], 0x10
	v_mad_nc_u64_u32 v[10:11], s28, v7, v[10:11]
	v_lshl_add_u32 v39, v2, 5, 0x800
	v_dual_lshlrev_b32 v2, 3, v16 :: v_dual_lshlrev_b32 v15, 3, v7
	v_lshlrev_b32_e32 v14, 3, v14
	v_mul_u64_e32 v[12:13], s[6:7], v[8:9]
	v_dual_mov_b32 v5, v3 :: v_dual_lshlrev_b32 v37, 3, v4
	s_delay_alu instid0(VALU_DEP_4) | instskip(NEXT) | instid1(VALU_DEP_4)
	v_lshl_or_b32 v6, v6, 5, v15
	v_lshl_or_b32 v33, v16, 9, v14
	v_mad_u32 v11, s29, v7, v11
	v_mul_u64_e32 v[20:21], s[20:21], v[8:9]
	v_add_nc_u64_e32 v[22:23], s[36:37], v[4:5]
	v_add_nc_u32_e32 v35, 0x800, v6
	s_wait_kmcnt 0x0
	s_or_b32 s0, s34, s35
	s_mov_b32 s14, s27
	s_bitset0_b32 s0, 31
	s_mov_b32 s15, s26
	s_cmp_eq_u32 s0, 0
	v_cmp_gt_i64_e64 s0, s[24:25], 0
	v_lshl_add_u64 v[28:29], v[10:11], 3, s[18:19]
	s_cselect_b32 s1, -1, 0
	s_lshl_b64 s[38:39], s[20:21], 4
	s_lshl_b64 s[40:41], s[6:7], 4
	v_lshl_add_u64 v[0:1], v[0:1], 3, v[2:3]
	s_mov_b32 s6, s27
	v_cndmask_b32_e64 v2, 0, 1, s0
	s_mov_b32 s7, s35
	s_mov_b32 s20, s26
	v_add_nc_u64_e32 v[0:1], s[12:13], v[0:1]
	s_mov_b32 s21, s34
	v_cmp_ne_u32_e64 s0, 1, v2
	s_mov_b32 s36, s34
	v_lshl_add_u64 v[24:25], v[12:13], 3, s[4:5]
	s_mov_b32 s37, s34
	s_mov_b32 s12, s35
	v_add_nc_u64_e32 v[26:27], 4, v[0:1]
	s_mov_b32 s13, s35
	s_lshl_b64 s[4:5], s[16:17], 3
	s_lshl_b64 s[16:17], s[30:31], 3
	;; [unrolled: 1-line block ×5, first 2 shown]
	s_branch .LBB507_3
.LBB507_2:                              ;   in Loop: Header=BB507_3 Depth=1
	s_add_co_i32 s2, s2, 0x10000
	global_store_b32 v[0:1], v2, off offset:4
	s_cmp_lt_i32 s2, s33
	s_cbranch_scc0 .LBB507_10
.LBB507_3:                              ; =>This Loop Header: Depth=1
                                        ;     Child Loop BB507_5 Depth 2
	v_dual_mov_b32 v31, 0 :: v_dual_mov_b32 v30, 0
	v_dual_mov_b32 v88, 0 :: v_dual_mov_b32 v90, 0
	;; [unrolled: 1-line block ×16, first 2 shown]
	s_and_b32 vcc_lo, exec_lo, s0
	s_cbranch_vccnz .LBB507_6
; %bb.4:                                ;   in Loop: Header=BB507_3 Depth=1
	v_mad_nc_u64_u32 v[92:93], s4, s2, v[26:27]
	v_mad_nc_u64_u32 v[94:95], s16, s2, v[28:29]
	v_dual_mov_b32 v34, 0 :: v_dual_mov_b32 v32, 0
	v_dual_mov_b32 v38, 0 :: v_dual_mov_b32 v36, 0
	;; [unrolled: 1-line block ×5, first 2 shown]
	v_mad_u32 v93, s5, s2, v93
	v_mad_u32 v95, s17, s2, v95
	v_dual_mov_b32 v54, 0 :: v_dual_mov_b32 v52, 0
	v_dual_mov_b32 v58, 0 :: v_dual_mov_b32 v56, 0
	;; [unrolled: 1-line block ×11, first 2 shown]
	s_mov_b64 s[38:39], 0
.LBB507_5:                              ;   Parent Loop BB507_3 Depth=1
                                        ; =>  This Inner Loop Header: Depth=2
	global_load_b64 v[0:1], v[92:93], off offset:-4
	global_load_b64 v[2:3], v[94:95], off
	s_add_nc_u64 s[38:39], s[38:39], 4
	s_wait_xcnt 0x1
	v_add_nc_u64_e32 v[92:93], 32, v[92:93]
	v_cmp_lt_i64_e64 s40, s[38:39], s[24:25]
	s_wait_xcnt 0x0
	v_add_nc_u64_e32 v[94:95], s[18:19], v[94:95]
	s_and_b32 vcc_lo, exec_lo, s40
	s_wait_loadcnt 0x1
	v_xor_b32_e32 v1, 0x80000000, v1
	s_wait_loadcnt 0x0
	ds_store_b64 v35, v[2:3]
	ds_store_b64 v33, v[0:1]
	s_wait_dscnt 0x0
	s_barrier_signal -1
	s_barrier_wait -1
	ds_load_2addr_b64 v[0:3], v37 offset1:16
	ds_load_b128 v[8:11], v39
	ds_load_2addr_b64 v[4:7], v37 offset0:32 offset1:48
	ds_load_2addr_b64 v[12:15], v37 offset0:64 offset1:80
	;; [unrolled: 1-line block ×3, first 2 shown]
	ds_load_b128 v[96:99], v39 offset:16
	ds_load_2addr_b64 v[100:103], v37 offset0:128 offset1:144
	ds_load_2addr_b64 v[104:107], v37 offset0:160 offset1:176
	ds_load_2addr_b64 v[108:111], v37 offset0:192 offset1:208
	ds_load_2addr_b64 v[112:115], v37 offset0:224 offset1:240
	ds_load_b128 v[116:119], v39 offset:512
	ds_load_b128 v[120:123], v39 offset:528
	;; [unrolled: 1-line block ×6, first 2 shown]
	s_wait_dscnt 0x0
	s_barrier_signal -1
	s_barrier_wait -1
	v_dual_mul_f32 v41, v9, v1 :: v_dual_mul_f32 v43, v8, v1
	v_dual_mul_f32 v45, v9, v3 :: v_dual_mul_f32 v47, v8, v3
	v_dual_mul_f32 v49, v9, v5 :: v_dual_mul_f32 v51, v8, v5
	v_dual_mul_f32 v53, v9, v7 :: v_dual_mul_f32 v55, v8, v7
	v_dual_mul_f32 v57, v11, v13 :: v_dual_mul_f32 v59, v10, v13
	v_dual_mul_f32 v61, v11, v15 :: v_dual_mul_f32 v63, v10, v15
	v_dual_mul_f32 v65, v11, v17 :: v_dual_mul_f32 v67, v10, v17
	v_dual_mul_f32 v69, v11, v19 :: v_dual_mul_f32 v71, v10, v19
	v_dual_mul_f32 v73, v117, v1 :: v_dual_mul_f32 v75, v116, v1
	v_dual_mul_f32 v77, v117, v3 :: v_dual_mul_f32 v79, v116, v3
	v_dual_mul_f32 v81, v117, v5 :: v_dual_mul_f32 v83, v116, v5
	v_dual_mul_f32 v85, v117, v7 :: v_dual_mul_f32 v87, v116, v7
	v_dual_mul_f32 v89, v119, v13 :: v_dual_mul_f32 v91, v118, v13
	v_dual_mul_f32 v140, v119, v15 :: v_dual_mul_f32 v141, v118, v15
	v_dual_mul_f32 v142, v119, v17 :: v_dual_mul_f32 v143, v118, v17
	v_dual_mul_f32 v144, v119, v19 :: v_dual_mul_f32 v145, v118, v19
	v_dual_mul_f32 v146, v125, v1 :: v_dual_mul_f32 v147, v124, v1
	v_dual_mul_f32 v148, v125, v3 :: v_dual_mul_f32 v149, v124, v3
	v_dual_mul_f32 v150, v125, v5 :: v_dual_mul_f32 v151, v124, v5
	v_dual_mul_f32 v152, v125, v7 :: v_dual_mul_f32 v153, v124, v7
	v_dual_mul_f32 v154, v127, v13 :: v_dual_mul_f32 v155, v126, v13
	v_dual_mul_f32 v156, v127, v15 :: v_dual_mul_f32 v157, v126, v15
	v_dual_mul_f32 v158, v127, v17 :: v_dual_mul_f32 v159, v126, v17
	v_dual_mul_f32 v160, v127, v19 :: v_dual_mul_f32 v161, v126, v19
	v_dual_mul_f32 v162, v133, v1 :: v_dual_mul_f32 v163, v132, v1
	v_dual_mul_f32 v1, v133, v3 :: v_dual_mul_f32 v164, v132, v3
	v_dual_mul_f32 v3, v133, v5 :: v_dual_mul_f32 v165, v132, v5
	v_dual_fma_f32 v41, v8, v0, -v41 :: v_dual_fmac_f32 v43, v9, v0
	v_dual_fma_f32 v45, v8, v2, -v45 :: v_dual_fmac_f32 v47, v9, v2
	;; [unrolled: 1-line block ×8, first 2 shown]
	v_pk_mul_f32 v[8:9], v[132:133], v[6:7] op_sel:[1,1] op_sel_hi:[0,1]
	v_dual_mul_f32 v5, v135, v13 :: v_dual_mul_f32 v166, v134, v13
	v_dual_mov_b32 v10, v135 :: v_dual_mov_b32 v11, v134
	v_dual_fma_f32 v73, v116, v0, -v73 :: v_dual_fmac_f32 v75, v117, v0
	v_dual_fma_f32 v77, v116, v2, -v77 :: v_dual_fmac_f32 v79, v117, v2
	;; [unrolled: 1-line block ×19, first 2 shown]
	v_pk_fma_f32 v[0:1], v[132:133], v[6:7], v[8:9] neg_lo:[0,0,1] neg_hi:[0,0,1]
	v_pk_fma_f32 v[2:3], v[132:133], v[6:7], v[8:9] op_sel_hi:[1,0,1]
	v_dual_fma_f32 v133, v134, v12, -v5 :: v_dual_fmac_f32 v166, v135, v12
	v_pk_mul_f32 v[4:5], v[10:11], v[18:19] op_sel:[0,1]
	v_dual_mul_f32 v13, v135, v15 :: v_dual_mul_f32 v119, v134, v15
	v_dual_mul_f32 v15, v135, v17 :: v_dual_mul_f32 v17, v134, v17
	;; [unrolled: 1-line block ×4, first 2 shown]
	v_pk_fma_f32 v[6:7], v[134:135], v[18:19], v[4:5] neg_lo:[0,0,1] neg_hi:[0,0,1]
	v_pk_fma_f32 v[4:5], v[134:135], v[18:19], v[4:5] op_sel_hi:[1,0,1]
	v_dual_mul_f32 v127, v97, v101 :: v_dual_mul_f32 v150, v96, v101
	v_dual_mul_f32 v8, v97, v107 :: v_dual_mul_f32 v132, v96, v107
	v_dual_fma_f32 v162, v134, v14, -v13 :: v_dual_fmac_f32 v119, v135, v14
	v_dual_mul_f32 v9, v99, v109 :: v_dual_mul_f32 v167, v98, v109
	v_dual_fma_f32 v168, v134, v16, -v15 :: v_dual_fmac_f32 v17, v135, v16
	v_dual_mul_f32 v4, v99, v111 :: v_dual_mul_f32 v16, v98, v111
	v_dual_mul_f32 v7, v99, v113 :: v_dual_mul_f32 v18, v98, v113
	;; [unrolled: 1-line block ×3, first 2 shown]
	v_dual_fma_f32 v135, v96, v102, -v156 :: v_dual_fmac_f32 v158, v97, v102
	v_dual_fma_f32 v156, v96, v104, -v1 :: v_dual_fmac_f32 v2, v97, v104
	v_dual_mul_f32 v1, v121, v103 :: v_dual_mul_f32 v11, v121, v101
	v_mul_f32_e32 v134, v120, v101
	v_dual_fma_f32 v127, v96, v100, -v127 :: v_dual_fmac_f32 v150, v97, v100
	v_fma_f32 v96, v96, v106, -v8
	v_dual_fmac_f32 v132, v97, v106 :: v_dual_fmac_f32 v167, v99, v108
	v_dual_fma_f32 v97, v98, v108, -v9 :: v_dual_fma_f32 v4, v98, v110, -v4
	v_dual_fma_f32 v169, v98, v112, -v7 :: v_dual_fmac_f32 v16, v99, v110
	v_fmac_f32_e32 v18, v99, v112
	v_dual_fma_f32 v98, v98, v114, -v10 :: v_dual_fmac_f32 v19, v99, v114
	v_dual_mul_f32 v99, v120, v103 :: v_dual_mul_f32 v7, v121, v105
	v_dual_mul_f32 v170, v120, v105 :: v_dual_fma_f32 v172, v120, v102, -v1
	v_dual_mul_f32 v1, v121, v107 :: v_dual_fma_f32 v171, v120, v100, -v11
	v_fmac_f32_e32 v134, v121, v100
	s_delay_alu instid0(VALU_DEP_3) | instskip(NEXT) | instid1(VALU_DEP_3)
	v_dual_fma_f32 v173, v120, v104, -v7 :: v_dual_fmac_f32 v170, v121, v104
	v_dual_fma_f32 v174, v120, v106, -v1 :: v_dual_mul_f32 v120, v120, v107
	v_dual_mul_f32 v1, v123, v109 :: v_dual_mul_f32 v175, v122, v109
	v_dual_fmac_f32 v99, v121, v102 :: v_dual_mul_f32 v177, v122, v111
	s_delay_alu instid0(VALU_DEP_2) | instskip(NEXT) | instid1(VALU_DEP_3)
	v_dual_fmac_f32 v120, v121, v106 :: v_dual_fma_f32 v121, v122, v108, -v1
	v_dual_fmac_f32 v175, v123, v108 :: v_dual_mul_f32 v1, v123, v111
	s_delay_alu instid0(VALU_DEP_3) | instskip(SKIP_1) | instid1(VALU_DEP_3)
	v_dual_fmac_f32 v177, v123, v110 :: v_dual_mul_f32 v179, v122, v113
	v_dual_mul_f32 v181, v128, v101 :: v_dual_mul_f32 v183, v128, v103
	v_dual_fma_f32 v176, v122, v110, -v1 :: v_dual_mul_f32 v1, v123, v113
	s_delay_alu instid0(VALU_DEP_3) | instskip(NEXT) | instid1(VALU_DEP_3)
	v_fmac_f32_e32 v179, v123, v112
	v_dual_fmac_f32 v181, v129, v100 :: v_dual_mul_f32 v185, v128, v105
	s_delay_alu instid0(VALU_DEP_3) | instskip(SKIP_1) | instid1(VALU_DEP_3)
	v_dual_fmac_f32 v183, v129, v102 :: v_dual_fma_f32 v178, v122, v112, -v1
	v_dual_mul_f32 v1, v123, v115 :: v_dual_mul_f32 v187, v130, v109
	v_dual_fmac_f32 v185, v129, v104 :: v_dual_mul_f32 v189, v130, v111
	v_mul_f32_e32 v191, v130, v113
	s_delay_alu instid0(VALU_DEP_3) | instskip(NEXT) | instid1(VALU_DEP_3)
	v_dual_fma_f32 v180, v122, v114, -v1 :: v_dual_mul_f32 v122, v122, v115
	v_dual_mul_f32 v1, v129, v101 :: v_dual_fmac_f32 v189, v131, v110
	v_fmac_f32_e32 v187, v131, v108
	s_delay_alu instid0(VALU_DEP_4) | instskip(NEXT) | instid1(VALU_DEP_3)
	v_fmac_f32_e32 v191, v131, v112
	v_dual_fmac_f32 v122, v123, v114 :: v_dual_fma_f32 v123, v128, v100, -v1
	v_mul_f32_e32 v1, v129, v103
	v_pk_mul_f32 v[8:9], v[136:137], v[106:107] op_sel:[1,1] op_sel_hi:[0,1]
	v_dual_mov_b32 v12, v139 :: v_dual_mov_b32 v13, v138
	v_add_f32_e32 v36, v36, v154
	s_delay_alu instid0(VALU_DEP_4) | instskip(NEXT) | instid1(VALU_DEP_4)
	v_dual_fma_f32 v182, v128, v102, -v1 :: v_dual_mul_f32 v1, v129, v105
	v_pk_fma_f32 v[10:11], v[136:137], v[106:107], v[8:9] neg_lo:[0,0,1] neg_hi:[0,0,1]
	v_pk_fma_f32 v[8:9], v[136:137], v[106:107], v[8:9] op_sel_hi:[1,0,1]
	v_pk_mul_f32 v[12:13], v[12:13], v[114:115] op_sel:[0,1]
	v_add_f32_e32 v72, v72, v75
	v_dual_fma_f32 v184, v128, v104, -v1 :: v_dual_mul_f32 v1, v129, v107
	v_dual_add_f32 v68, v68, v77 :: v_dual_add_f32 v70, v70, v79
	s_delay_alu instid0(VALU_DEP_4) | instskip(SKIP_1) | instid1(VALU_DEP_4)
	v_pk_fma_f32 v[14:15], v[138:139], v[114:115], v[12:13] neg_lo:[0,0,1] neg_hi:[0,0,1]
	v_pk_fma_f32 v[12:13], v[138:139], v[114:115], v[12:13] op_sel_hi:[1,0,1]
	v_dual_fma_f32 v186, v128, v106, -v1 :: v_dual_mul_f32 v128, v128, v107
	v_dual_mul_f32 v1, v131, v109 :: v_dual_mul_f32 v107, v138, v111
	v_dual_add_f32 v12, v88, v41 :: v_dual_add_f32 v41, v90, v43
	s_delay_alu instid0(VALU_DEP_2) | instskip(SKIP_3) | instid1(VALU_DEP_3)
	v_dual_fmac_f32 v128, v129, v106 :: v_dual_fma_f32 v129, v130, v108, -v1
	v_dual_mul_f32 v1, v131, v111 :: v_dual_add_f32 v43, v84, v45
	v_add_f32_e32 v45, v86, v47
	v_dual_add_f32 v47, v82, v49 :: v_dual_add_f32 v49, v80, v51
	v_dual_fma_f32 v188, v130, v110, -v1 :: v_dual_mul_f32 v1, v131, v113
	v_dual_add_f32 v51, v76, v53 :: v_dual_add_f32 v53, v78, v55
	v_add_f32_e32 v55, v74, v73
	v_dual_add_f32 v64, v64, v81 :: v_dual_add_f32 v66, v66, v83
	s_delay_alu instid0(VALU_DEP_4) | instskip(SKIP_2) | instid1(VALU_DEP_3)
	v_dual_fma_f32 v190, v130, v112, -v1 :: v_dual_mul_f32 v1, v131, v115
	v_dual_add_f32 v60, v60, v85 :: v_dual_add_f32 v62, v62, v87
	v_dual_add_f32 v56, v56, v140 :: v_dual_add_f32 v58, v58, v147
	v_dual_fma_f32 v192, v130, v114, -v1 :: v_dual_mul_f32 v130, v130, v115
	v_dual_mul_f32 v1, v137, v101 :: v_dual_mul_f32 v101, v136, v101
	v_dual_add_f32 v52, v52, v142 :: v_dual_add_f32 v54, v54, v149
	s_delay_alu instid0(VALU_DEP_2) | instskip(NEXT) | instid1(VALU_DEP_3)
	v_dual_fmac_f32 v130, v131, v114 :: v_dual_fma_f32 v131, v136, v100, -v1
	v_dual_mul_f32 v1, v137, v103 :: v_dual_fmac_f32 v101, v137, v100
	v_mul_f32_e32 v103, v136, v103
	v_dual_add_f32 v48, v48, v144 :: v_dual_add_f32 v50, v50, v151
	s_delay_alu instid0(VALU_DEP_3) | instskip(NEXT) | instid1(VALU_DEP_3)
	v_dual_fma_f32 v100, v136, v102, -v1 :: v_dual_mul_f32 v1, v137, v105
	v_dual_mul_f32 v105, v136, v105 :: v_dual_fmac_f32 v103, v137, v102
	v_dual_add_f32 v44, v44, v124 :: v_dual_add_f32 v46, v46, v153
	s_delay_alu instid0(VALU_DEP_3) | instskip(NEXT) | instid1(VALU_DEP_3)
	v_dual_fma_f32 v102, v136, v104, -v1 :: v_dual_mul_f32 v1, v139, v109
	v_dual_fmac_f32 v105, v137, v104 :: v_dual_mul_f32 v104, v138, v109
	v_dual_mul_f32 v109, v138, v113 :: v_dual_add_f32 v40, v40, v152
	v_add_f32_e32 v42, v42, v163
	s_delay_alu instid0(VALU_DEP_3) | instskip(NEXT) | instid1(VALU_DEP_3)
	v_dual_fma_f32 v8, v138, v108, -v1 :: v_dual_fmac_f32 v104, v139, v108
	v_dual_mul_f32 v1, v139, v111 :: v_dual_fmac_f32 v109, v139, v112
	v_dual_add_f32 v32, v32, v160 :: v_dual_add_f32 v34, v34, v165
	v_dual_mov_b32 v7, v5 :: v_dual_mov_b32 v15, v13
	s_delay_alu instid0(VALU_DEP_3) | instskip(SKIP_3) | instid1(VALU_DEP_3)
	v_dual_fma_f32 v106, v138, v110, -v1 :: v_dual_fmac_f32 v107, v139, v110
	v_dual_mul_f32 v1, v139, v113 :: v_dual_mov_b32 v11, v9
	v_dual_add_f32 v5, v12, v57 :: v_dual_add_f32 v9, v41, v59
	v_dual_add_f32 v12, v43, v61 :: v_dual_add_f32 v13, v45, v63
	v_dual_fma_f32 v108, v138, v112, -v1 :: v_dual_mov_b32 v1, v3
	v_dual_add_f32 v3, v38, v164 :: v_dual_add_f32 v38, v51, v69
	v_dual_add_f32 v41, v53, v71 :: v_dual_add_f32 v43, v55, v89
	v_add_f32_e32 v45, v72, v91
	s_delay_alu instid0(VALU_DEP_4)
	v_pk_add_f32 v[0:1], v[30:31], v[0:1]
	v_dual_add_f32 v30, v47, v65 :: v_dual_add_f32 v31, v49, v67
	v_dual_add_f32 v47, v68, v116 :: v_dual_add_f32 v49, v70, v141
	;; [unrolled: 1-line block ×11, first 2 shown]
	v_pk_add_f32 v[0:1], v[0:1], v[6:7]
	v_add_f32_e32 v5, v5, v127
	v_dual_add_f32 v6, v9, v150 :: v_dual_add_f32 v7, v12, v135
	v_dual_add_f32 v9, v13, v158 :: v_dual_add_f32 v13, v38, v96
	;; [unrolled: 1-line block ×6, first 2 shown]
	v_add_f32_e32 v45, v53, v170
	v_dual_add_f32 v47, v55, v174 :: v_dual_add_f32 v49, v57, v120
	v_dual_add_f32 v51, v56, v123 :: v_dual_add_f32 v53, v58, v181
	;; [unrolled: 1-line block ×8, first 2 shown]
	v_pk_add_f32 v[0:1], v[0:1], v[10:11]
	v_dual_add_f32 v88, v5, v97 :: v_dual_add_f32 v90, v6, v167
	v_dual_add_f32 v84, v7, v4 :: v_dual_add_f32 v82, v12, v169
	;; [unrolled: 1-line block ×15, first 2 shown]
	v_pk_add_f32 v[30:31], v[0:1], v[14:15]
	s_cbranch_vccnz .LBB507_5
.LBB507_6:                              ;   in Loop: Header=BB507_3 Depth=1
	s_mul_u64 s[38:39], s[22:23], s[2:3]
	s_and_not1_b32 vcc_lo, exec_lo, s1
	s_lshl_b64 s[38:39], s[38:39], 3
	s_mov_b32 s40, -1
	s_add_nc_u64 s[38:39], s[10:11], s[38:39]
                                        ; implicit-def: $vgpr2
                                        ; implicit-def: $vgpr0_vgpr1
	s_cbranch_vccz .LBB507_8
; %bb.7:                                ;   in Loop: Header=BB507_3 Depth=1
	s_and_not1_b32 vcc_lo, exec_lo, s40
	s_cbranch_vccnz .LBB507_2
	s_branch .LBB507_9
.LBB507_8:                              ;   in Loop: Header=BB507_3 Depth=1
	s_wait_xcnt 0x0
	v_mov_b64_e32 v[0:1], s[14:15]
	v_mov_b64_e32 v[6:7], s[26:27]
	v_lshlrev_b64_e32 v[2:3], 3, v[22:23]
	v_lshl_add_u64 v[4:5], v[20:21], 3, s[38:39]
	s_delay_alu instid0(VALU_DEP_4)
	v_pk_mul_f32 v[8:9], v[90:91], v[0:1] op_sel_hi:[0,1]
	v_pk_mul_f32 v[10:11], v[86:87], v[0:1] op_sel_hi:[0,1]
	;; [unrolled: 1-line block ×4, first 2 shown]
	v_add_nc_u64_e32 v[16:17], v[4:5], v[2:3]
	v_pk_fma_f32 v[18:19], v[88:89], v[6:7], v[8:9] neg_lo:[0,0,1] neg_hi:[0,0,1]
	v_pk_fma_f32 v[8:9], v[88:89], v[6:7], v[8:9] op_sel_hi:[0,1,1]
	v_pk_fma_f32 v[92:93], v[84:85], v[6:7], v[10:11] op_sel_hi:[0,1,1]
	;; [unrolled: 1-line block ×4, first 2 shown]
	v_pk_fma_f32 v[10:11], v[84:85], v[6:7], v[10:11] neg_lo:[0,0,1] neg_hi:[0,0,1]
	s_delay_alu instid0(VALU_DEP_4)
	v_dual_mov_b32 v19, v9 :: v_dual_mov_b32 v11, v93
	v_pk_fma_f32 v[8:9], v[82:83], v[6:7], v[12:13] neg_lo:[0,0,1] neg_hi:[0,0,1]
	v_mov_b32_e32 v9, v95
	v_pk_fma_f32 v[12:13], v[76:77], v[6:7], v[14:15] neg_lo:[0,0,1] neg_hi:[0,0,1]
	v_mov_b32_e32 v13, v97
	v_pk_mul_f32 v[14:15], v[72:73], v[0:1] op_sel_hi:[0,1]
	s_clause 0x3
	global_store_b64 v[16:17], v[18:19], off
	global_store_b64 v[16:17], v[10:11], off offset:128
	global_store_b64 v[16:17], v[8:9], off offset:256
	;; [unrolled: 1-line block ×3, first 2 shown]
	s_wait_xcnt 0x1
	v_pk_mul_f32 v[8:9], v[70:71], v[0:1] op_sel_hi:[0,1]
	s_wait_xcnt 0x0
	v_pk_mul_f32 v[16:17], v[66:67], v[0:1] op_sel_hi:[0,1]
	v_add_nc_u64_e32 v[4:5], s[30:31], v[4:5]
	v_pk_fma_f32 v[12:13], v[74:75], v[6:7], v[14:15] op_sel_hi:[0,1,1]
	v_pk_mul_f32 v[92:93], v[62:63], v[0:1] op_sel_hi:[0,1]
	v_pk_fma_f32 v[18:19], v[68:69], v[6:7], v[8:9] op_sel_hi:[0,1,1]
	v_pk_fma_f32 v[14:15], v[74:75], v[6:7], v[14:15] neg_lo:[0,0,1] neg_hi:[0,0,1]
	v_pk_fma_f32 v[8:9], v[68:69], v[6:7], v[8:9] neg_lo:[0,0,1] neg_hi:[0,0,1]
	v_mov_b32_e32 v15, v13
	v_pk_fma_f32 v[12:13], v[64:65], v[6:7], v[16:17] op_sel_hi:[0,1,1]
	v_mov_b32_e32 v9, v19
	v_pk_fma_f32 v[18:19], v[60:61], v[6:7], v[92:93] op_sel_hi:[0,1,1]
	v_add_nc_u64_e32 v[10:11], v[4:5], v[2:3]
	v_pk_fma_f32 v[16:17], v[64:65], v[6:7], v[16:17] neg_lo:[0,0,1] neg_hi:[0,0,1]
	v_mov_b32_e32 v17, v13
	v_pk_fma_f32 v[12:13], v[60:61], v[6:7], v[92:93] neg_lo:[0,0,1] neg_hi:[0,0,1]
	v_mov_b32_e32 v13, v19
	v_pk_mul_f32 v[18:19], v[58:59], v[0:1] op_sel_hi:[0,1]
	v_add_nc_u64_e32 v[4:5], s[30:31], v[4:5]
	s_clause 0x3
	global_store_b64 v[10:11], v[14:15], off
	global_store_b64 v[10:11], v[8:9], off offset:128
	global_store_b64 v[10:11], v[16:17], off offset:256
	;; [unrolled: 1-line block ×3, first 2 shown]
	s_wait_xcnt 0x0
	v_pk_mul_f32 v[10:11], v[54:55], v[0:1] op_sel_hi:[0,1]
	v_pk_mul_f32 v[14:15], v[50:51], v[0:1] op_sel_hi:[0,1]
	v_pk_fma_f32 v[12:13], v[56:57], v[6:7], v[18:19] op_sel_hi:[0,1,1]
	v_pk_fma_f32 v[16:17], v[56:57], v[6:7], v[18:19] neg_lo:[0,0,1] neg_hi:[0,0,1]
	v_pk_mul_f32 v[18:19], v[46:47], v[0:1] op_sel_hi:[0,1]
	v_pk_fma_f32 v[92:93], v[52:53], v[6:7], v[10:11] op_sel_hi:[0,1,1]
	v_add_nc_u64_e32 v[8:9], v[4:5], v[2:3]
	v_mov_b32_e32 v17, v13
	v_pk_fma_f32 v[12:13], v[48:49], v[6:7], v[14:15] op_sel_hi:[0,1,1]
	v_pk_fma_f32 v[94:95], v[44:45], v[6:7], v[18:19] op_sel_hi:[0,1,1]
	v_pk_fma_f32 v[10:11], v[52:53], v[6:7], v[10:11] neg_lo:[0,0,1] neg_hi:[0,0,1]
	v_mov_b32_e32 v11, v93
	v_pk_fma_f32 v[14:15], v[48:49], v[6:7], v[14:15] neg_lo:[0,0,1] neg_hi:[0,0,1]
	v_mov_b32_e32 v15, v13
	;; [unrolled: 2-line block ×3, first 2 shown]
	v_add_nc_u64_e32 v[4:5], s[30:31], v[4:5]
	v_pk_mul_f32 v[18:19], v[42:43], v[0:1] op_sel_hi:[0,1]
	s_clause 0x3
	global_store_b64 v[8:9], v[16:17], off
	global_store_b64 v[8:9], v[10:11], off offset:128
	global_store_b64 v[8:9], v[14:15], off offset:256
	;; [unrolled: 1-line block ×3, first 2 shown]
	s_wait_xcnt 0x0
	v_pk_mul_f32 v[8:9], v[38:39], v[0:1] op_sel_hi:[0,1]
	v_pk_fma_f32 v[10:11], v[40:41], v[6:7], v[18:19] op_sel_hi:[0,1,1]
	v_add_nc_u64_e32 v[4:5], v[4:5], v[2:3]
	v_pk_mul_f32 v[2:3], v[34:35], v[0:1] op_sel_hi:[0,1]
	s_delay_alu instid0(VALU_DEP_4)
	v_pk_fma_f32 v[14:15], v[36:37], v[6:7], v[8:9] op_sel_hi:[0,1,1]
	v_pk_fma_f32 v[12:13], v[40:41], v[6:7], v[18:19] neg_lo:[0,0,1] neg_hi:[0,0,1]
	v_pk_fma_f32 v[8:9], v[36:37], v[6:7], v[8:9] neg_lo:[0,0,1] neg_hi:[0,0,1]
	v_mov_b32_e32 v13, v11
	v_pk_fma_f32 v[10:11], v[32:33], v[6:7], v[2:3] op_sel_hi:[0,1,1]
	v_mov_b32_e32 v9, v15
	v_pk_mul_f32 v[14:15], v[30:31], v[0:1]
	v_mul_f32_e32 v10, s26, v30
	v_add_nc_u64_e32 v[0:1], 0x180, v[4:5]
	v_pk_fma_f32 v[6:7], v[32:33], v[6:7], v[2:3] neg_lo:[0,0,1] neg_hi:[0,0,1]
	s_delay_alu instid0(VALU_DEP_4) | instskip(NEXT) | instid1(VALU_DEP_4)
	v_dual_mov_b32 v7, v11 :: v_dual_add_f32 v2, v14, v15
	v_fma_f32 v3, -v31, s14, v10
	s_clause 0x3
	global_store_b64 v[4:5], v[12:13], off
	global_store_b64 v[4:5], v[8:9], off offset:128
	global_store_b64 v[4:5], v[6:7], off offset:256
	global_store_b32 v[4:5], v3, off offset:384
	s_cbranch_execnz .LBB507_2
.LBB507_9:                              ;   in Loop: Header=BB507_3 Depth=1
	s_mul_u64 s[40:41], s[8:9], s[2:3]
	s_wait_xcnt 0x0
	v_lshlrev_b64_e32 v[0:1], 3, v[22:23]
	s_wait_xcnt 0x0
	v_lshl_add_u64 v[2:3], s[40:41], 3, v[24:25]
	v_mov_b64_e32 v[8:9], s[14:15]
	v_mov_b64_e32 v[10:11], s[12:13]
	;; [unrolled: 1-line block ×4, first 2 shown]
	v_lshl_add_u64 v[94:95], v[20:21], 3, s[38:39]
	v_add_nc_u64_e32 v[4:5], v[2:3], v[0:1]
	v_add_nc_u64_e32 v[2:3], s[28:29], v[2:3]
	v_pk_mul_f32 v[14:15], v[90:91], v[8:9] op_sel_hi:[0,1]
	s_delay_alu instid0(VALU_DEP_1) | instskip(SKIP_4) | instid1(VALU_DEP_1)
	v_pk_fma_f32 v[90:91], v[88:89], v[12:13], v[14:15] op_sel_hi:[0,1,1]
	global_load_b64 v[6:7], v[4:5], off
	v_pk_fma_f32 v[14:15], v[88:89], v[12:13], v[14:15] neg_lo:[0,0,1] neg_hi:[0,0,1]
	s_wait_loadcnt 0x0
	v_pk_mul_f32 v[18:19], v[6:7], v[10:11]
	v_pk_fma_f32 v[92:93], v[6:7], v[16:17], v[18:19] op_sel:[0,0,1] op_sel_hi:[1,1,0]
	v_pk_fma_f32 v[6:7], v[6:7], v[16:17], v[18:19] op_sel:[0,0,1] op_sel_hi:[1,1,0] neg_lo:[0,0,1] neg_hi:[0,0,1]
	v_mov_b32_e32 v15, v91
	v_add_nc_u64_e32 v[18:19], v[94:95], v[0:1]
	s_delay_alu instid0(VALU_DEP_4) | instskip(NEXT) | instid1(VALU_DEP_1)
	v_mov_b32_e32 v7, v93
	v_pk_add_f32 v[6:7], v[14:15], v[6:7]
	v_pk_mul_f32 v[14:15], v[86:87], v[8:9] op_sel_hi:[0,1]
	global_store_b64 v[18:19], v[6:7], off
	global_load_b64 v[6:7], v[4:5], off offset:128
	v_pk_fma_f32 v[88:89], v[84:85], v[12:13], v[14:15] op_sel_hi:[0,1,1]
	v_pk_fma_f32 v[14:15], v[84:85], v[12:13], v[14:15] neg_lo:[0,0,1] neg_hi:[0,0,1]
	s_wait_loadcnt 0x0
	v_pk_mul_f32 v[86:87], v[6:7], v[10:11]
	s_delay_alu instid0(VALU_DEP_1) | instskip(SKIP_1) | instid1(VALU_DEP_2)
	v_pk_fma_f32 v[90:91], v[6:7], v[16:17], v[86:87] op_sel:[0,0,1] op_sel_hi:[1,1,0]
	v_pk_fma_f32 v[6:7], v[6:7], v[16:17], v[86:87] op_sel:[0,0,1] op_sel_hi:[1,1,0] neg_lo:[0,0,1] neg_hi:[0,0,1]
	v_dual_mov_b32 v15, v89 :: v_dual_mov_b32 v7, v91
	s_delay_alu instid0(VALU_DEP_1)
	v_pk_add_f32 v[6:7], v[14:15], v[6:7]
	v_pk_mul_f32 v[14:15], v[80:81], v[8:9] op_sel_hi:[0,1]
	global_store_b64 v[18:19], v[6:7], off offset:128
	global_load_b64 v[6:7], v[4:5], off offset:256
	v_pk_fma_f32 v[84:85], v[82:83], v[12:13], v[14:15] op_sel_hi:[0,1,1]
	v_pk_fma_f32 v[14:15], v[82:83], v[12:13], v[14:15] neg_lo:[0,0,1] neg_hi:[0,0,1]
	s_wait_loadcnt 0x0
	v_pk_mul_f32 v[80:81], v[6:7], v[10:11]
	s_delay_alu instid0(VALU_DEP_1) | instskip(SKIP_1) | instid1(VALU_DEP_2)
	v_pk_fma_f32 v[86:87], v[6:7], v[16:17], v[80:81] op_sel:[0,0,1] op_sel_hi:[1,1,0]
	v_pk_fma_f32 v[6:7], v[6:7], v[16:17], v[80:81] op_sel:[0,0,1] op_sel_hi:[1,1,0] neg_lo:[0,0,1] neg_hi:[0,0,1]
	v_dual_mov_b32 v15, v85 :: v_dual_mov_b32 v7, v87
	s_delay_alu instid0(VALU_DEP_1) | instskip(SKIP_4) | instid1(VALU_DEP_1)
	v_pk_add_f32 v[6:7], v[14:15], v[6:7]
	global_store_b64 v[18:19], v[6:7], off offset:256
	global_load_b64 v[4:5], v[4:5], off offset:384
	s_wait_xcnt 0x1
	v_pk_mul_f32 v[6:7], v[78:79], v[8:9] op_sel_hi:[0,1]
	v_pk_fma_f32 v[78:79], v[76:77], v[12:13], v[6:7] op_sel_hi:[0,1,1]
	v_pk_fma_f32 v[6:7], v[76:77], v[12:13], v[6:7] neg_lo:[0,0,1] neg_hi:[0,0,1]
	s_wait_loadcnt 0x0
	v_pk_mul_f32 v[14:15], v[4:5], v[10:11]
	s_delay_alu instid0(VALU_DEP_1)
	v_pk_fma_f32 v[80:81], v[4:5], v[16:17], v[14:15] op_sel:[0,0,1] op_sel_hi:[1,1,0]
	s_wait_xcnt 0x0
	v_pk_fma_f32 v[4:5], v[4:5], v[16:17], v[14:15] op_sel:[0,0,1] op_sel_hi:[1,1,0] neg_lo:[0,0,1] neg_hi:[0,0,1]
	v_mov_b32_e32 v7, v79
	v_add_nc_u64_e32 v[14:15], v[2:3], v[0:1]
	v_add_nc_u64_e32 v[78:79], s[30:31], v[94:95]
	v_mov_b32_e32 v5, v81
	v_add_nc_u64_e32 v[2:3], s[28:29], v[2:3]
	s_delay_alu instid0(VALU_DEP_2)
	v_pk_add_f32 v[4:5], v[6:7], v[4:5]
	v_pk_mul_f32 v[6:7], v[72:73], v[8:9] op_sel_hi:[0,1]
	global_store_b64 v[18:19], v[4:5], off offset:384
	global_load_b64 v[4:5], v[14:15], off
	v_pk_fma_f32 v[72:73], v[74:75], v[12:13], v[6:7] op_sel_hi:[0,1,1]
	v_pk_fma_f32 v[6:7], v[74:75], v[12:13], v[6:7] neg_lo:[0,0,1] neg_hi:[0,0,1]
	s_wait_loadcnt 0x0
	v_pk_mul_f32 v[18:19], v[4:5], v[10:11]
	s_delay_alu instid0(VALU_DEP_1) | instskip(SKIP_3) | instid1(VALU_DEP_4)
	v_pk_fma_f32 v[76:77], v[4:5], v[16:17], v[18:19] op_sel:[0,0,1] op_sel_hi:[1,1,0]
	v_pk_fma_f32 v[4:5], v[4:5], v[16:17], v[18:19] op_sel:[0,0,1] op_sel_hi:[1,1,0] neg_lo:[0,0,1] neg_hi:[0,0,1]
	v_mov_b32_e32 v7, v73
	v_add_nc_u64_e32 v[18:19], v[78:79], v[0:1]
	v_mov_b32_e32 v5, v77
	s_delay_alu instid0(VALU_DEP_1)
	v_pk_add_f32 v[4:5], v[6:7], v[4:5]
	v_pk_mul_f32 v[6:7], v[70:71], v[8:9] op_sel_hi:[0,1]
	global_store_b64 v[18:19], v[4:5], off
	global_load_b64 v[4:5], v[14:15], off offset:128
	v_pk_fma_f32 v[72:73], v[68:69], v[12:13], v[6:7] op_sel_hi:[0,1,1]
	v_pk_fma_f32 v[6:7], v[68:69], v[12:13], v[6:7] neg_lo:[0,0,1] neg_hi:[0,0,1]
	s_wait_loadcnt 0x0
	v_pk_mul_f32 v[70:71], v[4:5], v[10:11]
	s_delay_alu instid0(VALU_DEP_1) | instskip(SKIP_1) | instid1(VALU_DEP_2)
	v_pk_fma_f32 v[74:75], v[4:5], v[16:17], v[70:71] op_sel:[0,0,1] op_sel_hi:[1,1,0]
	v_pk_fma_f32 v[4:5], v[4:5], v[16:17], v[70:71] op_sel:[0,0,1] op_sel_hi:[1,1,0] neg_lo:[0,0,1] neg_hi:[0,0,1]
	v_dual_mov_b32 v7, v73 :: v_dual_mov_b32 v5, v75
	s_delay_alu instid0(VALU_DEP_1)
	v_pk_add_f32 v[4:5], v[6:7], v[4:5]
	v_pk_mul_f32 v[6:7], v[66:67], v[8:9] op_sel_hi:[0,1]
	global_store_b64 v[18:19], v[4:5], off offset:128
	global_load_b64 v[4:5], v[14:15], off offset:256
	v_pk_fma_f32 v[68:69], v[64:65], v[12:13], v[6:7] op_sel_hi:[0,1,1]
	v_pk_fma_f32 v[6:7], v[64:65], v[12:13], v[6:7] neg_lo:[0,0,1] neg_hi:[0,0,1]
	s_wait_loadcnt 0x0
	v_pk_mul_f32 v[66:67], v[4:5], v[10:11]
	s_delay_alu instid0(VALU_DEP_1) | instskip(SKIP_1) | instid1(VALU_DEP_2)
	v_pk_fma_f32 v[70:71], v[4:5], v[16:17], v[66:67] op_sel:[0,0,1] op_sel_hi:[1,1,0]
	v_pk_fma_f32 v[4:5], v[4:5], v[16:17], v[66:67] op_sel:[0,0,1] op_sel_hi:[1,1,0] neg_lo:[0,0,1] neg_hi:[0,0,1]
	v_dual_mov_b32 v7, v69 :: v_dual_mov_b32 v5, v71
	s_delay_alu instid0(VALU_DEP_1)
	v_pk_add_f32 v[4:5], v[6:7], v[4:5]
	v_pk_mul_f32 v[6:7], v[62:63], v[8:9] op_sel_hi:[0,1]
	global_store_b64 v[18:19], v[4:5], off offset:256
	global_load_b64 v[4:5], v[14:15], off offset:384
	v_pk_fma_f32 v[62:63], v[60:61], v[12:13], v[6:7] op_sel_hi:[0,1,1]
	v_pk_fma_f32 v[6:7], v[60:61], v[12:13], v[6:7] neg_lo:[0,0,1] neg_hi:[0,0,1]
	s_wait_loadcnt 0x0
	s_wait_xcnt 0x0
	v_pk_mul_f32 v[14:15], v[4:5], v[10:11]
	s_delay_alu instid0(VALU_DEP_1)
	v_pk_fma_f32 v[64:65], v[4:5], v[16:17], v[14:15] op_sel:[0,0,1] op_sel_hi:[1,1,0]
	v_pk_fma_f32 v[4:5], v[4:5], v[16:17], v[14:15] op_sel:[0,0,1] op_sel_hi:[1,1,0] neg_lo:[0,0,1] neg_hi:[0,0,1]
	v_mov_b32_e32 v7, v63
	v_add_nc_u64_e32 v[14:15], v[2:3], v[0:1]
	v_add_nc_u64_e32 v[62:63], s[30:31], v[78:79]
	v_mov_b32_e32 v5, v65
	v_add_nc_u64_e32 v[2:3], s[28:29], v[2:3]
	s_delay_alu instid0(VALU_DEP_2) | instskip(SKIP_1) | instid1(VALU_DEP_3)
	v_pk_add_f32 v[4:5], v[6:7], v[4:5]
	v_pk_mul_f32 v[6:7], v[58:59], v[8:9] op_sel_hi:[0,1]
	v_add_nc_u64_e32 v[2:3], v[2:3], v[0:1]
	global_store_b64 v[18:19], v[4:5], off offset:384
	global_load_b64 v[4:5], v[14:15], off
	v_pk_fma_f32 v[58:59], v[56:57], v[12:13], v[6:7] op_sel_hi:[0,1,1]
	v_pk_fma_f32 v[6:7], v[56:57], v[12:13], v[6:7] neg_lo:[0,0,1] neg_hi:[0,0,1]
	s_wait_loadcnt 0x0
	v_pk_mul_f32 v[18:19], v[4:5], v[10:11]
	s_delay_alu instid0(VALU_DEP_1) | instskip(SKIP_3) | instid1(VALU_DEP_4)
	v_pk_fma_f32 v[60:61], v[4:5], v[16:17], v[18:19] op_sel:[0,0,1] op_sel_hi:[1,1,0]
	v_pk_fma_f32 v[4:5], v[4:5], v[16:17], v[18:19] op_sel:[0,0,1] op_sel_hi:[1,1,0] neg_lo:[0,0,1] neg_hi:[0,0,1]
	v_mov_b32_e32 v7, v59
	v_add_nc_u64_e32 v[18:19], v[62:63], v[0:1]
	v_mov_b32_e32 v5, v61
	s_delay_alu instid0(VALU_DEP_1)
	v_pk_add_f32 v[4:5], v[6:7], v[4:5]
	v_pk_mul_f32 v[6:7], v[54:55], v[8:9] op_sel_hi:[0,1]
	global_store_b64 v[18:19], v[4:5], off
	global_load_b64 v[4:5], v[14:15], off offset:128
	v_pk_fma_f32 v[56:57], v[52:53], v[12:13], v[6:7] op_sel_hi:[0,1,1]
	v_pk_fma_f32 v[6:7], v[52:53], v[12:13], v[6:7] neg_lo:[0,0,1] neg_hi:[0,0,1]
	s_wait_loadcnt 0x0
	v_pk_mul_f32 v[54:55], v[4:5], v[10:11]
	s_delay_alu instid0(VALU_DEP_1) | instskip(SKIP_1) | instid1(VALU_DEP_2)
	v_pk_fma_f32 v[58:59], v[4:5], v[16:17], v[54:55] op_sel:[0,0,1] op_sel_hi:[1,1,0]
	v_pk_fma_f32 v[4:5], v[4:5], v[16:17], v[54:55] op_sel:[0,0,1] op_sel_hi:[1,1,0] neg_lo:[0,0,1] neg_hi:[0,0,1]
	v_dual_mov_b32 v7, v57 :: v_dual_mov_b32 v5, v59
	s_delay_alu instid0(VALU_DEP_1)
	v_pk_add_f32 v[4:5], v[6:7], v[4:5]
	v_pk_mul_f32 v[6:7], v[50:51], v[8:9] op_sel_hi:[0,1]
	global_store_b64 v[18:19], v[4:5], off offset:128
	global_load_b64 v[4:5], v[14:15], off offset:256
	v_pk_fma_f32 v[52:53], v[48:49], v[12:13], v[6:7] op_sel_hi:[0,1,1]
	v_pk_fma_f32 v[6:7], v[48:49], v[12:13], v[6:7] neg_lo:[0,0,1] neg_hi:[0,0,1]
	s_wait_loadcnt 0x0
	v_pk_mul_f32 v[50:51], v[4:5], v[10:11]
	s_delay_alu instid0(VALU_DEP_1) | instskip(SKIP_1) | instid1(VALU_DEP_2)
	v_pk_fma_f32 v[54:55], v[4:5], v[16:17], v[50:51] op_sel:[0,0,1] op_sel_hi:[1,1,0]
	v_pk_fma_f32 v[4:5], v[4:5], v[16:17], v[50:51] op_sel:[0,0,1] op_sel_hi:[1,1,0] neg_lo:[0,0,1] neg_hi:[0,0,1]
	v_dual_mov_b32 v7, v53 :: v_dual_mov_b32 v5, v55
	s_delay_alu instid0(VALU_DEP_1)
	v_pk_add_f32 v[4:5], v[6:7], v[4:5]
	v_pk_mul_f32 v[6:7], v[46:47], v[8:9] op_sel_hi:[0,1]
	global_store_b64 v[18:19], v[4:5], off offset:256
	global_load_b64 v[4:5], v[14:15], off offset:384
	v_pk_fma_f32 v[46:47], v[44:45], v[12:13], v[6:7] op_sel_hi:[0,1,1]
	v_pk_fma_f32 v[6:7], v[44:45], v[12:13], v[6:7] neg_lo:[0,0,1] neg_hi:[0,0,1]
	v_add_nc_u64_e32 v[44:45], s[30:31], v[62:63]
	s_wait_loadcnt 0x0
	s_wait_xcnt 0x0
	v_pk_mul_f32 v[14:15], v[4:5], v[10:11]
	s_delay_alu instid0(VALU_DEP_1) | instskip(SKIP_1) | instid1(VALU_DEP_2)
	v_pk_fma_f32 v[48:49], v[4:5], v[16:17], v[14:15] op_sel:[0,0,1] op_sel_hi:[1,1,0]
	v_pk_fma_f32 v[4:5], v[4:5], v[16:17], v[14:15] op_sel:[0,0,1] op_sel_hi:[1,1,0] neg_lo:[0,0,1] neg_hi:[0,0,1]
	v_dual_mov_b32 v7, v47 :: v_dual_mov_b32 v5, v49
	s_delay_alu instid0(VALU_DEP_1)
	v_pk_add_f32 v[4:5], v[6:7], v[4:5]
	v_pk_mul_f32 v[6:7], v[42:43], v[8:9] op_sel_hi:[0,1]
	global_store_b64 v[18:19], v[4:5], off offset:384
	global_load_b64 v[4:5], v[2:3], off
	v_pk_fma_f32 v[18:19], v[40:41], v[12:13], v[6:7] op_sel_hi:[0,1,1]
	v_pk_fma_f32 v[6:7], v[40:41], v[12:13], v[6:7] neg_lo:[0,0,1] neg_hi:[0,0,1]
	s_wait_loadcnt 0x0
	v_pk_mul_f32 v[14:15], v[4:5], v[10:11]
	s_delay_alu instid0(VALU_DEP_1) | instskip(SKIP_3) | instid1(VALU_DEP_4)
	v_pk_fma_f32 v[42:43], v[4:5], v[16:17], v[14:15] op_sel:[0,0,1] op_sel_hi:[1,1,0]
	v_pk_fma_f32 v[4:5], v[4:5], v[16:17], v[14:15] op_sel:[0,0,1] op_sel_hi:[1,1,0] neg_lo:[0,0,1] neg_hi:[0,0,1]
	v_mov_b32_e32 v7, v19
	v_add_nc_u64_e32 v[14:15], v[44:45], v[0:1]
	v_mov_b32_e32 v5, v43
	s_delay_alu instid0(VALU_DEP_1)
	v_pk_add_f32 v[0:1], v[6:7], v[4:5]
	v_pk_mul_f32 v[4:5], v[38:39], v[8:9] op_sel_hi:[0,1]
	global_store_b64 v[14:15], v[0:1], off
	global_load_b64 v[0:1], v[2:3], off offset:128
	v_pk_fma_f32 v[18:19], v[36:37], v[12:13], v[4:5] op_sel_hi:[0,1,1]
	v_pk_fma_f32 v[4:5], v[36:37], v[12:13], v[4:5] neg_lo:[0,0,1] neg_hi:[0,0,1]
	s_wait_loadcnt 0x0
	v_pk_mul_f32 v[6:7], v[0:1], v[10:11]
	s_delay_alu instid0(VALU_DEP_1) | instskip(SKIP_1) | instid1(VALU_DEP_2)
	v_pk_fma_f32 v[40:41], v[0:1], v[16:17], v[6:7] op_sel:[0,0,1] op_sel_hi:[1,1,0]
	v_pk_fma_f32 v[0:1], v[0:1], v[16:17], v[6:7] op_sel:[0,0,1] op_sel_hi:[1,1,0] neg_lo:[0,0,1] neg_hi:[0,0,1]
	v_dual_mov_b32 v5, v19 :: v_dual_mov_b32 v1, v41
	s_delay_alu instid0(VALU_DEP_1)
	v_pk_add_f32 v[0:1], v[4:5], v[0:1]
	v_pk_mul_f32 v[4:5], v[34:35], v[8:9] op_sel_hi:[0,1]
	global_store_b64 v[14:15], v[0:1], off offset:128
	global_load_b64 v[0:1], v[2:3], off offset:256
	v_pk_fma_f32 v[8:9], v[32:33], v[12:13], v[4:5] op_sel_hi:[0,1,1]
	v_pk_fma_f32 v[4:5], v[32:33], v[12:13], v[4:5] neg_lo:[0,0,1] neg_hi:[0,0,1]
	s_wait_loadcnt 0x0
	v_pk_mul_f32 v[6:7], v[0:1], v[10:11]
	s_delay_alu instid0(VALU_DEP_1) | instskip(SKIP_2) | instid1(VALU_DEP_3)
	v_pk_fma_f32 v[10:11], v[0:1], v[16:17], v[6:7] op_sel:[0,0,1] op_sel_hi:[1,1,0]
	v_pk_fma_f32 v[0:1], v[0:1], v[16:17], v[6:7] op_sel:[0,0,1] op_sel_hi:[1,1,0] neg_lo:[0,0,1] neg_hi:[0,0,1]
	v_dual_mov_b32 v5, v9 :: v_dual_mul_f32 v7, s26, v30
	v_mov_b32_e32 v1, v11
	s_delay_alu instid0(VALU_DEP_2) | instskip(NEXT) | instid1(VALU_DEP_2)
	v_fma_f32 v7, -v31, s14, v7
	v_pk_add_f32 v[0:1], v[4:5], v[0:1]
	global_store_b64 v[14:15], v[0:1], off offset:256
	global_load_b64 v[0:1], v[2:3], off offset:384
	s_wait_xcnt 0x0
	v_mov_b64_e32 v[2:3], s[20:21]
	s_wait_loadcnt 0x0
	v_dual_mul_f32 v4, s35, v1 :: v_dual_mov_b32 v5, v0
	s_delay_alu instid0(VALU_DEP_1) | instskip(SKIP_1) | instid1(VALU_DEP_1)
	v_fma_f32 v6, v0, s34, -v4
	v_dual_mov_b32 v0, v31 :: v_dual_mov_b32 v4, v30
	v_pk_mul_f32 v[0:1], v[0:1], v[2:3]
	v_mov_b64_e32 v[2:3], s[6:7]
	s_delay_alu instid0(VALU_DEP_1) | instskip(SKIP_1) | instid1(VALU_DEP_2)
	v_pk_fma_f32 v[2:3], v[4:5], v[2:3], v[0:1]
	v_add_nc_u64_e32 v[0:1], 0x180, v[14:15]
	v_dual_add_f32 v4, v7, v6 :: v_dual_add_f32 v2, v2, v3
	global_store_b32 v[14:15], v4, off offset:384
	s_branch .LBB507_2
.LBB507_10:
	s_sendmsg sendmsg(MSG_DEALLOC_VGPRS)
	s_endpgm
	.section	.rodata,"a",@progbits
	.p2align	6, 0x0
	.amdhsa_kernel _ZN12_GLOBAL__N_127rocblas_gemm_batched_kernelI19rocblas_complex_numIfELi16ELi16ELi64ELi64ELi4ELi64ELi4ELi4ELi64ELc67ELc84EKS2_S3_S2_EEvlllT_PT11_llS6_llS4_PT12_llPT13_lli
		.amdhsa_group_segment_fixed_size 4096
		.amdhsa_private_segment_fixed_size 0
		.amdhsa_kernarg_size 140
		.amdhsa_user_sgpr_count 2
		.amdhsa_user_sgpr_dispatch_ptr 0
		.amdhsa_user_sgpr_queue_ptr 0
		.amdhsa_user_sgpr_kernarg_segment_ptr 1
		.amdhsa_user_sgpr_dispatch_id 0
		.amdhsa_user_sgpr_kernarg_preload_length 0
		.amdhsa_user_sgpr_kernarg_preload_offset 0
		.amdhsa_user_sgpr_private_segment_size 0
		.amdhsa_wavefront_size32 1
		.amdhsa_uses_dynamic_stack 0
		.amdhsa_enable_private_segment 0
		.amdhsa_system_sgpr_workgroup_id_x 1
		.amdhsa_system_sgpr_workgroup_id_y 1
		.amdhsa_system_sgpr_workgroup_id_z 1
		.amdhsa_system_sgpr_workgroup_info 0
		.amdhsa_system_vgpr_workitem_id 1
		.amdhsa_next_free_vgpr 193
		.amdhsa_next_free_sgpr 42
		.amdhsa_named_barrier_count 0
		.amdhsa_reserve_vcc 1
		.amdhsa_float_round_mode_32 0
		.amdhsa_float_round_mode_16_64 0
		.amdhsa_float_denorm_mode_32 3
		.amdhsa_float_denorm_mode_16_64 3
		.amdhsa_fp16_overflow 0
		.amdhsa_memory_ordered 1
		.amdhsa_forward_progress 1
		.amdhsa_inst_pref_size 48
		.amdhsa_round_robin_scheduling 0
		.amdhsa_exception_fp_ieee_invalid_op 0
		.amdhsa_exception_fp_denorm_src 0
		.amdhsa_exception_fp_ieee_div_zero 0
		.amdhsa_exception_fp_ieee_overflow 0
		.amdhsa_exception_fp_ieee_underflow 0
		.amdhsa_exception_fp_ieee_inexact 0
		.amdhsa_exception_int_div_zero 0
	.end_amdhsa_kernel
	.section	.text._ZN12_GLOBAL__N_127rocblas_gemm_batched_kernelI19rocblas_complex_numIfELi16ELi16ELi64ELi64ELi4ELi64ELi4ELi4ELi64ELc67ELc84EKS2_S3_S2_EEvlllT_PT11_llS6_llS4_PT12_llPT13_lli,"axG",@progbits,_ZN12_GLOBAL__N_127rocblas_gemm_batched_kernelI19rocblas_complex_numIfELi16ELi16ELi64ELi64ELi4ELi64ELi4ELi4ELi64ELc67ELc84EKS2_S3_S2_EEvlllT_PT11_llS6_llS4_PT12_llPT13_lli,comdat
.Lfunc_end507:
	.size	_ZN12_GLOBAL__N_127rocblas_gemm_batched_kernelI19rocblas_complex_numIfELi16ELi16ELi64ELi64ELi4ELi64ELi4ELi4ELi64ELc67ELc84EKS2_S3_S2_EEvlllT_PT11_llS6_llS4_PT12_llPT13_lli, .Lfunc_end507-_ZN12_GLOBAL__N_127rocblas_gemm_batched_kernelI19rocblas_complex_numIfELi16ELi16ELi64ELi64ELi4ELi64ELi4ELi4ELi64ELc67ELc84EKS2_S3_S2_EEvlllT_PT11_llS6_llS4_PT12_llPT13_lli
                                        ; -- End function
	.set _ZN12_GLOBAL__N_127rocblas_gemm_batched_kernelI19rocblas_complex_numIfELi16ELi16ELi64ELi64ELi4ELi64ELi4ELi4ELi64ELc67ELc84EKS2_S3_S2_EEvlllT_PT11_llS6_llS4_PT12_llPT13_lli.num_vgpr, 193
	.set _ZN12_GLOBAL__N_127rocblas_gemm_batched_kernelI19rocblas_complex_numIfELi16ELi16ELi64ELi64ELi4ELi64ELi4ELi4ELi64ELc67ELc84EKS2_S3_S2_EEvlllT_PT11_llS6_llS4_PT12_llPT13_lli.num_agpr, 0
	.set _ZN12_GLOBAL__N_127rocblas_gemm_batched_kernelI19rocblas_complex_numIfELi16ELi16ELi64ELi64ELi4ELi64ELi4ELi4ELi64ELc67ELc84EKS2_S3_S2_EEvlllT_PT11_llS6_llS4_PT12_llPT13_lli.numbered_sgpr, 42
	.set _ZN12_GLOBAL__N_127rocblas_gemm_batched_kernelI19rocblas_complex_numIfELi16ELi16ELi64ELi64ELi4ELi64ELi4ELi4ELi64ELc67ELc84EKS2_S3_S2_EEvlllT_PT11_llS6_llS4_PT12_llPT13_lli.num_named_barrier, 0
	.set _ZN12_GLOBAL__N_127rocblas_gemm_batched_kernelI19rocblas_complex_numIfELi16ELi16ELi64ELi64ELi4ELi64ELi4ELi4ELi64ELc67ELc84EKS2_S3_S2_EEvlllT_PT11_llS6_llS4_PT12_llPT13_lli.private_seg_size, 0
	.set _ZN12_GLOBAL__N_127rocblas_gemm_batched_kernelI19rocblas_complex_numIfELi16ELi16ELi64ELi64ELi4ELi64ELi4ELi4ELi64ELc67ELc84EKS2_S3_S2_EEvlllT_PT11_llS6_llS4_PT12_llPT13_lli.uses_vcc, 1
	.set _ZN12_GLOBAL__N_127rocblas_gemm_batched_kernelI19rocblas_complex_numIfELi16ELi16ELi64ELi64ELi4ELi64ELi4ELi4ELi64ELc67ELc84EKS2_S3_S2_EEvlllT_PT11_llS6_llS4_PT12_llPT13_lli.uses_flat_scratch, 0
	.set _ZN12_GLOBAL__N_127rocblas_gemm_batched_kernelI19rocblas_complex_numIfELi16ELi16ELi64ELi64ELi4ELi64ELi4ELi4ELi64ELc67ELc84EKS2_S3_S2_EEvlllT_PT11_llS6_llS4_PT12_llPT13_lli.has_dyn_sized_stack, 0
	.set _ZN12_GLOBAL__N_127rocblas_gemm_batched_kernelI19rocblas_complex_numIfELi16ELi16ELi64ELi64ELi4ELi64ELi4ELi4ELi64ELc67ELc84EKS2_S3_S2_EEvlllT_PT11_llS6_llS4_PT12_llPT13_lli.has_recursion, 0
	.set _ZN12_GLOBAL__N_127rocblas_gemm_batched_kernelI19rocblas_complex_numIfELi16ELi16ELi64ELi64ELi4ELi64ELi4ELi4ELi64ELc67ELc84EKS2_S3_S2_EEvlllT_PT11_llS6_llS4_PT12_llPT13_lli.has_indirect_call, 0
	.section	.AMDGPU.csdata,"",@progbits
; Kernel info:
; codeLenInByte = 6056
; TotalNumSgprs: 44
; NumVgprs: 193
; ScratchSize: 0
; MemoryBound: 0
; FloatMode: 240
; IeeeMode: 1
; LDSByteSize: 4096 bytes/workgroup (compile time only)
; SGPRBlocks: 0
; VGPRBlocks: 12
; NumSGPRsForWavesPerEU: 44
; NumVGPRsForWavesPerEU: 193
; NamedBarCnt: 0
; Occupancy: 4
; WaveLimiterHint : 1
; COMPUTE_PGM_RSRC2:SCRATCH_EN: 0
; COMPUTE_PGM_RSRC2:USER_SGPR: 2
; COMPUTE_PGM_RSRC2:TRAP_HANDLER: 0
; COMPUTE_PGM_RSRC2:TGID_X_EN: 1
; COMPUTE_PGM_RSRC2:TGID_Y_EN: 1
; COMPUTE_PGM_RSRC2:TGID_Z_EN: 1
; COMPUTE_PGM_RSRC2:TIDIG_COMP_CNT: 1
	.section	.text._ZN12_GLOBAL__N_127rocblas_gemm_batched_kernelI19rocblas_complex_numIfELi16ELi16ELi64ELi64ELi4ELi64ELi4ELi4ELi64ELc78ELc67EKS2_S3_S2_EEvlllT_PT11_llS6_llS4_PT12_llPT13_lli,"axG",@progbits,_ZN12_GLOBAL__N_127rocblas_gemm_batched_kernelI19rocblas_complex_numIfELi16ELi16ELi64ELi64ELi4ELi64ELi4ELi4ELi64ELc78ELc67EKS2_S3_S2_EEvlllT_PT11_llS6_llS4_PT12_llPT13_lli,comdat
	.globl	_ZN12_GLOBAL__N_127rocblas_gemm_batched_kernelI19rocblas_complex_numIfELi16ELi16ELi64ELi64ELi4ELi64ELi4ELi4ELi64ELc78ELc67EKS2_S3_S2_EEvlllT_PT11_llS6_llS4_PT12_llPT13_lli ; -- Begin function _ZN12_GLOBAL__N_127rocblas_gemm_batched_kernelI19rocblas_complex_numIfELi16ELi16ELi64ELi64ELi4ELi64ELi4ELi4ELi64ELc78ELc67EKS2_S3_S2_EEvlllT_PT11_llS6_llS4_PT12_llPT13_lli
	.p2align	8
	.type	_ZN12_GLOBAL__N_127rocblas_gemm_batched_kernelI19rocblas_complex_numIfELi16ELi16ELi64ELi64ELi4ELi64ELi4ELi4ELi64ELc78ELc67EKS2_S3_S2_EEvlllT_PT11_llS6_llS4_PT12_llPT13_lli,@function
_ZN12_GLOBAL__N_127rocblas_gemm_batched_kernelI19rocblas_complex_numIfELi16ELi16ELi64ELi64ELi4ELi64ELi4ELi4ELi64ELc78ELc67EKS2_S3_S2_EEvlllT_PT11_llS6_llS4_PT12_llPT13_lli: ; @_ZN12_GLOBAL__N_127rocblas_gemm_batched_kernelI19rocblas_complex_numIfELi16ELi16ELi64ELi64ELi4ELi64ELi4ELi4ELi64ELc78ELc67EKS2_S3_S2_EEvlllT_PT11_llS6_llS4_PT12_llPT13_lli
; %bb.0:
	s_load_b32 s33, s[0:1], 0x88
	s_bfe_u32 s2, ttmp6, 0x40014
	s_lshr_b32 s3, ttmp7, 16
	s_add_co_i32 s2, s2, 1
	s_bfe_u32 s4, ttmp6, 0x40008
	s_mul_i32 s2, s3, s2
	s_getreg_b32 s20, hwreg(HW_REG_IB_STS2, 6, 4)
	s_add_co_i32 s4, s4, s2
	s_cmp_eq_u32 s20, 0
	s_cselect_b32 s2, s3, s4
	s_mov_b32 s3, 0
	s_wait_kmcnt 0x0
	s_cmp_ge_i32 s2, s33
	s_cbranch_scc1 .LBB508_10
; %bb.1:
	v_bfe_u32 v2, v0, 10, 10
	v_and_b32_e32 v4, 0x3ff, v0
	s_bfe_u32 s21, ttmp6, 0x4000c
	s_bfe_u32 s23, ttmp6, 0x40010
	s_add_co_i32 s21, s21, 1
	s_and_b32 s24, ttmp7, 0xffff
	s_add_co_i32 s23, s23, 1
	v_lshl_add_u32 v5, v2, 4, v4
	v_mov_b32_e32 v3, 0
	s_and_b32 s22, ttmp6, 15
	s_mul_i32 s21, ttmp9, s21
	s_mul_i32 s23, s24, s23
	s_bfe_u32 s25, ttmp6, 0x40004
	s_clause 0x2
	s_load_b256 s[12:19], s[0:1], 0x20
	s_load_b128 s[28:31], s[0:1], 0x40
	s_load_b256 s[4:11], s[0:1], 0x58
	s_add_co_i32 s22, s22, s21
	s_add_co_i32 s25, s25, s23
	s_cmp_eq_u32 s20, 0
	v_dual_mov_b32 v7, v3 :: v_dual_lshrrev_b32 v6, 2, v5
	v_and_b32_e32 v10, 63, v5
	s_cselect_b32 s20, s24, s25
	s_cselect_b32 s36, ttmp9, s22
	s_lshl_b32 s24, s20, 6
	s_mov_b32 s25, s3
	v_lshrrev_b32_e32 v16, 6, v5
	v_add_nc_u64_e32 v[8:9], s[24:25], v[6:7]
	v_and_b32_e32 v7, 3, v0
	v_add_nc_u64_e32 v[0:1], s[24:25], v[2:3]
	s_load_b128 s[24:27], s[0:1], 0x78
	s_ashr_i32 s37, s36, 31
	s_clause 0x1
	s_load_b64 s[34:35], s[0:1], 0x50
	s_load_b128 s[20:23], s[0:1], 0x10
	s_lshl_b64 s[36:37], s[36:37], 6
	s_wait_kmcnt 0x0
	v_mad_nc_u64_u32 v[8:9], s28, v7, v[8:9]
	v_mad_nc_u64_u32 v[14:15], s14, v16, s[36:37]
	v_mul_u64_e32 v[12:13], s[6:7], v[0:1]
	v_dual_lshlrev_b32 v11, 3, v7 :: v_dual_mov_b32 v5, v3
	v_lshlrev_b32_e32 v17, 3, v10
	v_lshl_add_u32 v39, v2, 5, 0x800
	v_lshlrev_b32_e32 v37, 3, v4
	s_delay_alu instid0(VALU_DEP_4)
	v_lshl_or_b32 v6, v6, 5, v11
	v_mov_b32_e32 v11, v3
	v_add_nc_u64_e32 v[22:23], s[36:37], v[4:5]
	v_mad_u32 v9, s29, v7, v9
	v_mad_u32 v15, s15, v16, v15
	v_lshl_or_b32 v33, v16, 9, v17
	v_add_nc_u32_e32 v35, 0x800, v6
	v_mul_u64_e32 v[20:21], s[24:25], v[0:1]
	s_or_b32 s0, s34, s35
	s_mov_b32 s36, s23
	s_bitset0_b32 s0, 31
	s_mov_b32 s37, s22
	s_cmp_eq_u32 s0, 0
	v_cmp_gt_i64_e64 s0, s[20:21], 0
	v_add_nc_u64_e32 v[0:1], v[14:15], v[10:11]
	s_cselect_b32 s1, -1, 0
	s_lshl_b64 s[42:43], s[24:25], 4
	s_lshl_b64 s[44:45], s[6:7], 4
	s_mov_b32 s6, s23
	s_mov_b32 s7, s35
	v_cndmask_b32_e64 v2, 0, 1, s0
	v_lshl_add_u64 v[26:27], v[0:1], 3, s[12:13]
	v_lshl_add_u64 v[0:1], v[8:9], 3, s[18:19]
	s_mov_b32 s24, s22
	s_mov_b32 s25, s34
	v_lshl_add_u64 v[24:25], v[12:13], 3, s[4:5]
	v_cmp_ne_u32_e64 s0, 1, v2
	v_add_nc_u64_e32 v[28:29], 4, v[0:1]
	s_mov_b32 s38, s34
	s_mov_b32 s39, s34
	;; [unrolled: 1-line block ×4, first 2 shown]
	s_lshl_b64 s[4:5], s[16:17], 3
	s_lshl_b64 s[12:13], s[14:15], 5
	;; [unrolled: 1-line block ×6, first 2 shown]
	s_branch .LBB508_3
.LBB508_2:                              ;   in Loop: Header=BB508_3 Depth=1
	s_add_co_i32 s2, s2, 0x10000
	global_store_b32 v[0:1], v2, off offset:4
	s_cmp_lt_i32 s2, s33
	s_cbranch_scc0 .LBB508_10
.LBB508_3:                              ; =>This Loop Header: Depth=1
                                        ;     Child Loop BB508_5 Depth 2
	v_dual_mov_b32 v31, 0 :: v_dual_mov_b32 v30, 0
	v_dual_mov_b32 v88, 0 :: v_dual_mov_b32 v90, 0
	;; [unrolled: 1-line block ×16, first 2 shown]
	s_and_b32 vcc_lo, exec_lo, s0
	s_cbranch_vccnz .LBB508_6
; %bb.4:                                ;   in Loop: Header=BB508_3 Depth=1
	v_mad_nc_u64_u32 v[92:93], s4, s2, v[26:27]
	v_mad_nc_u64_u32 v[94:95], s14, s2, v[28:29]
	v_dual_mov_b32 v34, 0 :: v_dual_mov_b32 v32, 0
	v_dual_mov_b32 v38, 0 :: v_dual_mov_b32 v36, 0
	;; [unrolled: 1-line block ×5, first 2 shown]
	v_mad_u32 v93, s5, s2, v93
	v_mad_u32 v95, s15, s2, v95
	v_dual_mov_b32 v54, 0 :: v_dual_mov_b32 v52, 0
	v_dual_mov_b32 v58, 0 :: v_dual_mov_b32 v56, 0
	v_dual_mov_b32 v62, 0 :: v_dual_mov_b32 v60, 0
	v_dual_mov_b32 v66, 0 :: v_dual_mov_b32 v64, 0
	v_dual_mov_b32 v70, 0 :: v_dual_mov_b32 v68, 0
	v_dual_mov_b32 v72, 0 :: v_dual_mov_b32 v74, 0
	v_dual_mov_b32 v78, 0 :: v_dual_mov_b32 v76, 0
	v_dual_mov_b32 v80, 0 :: v_dual_mov_b32 v30, 0
	v_dual_mov_b32 v31, v34 :: v_dual_mov_b32 v82, 0
	v_dual_mov_b32 v86, 0 :: v_dual_mov_b32 v84, 0
	v_dual_mov_b32 v90, 0 :: v_dual_mov_b32 v88, 0
	s_mov_b64 s[30:31], 0
.LBB508_5:                              ;   Parent Loop BB508_3 Depth=1
                                        ; =>  This Inner Loop Header: Depth=2
	global_load_b64 v[0:1], v[94:95], off offset:-4
	global_load_b64 v[2:3], v[92:93], off
	s_add_nc_u64 s[30:31], s[30:31], 4
	s_wait_xcnt 0x0
	v_add_nc_u64_e32 v[92:93], s[12:13], v[92:93]
	v_cmp_lt_i64_e64 s42, s[30:31], s[20:21]
	v_add_nc_u64_e32 v[94:95], s[16:17], v[94:95]
	s_and_b32 vcc_lo, exec_lo, s42
	s_wait_loadcnt 0x1
	v_xor_b32_e32 v1, 0x80000000, v1
	s_wait_loadcnt 0x0
	ds_store_b64 v33, v[2:3]
	ds_store_b64 v35, v[0:1]
	s_wait_dscnt 0x0
	s_barrier_signal -1
	s_barrier_wait -1
	ds_load_2addr_b64 v[0:3], v37 offset1:16
	ds_load_b128 v[8:11], v39
	ds_load_2addr_b64 v[4:7], v37 offset0:32 offset1:48
	ds_load_2addr_b64 v[12:15], v37 offset0:64 offset1:80
	;; [unrolled: 1-line block ×3, first 2 shown]
	ds_load_b128 v[96:99], v39 offset:16
	ds_load_2addr_b64 v[100:103], v37 offset0:128 offset1:144
	ds_load_2addr_b64 v[104:107], v37 offset0:160 offset1:176
	;; [unrolled: 1-line block ×4, first 2 shown]
	ds_load_b128 v[116:119], v39 offset:512
	ds_load_b128 v[120:123], v39 offset:528
	;; [unrolled: 1-line block ×6, first 2 shown]
	s_wait_dscnt 0x0
	s_barrier_signal -1
	s_barrier_wait -1
	v_dual_mul_f32 v41, v9, v1 :: v_dual_mul_f32 v43, v8, v1
	v_dual_mul_f32 v45, v9, v3 :: v_dual_mul_f32 v47, v8, v3
	;; [unrolled: 1-line block ×27, first 2 shown]
	v_dual_fma_f32 v41, v8, v0, -v41 :: v_dual_fmac_f32 v43, v9, v0
	v_dual_fma_f32 v45, v8, v2, -v45 :: v_dual_fmac_f32 v47, v9, v2
	;; [unrolled: 1-line block ×8, first 2 shown]
	v_pk_mul_f32 v[8:9], v[132:133], v[6:7] op_sel:[1,1] op_sel_hi:[0,1]
	v_dual_mul_f32 v5, v135, v13 :: v_dual_mul_f32 v166, v134, v13
	v_dual_mov_b32 v10, v135 :: v_dual_mov_b32 v11, v134
	v_dual_fma_f32 v73, v116, v0, -v73 :: v_dual_fmac_f32 v75, v117, v0
	v_dual_fma_f32 v77, v116, v2, -v77 :: v_dual_fmac_f32 v79, v117, v2
	;; [unrolled: 1-line block ×19, first 2 shown]
	v_pk_fma_f32 v[0:1], v[132:133], v[6:7], v[8:9] neg_lo:[0,0,1] neg_hi:[0,0,1]
	v_pk_fma_f32 v[2:3], v[132:133], v[6:7], v[8:9] op_sel_hi:[1,0,1]
	v_dual_fma_f32 v133, v134, v12, -v5 :: v_dual_fmac_f32 v166, v135, v12
	v_pk_mul_f32 v[4:5], v[10:11], v[18:19] op_sel:[0,1]
	v_dual_mul_f32 v13, v135, v15 :: v_dual_mul_f32 v119, v134, v15
	v_dual_mul_f32 v15, v135, v17 :: v_dual_mul_f32 v17, v134, v17
	;; [unrolled: 1-line block ×4, first 2 shown]
	v_pk_fma_f32 v[6:7], v[134:135], v[18:19], v[4:5] neg_lo:[0,0,1] neg_hi:[0,0,1]
	v_pk_fma_f32 v[4:5], v[134:135], v[18:19], v[4:5] op_sel_hi:[1,0,1]
	v_dual_mul_f32 v127, v97, v101 :: v_dual_mul_f32 v150, v96, v101
	v_dual_mul_f32 v8, v97, v107 :: v_dual_mul_f32 v132, v96, v107
	v_dual_fma_f32 v162, v134, v14, -v13 :: v_dual_fmac_f32 v119, v135, v14
	v_dual_mul_f32 v9, v99, v109 :: v_dual_mul_f32 v167, v98, v109
	v_dual_fma_f32 v168, v134, v16, -v15 :: v_dual_fmac_f32 v17, v135, v16
	v_dual_mul_f32 v4, v99, v111 :: v_dual_mul_f32 v16, v98, v111
	v_dual_mul_f32 v7, v99, v113 :: v_dual_mul_f32 v18, v98, v113
	;; [unrolled: 1-line block ×3, first 2 shown]
	v_dual_fma_f32 v135, v96, v102, -v156 :: v_dual_fmac_f32 v158, v97, v102
	v_dual_fma_f32 v156, v96, v104, -v1 :: v_dual_fmac_f32 v2, v97, v104
	v_dual_mul_f32 v1, v121, v103 :: v_dual_mul_f32 v11, v121, v101
	v_mul_f32_e32 v134, v120, v101
	v_dual_fma_f32 v127, v96, v100, -v127 :: v_dual_fmac_f32 v150, v97, v100
	v_fma_f32 v96, v96, v106, -v8
	v_dual_fmac_f32 v132, v97, v106 :: v_dual_fmac_f32 v167, v99, v108
	v_dual_fma_f32 v97, v98, v108, -v9 :: v_dual_fma_f32 v4, v98, v110, -v4
	v_dual_fma_f32 v169, v98, v112, -v7 :: v_dual_fmac_f32 v16, v99, v110
	v_fmac_f32_e32 v18, v99, v112
	v_dual_fma_f32 v98, v98, v114, -v10 :: v_dual_fmac_f32 v19, v99, v114
	v_dual_mul_f32 v99, v120, v103 :: v_dual_mul_f32 v7, v121, v105
	v_dual_mul_f32 v170, v120, v105 :: v_dual_fma_f32 v172, v120, v102, -v1
	v_dual_mul_f32 v1, v121, v107 :: v_dual_fma_f32 v171, v120, v100, -v11
	v_fmac_f32_e32 v134, v121, v100
	s_delay_alu instid0(VALU_DEP_3) | instskip(NEXT) | instid1(VALU_DEP_3)
	v_dual_fma_f32 v173, v120, v104, -v7 :: v_dual_fmac_f32 v170, v121, v104
	v_dual_fma_f32 v174, v120, v106, -v1 :: v_dual_mul_f32 v120, v120, v107
	v_dual_mul_f32 v1, v123, v109 :: v_dual_mul_f32 v175, v122, v109
	v_dual_fmac_f32 v99, v121, v102 :: v_dual_mul_f32 v177, v122, v111
	s_delay_alu instid0(VALU_DEP_2) | instskip(NEXT) | instid1(VALU_DEP_3)
	v_dual_fmac_f32 v120, v121, v106 :: v_dual_fma_f32 v121, v122, v108, -v1
	v_dual_fmac_f32 v175, v123, v108 :: v_dual_mul_f32 v1, v123, v111
	s_delay_alu instid0(VALU_DEP_3) | instskip(SKIP_1) | instid1(VALU_DEP_3)
	v_dual_fmac_f32 v177, v123, v110 :: v_dual_mul_f32 v179, v122, v113
	v_dual_mul_f32 v181, v128, v101 :: v_dual_mul_f32 v183, v128, v103
	v_dual_fma_f32 v176, v122, v110, -v1 :: v_dual_mul_f32 v1, v123, v113
	s_delay_alu instid0(VALU_DEP_3) | instskip(NEXT) | instid1(VALU_DEP_3)
	v_fmac_f32_e32 v179, v123, v112
	v_dual_fmac_f32 v181, v129, v100 :: v_dual_mul_f32 v185, v128, v105
	s_delay_alu instid0(VALU_DEP_3) | instskip(SKIP_1) | instid1(VALU_DEP_3)
	v_dual_fmac_f32 v183, v129, v102 :: v_dual_fma_f32 v178, v122, v112, -v1
	v_dual_mul_f32 v1, v123, v115 :: v_dual_mul_f32 v187, v130, v109
	v_dual_fmac_f32 v185, v129, v104 :: v_dual_mul_f32 v189, v130, v111
	v_mul_f32_e32 v191, v130, v113
	s_delay_alu instid0(VALU_DEP_3) | instskip(NEXT) | instid1(VALU_DEP_3)
	v_dual_fma_f32 v180, v122, v114, -v1 :: v_dual_mul_f32 v122, v122, v115
	v_dual_mul_f32 v1, v129, v101 :: v_dual_fmac_f32 v189, v131, v110
	v_fmac_f32_e32 v187, v131, v108
	s_delay_alu instid0(VALU_DEP_4) | instskip(NEXT) | instid1(VALU_DEP_3)
	v_fmac_f32_e32 v191, v131, v112
	v_dual_fmac_f32 v122, v123, v114 :: v_dual_fma_f32 v123, v128, v100, -v1
	v_mul_f32_e32 v1, v129, v103
	v_pk_mul_f32 v[8:9], v[136:137], v[106:107] op_sel:[1,1] op_sel_hi:[0,1]
	v_dual_mov_b32 v12, v139 :: v_dual_mov_b32 v13, v138
	v_add_f32_e32 v36, v36, v154
	s_delay_alu instid0(VALU_DEP_4) | instskip(NEXT) | instid1(VALU_DEP_4)
	v_dual_fma_f32 v182, v128, v102, -v1 :: v_dual_mul_f32 v1, v129, v105
	v_pk_fma_f32 v[10:11], v[136:137], v[106:107], v[8:9] neg_lo:[0,0,1] neg_hi:[0,0,1]
	v_pk_fma_f32 v[8:9], v[136:137], v[106:107], v[8:9] op_sel_hi:[1,0,1]
	v_pk_mul_f32 v[12:13], v[12:13], v[114:115] op_sel:[0,1]
	v_add_f32_e32 v72, v72, v75
	v_dual_fma_f32 v184, v128, v104, -v1 :: v_dual_mul_f32 v1, v129, v107
	v_dual_add_f32 v68, v68, v77 :: v_dual_add_f32 v70, v70, v79
	s_delay_alu instid0(VALU_DEP_4) | instskip(SKIP_1) | instid1(VALU_DEP_4)
	v_pk_fma_f32 v[14:15], v[138:139], v[114:115], v[12:13] neg_lo:[0,0,1] neg_hi:[0,0,1]
	v_pk_fma_f32 v[12:13], v[138:139], v[114:115], v[12:13] op_sel_hi:[1,0,1]
	v_dual_fma_f32 v186, v128, v106, -v1 :: v_dual_mul_f32 v128, v128, v107
	v_dual_mul_f32 v1, v131, v109 :: v_dual_mul_f32 v107, v138, v111
	v_dual_add_f32 v12, v88, v41 :: v_dual_add_f32 v41, v90, v43
	s_delay_alu instid0(VALU_DEP_2) | instskip(SKIP_3) | instid1(VALU_DEP_3)
	v_dual_fmac_f32 v128, v129, v106 :: v_dual_fma_f32 v129, v130, v108, -v1
	v_dual_mul_f32 v1, v131, v111 :: v_dual_add_f32 v43, v84, v45
	v_add_f32_e32 v45, v86, v47
	v_dual_add_f32 v47, v82, v49 :: v_dual_add_f32 v49, v80, v51
	v_dual_fma_f32 v188, v130, v110, -v1 :: v_dual_mul_f32 v1, v131, v113
	v_dual_add_f32 v51, v76, v53 :: v_dual_add_f32 v53, v78, v55
	v_add_f32_e32 v55, v74, v73
	v_dual_add_f32 v64, v64, v81 :: v_dual_add_f32 v66, v66, v83
	s_delay_alu instid0(VALU_DEP_4) | instskip(SKIP_2) | instid1(VALU_DEP_3)
	v_dual_fma_f32 v190, v130, v112, -v1 :: v_dual_mul_f32 v1, v131, v115
	v_dual_add_f32 v60, v60, v85 :: v_dual_add_f32 v62, v62, v87
	v_dual_add_f32 v56, v56, v140 :: v_dual_add_f32 v58, v58, v147
	v_dual_fma_f32 v192, v130, v114, -v1 :: v_dual_mul_f32 v130, v130, v115
	v_dual_mul_f32 v1, v137, v101 :: v_dual_mul_f32 v101, v136, v101
	v_dual_add_f32 v52, v52, v142 :: v_dual_add_f32 v54, v54, v149
	s_delay_alu instid0(VALU_DEP_2) | instskip(NEXT) | instid1(VALU_DEP_3)
	v_dual_fmac_f32 v130, v131, v114 :: v_dual_fma_f32 v131, v136, v100, -v1
	v_dual_mul_f32 v1, v137, v103 :: v_dual_fmac_f32 v101, v137, v100
	v_mul_f32_e32 v103, v136, v103
	v_dual_add_f32 v48, v48, v144 :: v_dual_add_f32 v50, v50, v151
	s_delay_alu instid0(VALU_DEP_3) | instskip(NEXT) | instid1(VALU_DEP_3)
	v_dual_fma_f32 v100, v136, v102, -v1 :: v_dual_mul_f32 v1, v137, v105
	v_dual_mul_f32 v105, v136, v105 :: v_dual_fmac_f32 v103, v137, v102
	v_dual_add_f32 v44, v44, v124 :: v_dual_add_f32 v46, v46, v153
	s_delay_alu instid0(VALU_DEP_3) | instskip(NEXT) | instid1(VALU_DEP_3)
	v_dual_fma_f32 v102, v136, v104, -v1 :: v_dual_mul_f32 v1, v139, v109
	v_dual_fmac_f32 v105, v137, v104 :: v_dual_mul_f32 v104, v138, v109
	v_dual_mul_f32 v109, v138, v113 :: v_dual_add_f32 v40, v40, v152
	v_add_f32_e32 v42, v42, v163
	s_delay_alu instid0(VALU_DEP_3) | instskip(NEXT) | instid1(VALU_DEP_3)
	v_dual_fma_f32 v8, v138, v108, -v1 :: v_dual_fmac_f32 v104, v139, v108
	v_dual_mul_f32 v1, v139, v111 :: v_dual_fmac_f32 v109, v139, v112
	v_dual_add_f32 v32, v32, v160 :: v_dual_add_f32 v34, v34, v165
	v_dual_mov_b32 v7, v5 :: v_dual_mov_b32 v15, v13
	s_delay_alu instid0(VALU_DEP_3) | instskip(SKIP_3) | instid1(VALU_DEP_3)
	v_dual_fma_f32 v106, v138, v110, -v1 :: v_dual_fmac_f32 v107, v139, v110
	v_dual_mul_f32 v1, v139, v113 :: v_dual_mov_b32 v11, v9
	v_dual_add_f32 v5, v12, v57 :: v_dual_add_f32 v9, v41, v59
	v_dual_add_f32 v12, v43, v61 :: v_dual_add_f32 v13, v45, v63
	v_dual_fma_f32 v108, v138, v112, -v1 :: v_dual_mov_b32 v1, v3
	v_dual_add_f32 v3, v38, v164 :: v_dual_add_f32 v38, v51, v69
	v_dual_add_f32 v41, v53, v71 :: v_dual_add_f32 v43, v55, v89
	v_add_f32_e32 v45, v72, v91
	s_delay_alu instid0(VALU_DEP_4)
	v_pk_add_f32 v[0:1], v[30:31], v[0:1]
	v_dual_add_f32 v30, v47, v65 :: v_dual_add_f32 v31, v49, v67
	v_dual_add_f32 v47, v68, v116 :: v_dual_add_f32 v49, v70, v141
	;; [unrolled: 1-line block ×11, first 2 shown]
	v_pk_add_f32 v[0:1], v[0:1], v[6:7]
	v_add_f32_e32 v5, v5, v127
	v_dual_add_f32 v6, v9, v150 :: v_dual_add_f32 v7, v12, v135
	v_dual_add_f32 v9, v13, v158 :: v_dual_add_f32 v13, v38, v96
	;; [unrolled: 1-line block ×6, first 2 shown]
	v_add_f32_e32 v45, v53, v170
	v_dual_add_f32 v47, v55, v174 :: v_dual_add_f32 v49, v57, v120
	v_dual_add_f32 v51, v56, v123 :: v_dual_add_f32 v53, v58, v181
	;; [unrolled: 1-line block ×8, first 2 shown]
	v_pk_add_f32 v[0:1], v[0:1], v[10:11]
	v_dual_add_f32 v88, v5, v97 :: v_dual_add_f32 v90, v6, v167
	v_dual_add_f32 v84, v7, v4 :: v_dual_add_f32 v82, v12, v169
	;; [unrolled: 1-line block ×15, first 2 shown]
	v_pk_add_f32 v[30:31], v[0:1], v[14:15]
	s_cbranch_vccnz .LBB508_5
.LBB508_6:                              ;   in Loop: Header=BB508_3 Depth=1
	s_mul_u64 s[30:31], s[26:27], s[2:3]
	s_and_not1_b32 vcc_lo, exec_lo, s1
	s_lshl_b64 s[30:31], s[30:31], 3
	s_mov_b32 s42, -1
	s_add_nc_u64 s[30:31], s[10:11], s[30:31]
                                        ; implicit-def: $vgpr2
                                        ; implicit-def: $vgpr0_vgpr1
	s_cbranch_vccz .LBB508_8
; %bb.7:                                ;   in Loop: Header=BB508_3 Depth=1
	s_and_not1_b32 vcc_lo, exec_lo, s42
	s_cbranch_vccnz .LBB508_2
	s_branch .LBB508_9
.LBB508_8:                              ;   in Loop: Header=BB508_3 Depth=1
	s_wait_xcnt 0x0
	v_mov_b64_e32 v[0:1], s[36:37]
	v_mov_b64_e32 v[6:7], s[22:23]
	v_lshlrev_b64_e32 v[2:3], 3, v[22:23]
	v_lshl_add_u64 v[4:5], v[20:21], 3, s[30:31]
	s_delay_alu instid0(VALU_DEP_4)
	v_pk_mul_f32 v[8:9], v[90:91], v[0:1] op_sel_hi:[0,1]
	v_pk_mul_f32 v[10:11], v[86:87], v[0:1] op_sel_hi:[0,1]
	;; [unrolled: 1-line block ×4, first 2 shown]
	v_add_nc_u64_e32 v[16:17], v[4:5], v[2:3]
	v_pk_fma_f32 v[18:19], v[88:89], v[6:7], v[8:9] neg_lo:[0,0,1] neg_hi:[0,0,1]
	v_pk_fma_f32 v[8:9], v[88:89], v[6:7], v[8:9] op_sel_hi:[0,1,1]
	v_pk_fma_f32 v[92:93], v[84:85], v[6:7], v[10:11] op_sel_hi:[0,1,1]
	;; [unrolled: 1-line block ×4, first 2 shown]
	v_pk_fma_f32 v[10:11], v[84:85], v[6:7], v[10:11] neg_lo:[0,0,1] neg_hi:[0,0,1]
	s_delay_alu instid0(VALU_DEP_4)
	v_dual_mov_b32 v19, v9 :: v_dual_mov_b32 v11, v93
	v_pk_fma_f32 v[8:9], v[82:83], v[6:7], v[12:13] neg_lo:[0,0,1] neg_hi:[0,0,1]
	v_mov_b32_e32 v9, v95
	v_pk_fma_f32 v[12:13], v[76:77], v[6:7], v[14:15] neg_lo:[0,0,1] neg_hi:[0,0,1]
	v_mov_b32_e32 v13, v97
	v_pk_mul_f32 v[14:15], v[72:73], v[0:1] op_sel_hi:[0,1]
	s_clause 0x3
	global_store_b64 v[16:17], v[18:19], off
	global_store_b64 v[16:17], v[10:11], off offset:128
	global_store_b64 v[16:17], v[8:9], off offset:256
	;; [unrolled: 1-line block ×3, first 2 shown]
	s_wait_xcnt 0x1
	v_pk_mul_f32 v[8:9], v[70:71], v[0:1] op_sel_hi:[0,1]
	s_wait_xcnt 0x0
	v_pk_mul_f32 v[16:17], v[66:67], v[0:1] op_sel_hi:[0,1]
	v_add_nc_u64_e32 v[4:5], s[28:29], v[4:5]
	v_pk_fma_f32 v[12:13], v[74:75], v[6:7], v[14:15] op_sel_hi:[0,1,1]
	v_pk_mul_f32 v[92:93], v[62:63], v[0:1] op_sel_hi:[0,1]
	v_pk_fma_f32 v[18:19], v[68:69], v[6:7], v[8:9] op_sel_hi:[0,1,1]
	v_pk_fma_f32 v[14:15], v[74:75], v[6:7], v[14:15] neg_lo:[0,0,1] neg_hi:[0,0,1]
	v_pk_fma_f32 v[8:9], v[68:69], v[6:7], v[8:9] neg_lo:[0,0,1] neg_hi:[0,0,1]
	v_mov_b32_e32 v15, v13
	v_pk_fma_f32 v[12:13], v[64:65], v[6:7], v[16:17] op_sel_hi:[0,1,1]
	v_mov_b32_e32 v9, v19
	v_pk_fma_f32 v[18:19], v[60:61], v[6:7], v[92:93] op_sel_hi:[0,1,1]
	v_add_nc_u64_e32 v[10:11], v[4:5], v[2:3]
	v_pk_fma_f32 v[16:17], v[64:65], v[6:7], v[16:17] neg_lo:[0,0,1] neg_hi:[0,0,1]
	v_mov_b32_e32 v17, v13
	v_pk_fma_f32 v[12:13], v[60:61], v[6:7], v[92:93] neg_lo:[0,0,1] neg_hi:[0,0,1]
	v_mov_b32_e32 v13, v19
	v_pk_mul_f32 v[18:19], v[58:59], v[0:1] op_sel_hi:[0,1]
	v_add_nc_u64_e32 v[4:5], s[28:29], v[4:5]
	s_clause 0x3
	global_store_b64 v[10:11], v[14:15], off
	global_store_b64 v[10:11], v[8:9], off offset:128
	global_store_b64 v[10:11], v[16:17], off offset:256
	global_store_b64 v[10:11], v[12:13], off offset:384
	s_wait_xcnt 0x0
	v_pk_mul_f32 v[10:11], v[54:55], v[0:1] op_sel_hi:[0,1]
	v_pk_mul_f32 v[14:15], v[50:51], v[0:1] op_sel_hi:[0,1]
	v_pk_fma_f32 v[12:13], v[56:57], v[6:7], v[18:19] op_sel_hi:[0,1,1]
	v_pk_fma_f32 v[16:17], v[56:57], v[6:7], v[18:19] neg_lo:[0,0,1] neg_hi:[0,0,1]
	v_pk_mul_f32 v[18:19], v[46:47], v[0:1] op_sel_hi:[0,1]
	v_pk_fma_f32 v[92:93], v[52:53], v[6:7], v[10:11] op_sel_hi:[0,1,1]
	v_add_nc_u64_e32 v[8:9], v[4:5], v[2:3]
	v_mov_b32_e32 v17, v13
	v_pk_fma_f32 v[12:13], v[48:49], v[6:7], v[14:15] op_sel_hi:[0,1,1]
	v_pk_fma_f32 v[94:95], v[44:45], v[6:7], v[18:19] op_sel_hi:[0,1,1]
	v_pk_fma_f32 v[10:11], v[52:53], v[6:7], v[10:11] neg_lo:[0,0,1] neg_hi:[0,0,1]
	v_mov_b32_e32 v11, v93
	v_pk_fma_f32 v[14:15], v[48:49], v[6:7], v[14:15] neg_lo:[0,0,1] neg_hi:[0,0,1]
	v_mov_b32_e32 v15, v13
	;; [unrolled: 2-line block ×3, first 2 shown]
	v_add_nc_u64_e32 v[4:5], s[28:29], v[4:5]
	v_pk_mul_f32 v[18:19], v[42:43], v[0:1] op_sel_hi:[0,1]
	s_clause 0x3
	global_store_b64 v[8:9], v[16:17], off
	global_store_b64 v[8:9], v[10:11], off offset:128
	global_store_b64 v[8:9], v[14:15], off offset:256
	;; [unrolled: 1-line block ×3, first 2 shown]
	s_wait_xcnt 0x0
	v_pk_mul_f32 v[8:9], v[38:39], v[0:1] op_sel_hi:[0,1]
	v_pk_fma_f32 v[10:11], v[40:41], v[6:7], v[18:19] op_sel_hi:[0,1,1]
	v_add_nc_u64_e32 v[4:5], v[4:5], v[2:3]
	v_pk_mul_f32 v[2:3], v[34:35], v[0:1] op_sel_hi:[0,1]
	s_delay_alu instid0(VALU_DEP_4)
	v_pk_fma_f32 v[14:15], v[36:37], v[6:7], v[8:9] op_sel_hi:[0,1,1]
	v_pk_fma_f32 v[12:13], v[40:41], v[6:7], v[18:19] neg_lo:[0,0,1] neg_hi:[0,0,1]
	v_pk_fma_f32 v[8:9], v[36:37], v[6:7], v[8:9] neg_lo:[0,0,1] neg_hi:[0,0,1]
	v_mov_b32_e32 v13, v11
	v_pk_fma_f32 v[10:11], v[32:33], v[6:7], v[2:3] op_sel_hi:[0,1,1]
	v_mov_b32_e32 v9, v15
	v_pk_mul_f32 v[14:15], v[30:31], v[0:1]
	v_mul_f32_e32 v10, s22, v30
	v_add_nc_u64_e32 v[0:1], 0x180, v[4:5]
	v_pk_fma_f32 v[6:7], v[32:33], v[6:7], v[2:3] neg_lo:[0,0,1] neg_hi:[0,0,1]
	s_delay_alu instid0(VALU_DEP_4) | instskip(NEXT) | instid1(VALU_DEP_4)
	v_dual_mov_b32 v7, v11 :: v_dual_add_f32 v2, v14, v15
	v_fma_f32 v3, -v31, s36, v10
	s_clause 0x3
	global_store_b64 v[4:5], v[12:13], off
	global_store_b64 v[4:5], v[8:9], off offset:128
	global_store_b64 v[4:5], v[6:7], off offset:256
	global_store_b32 v[4:5], v3, off offset:384
	s_cbranch_execnz .LBB508_2
.LBB508_9:                              ;   in Loop: Header=BB508_3 Depth=1
	s_mul_u64 s[42:43], s[8:9], s[2:3]
	s_wait_xcnt 0x0
	v_lshlrev_b64_e32 v[0:1], 3, v[22:23]
	s_wait_xcnt 0x0
	v_lshl_add_u64 v[2:3], s[42:43], 3, v[24:25]
	v_mov_b64_e32 v[8:9], s[36:37]
	v_mov_b64_e32 v[10:11], s[40:41]
	;; [unrolled: 1-line block ×4, first 2 shown]
	v_lshl_add_u64 v[94:95], v[20:21], 3, s[30:31]
	v_add_nc_u64_e32 v[4:5], v[2:3], v[0:1]
	v_add_nc_u64_e32 v[2:3], s[18:19], v[2:3]
	v_pk_mul_f32 v[14:15], v[90:91], v[8:9] op_sel_hi:[0,1]
	s_delay_alu instid0(VALU_DEP_1) | instskip(SKIP_4) | instid1(VALU_DEP_1)
	v_pk_fma_f32 v[90:91], v[88:89], v[12:13], v[14:15] op_sel_hi:[0,1,1]
	global_load_b64 v[6:7], v[4:5], off
	v_pk_fma_f32 v[14:15], v[88:89], v[12:13], v[14:15] neg_lo:[0,0,1] neg_hi:[0,0,1]
	s_wait_loadcnt 0x0
	v_pk_mul_f32 v[18:19], v[6:7], v[10:11]
	v_pk_fma_f32 v[92:93], v[6:7], v[16:17], v[18:19] op_sel:[0,0,1] op_sel_hi:[1,1,0]
	v_pk_fma_f32 v[6:7], v[6:7], v[16:17], v[18:19] op_sel:[0,0,1] op_sel_hi:[1,1,0] neg_lo:[0,0,1] neg_hi:[0,0,1]
	v_mov_b32_e32 v15, v91
	v_add_nc_u64_e32 v[18:19], v[94:95], v[0:1]
	s_delay_alu instid0(VALU_DEP_4) | instskip(NEXT) | instid1(VALU_DEP_1)
	v_mov_b32_e32 v7, v93
	v_pk_add_f32 v[6:7], v[14:15], v[6:7]
	v_pk_mul_f32 v[14:15], v[86:87], v[8:9] op_sel_hi:[0,1]
	global_store_b64 v[18:19], v[6:7], off
	global_load_b64 v[6:7], v[4:5], off offset:128
	v_pk_fma_f32 v[88:89], v[84:85], v[12:13], v[14:15] op_sel_hi:[0,1,1]
	v_pk_fma_f32 v[14:15], v[84:85], v[12:13], v[14:15] neg_lo:[0,0,1] neg_hi:[0,0,1]
	s_wait_loadcnt 0x0
	v_pk_mul_f32 v[86:87], v[6:7], v[10:11]
	s_delay_alu instid0(VALU_DEP_1) | instskip(SKIP_1) | instid1(VALU_DEP_2)
	v_pk_fma_f32 v[90:91], v[6:7], v[16:17], v[86:87] op_sel:[0,0,1] op_sel_hi:[1,1,0]
	v_pk_fma_f32 v[6:7], v[6:7], v[16:17], v[86:87] op_sel:[0,0,1] op_sel_hi:[1,1,0] neg_lo:[0,0,1] neg_hi:[0,0,1]
	v_dual_mov_b32 v15, v89 :: v_dual_mov_b32 v7, v91
	s_delay_alu instid0(VALU_DEP_1)
	v_pk_add_f32 v[6:7], v[14:15], v[6:7]
	v_pk_mul_f32 v[14:15], v[80:81], v[8:9] op_sel_hi:[0,1]
	global_store_b64 v[18:19], v[6:7], off offset:128
	global_load_b64 v[6:7], v[4:5], off offset:256
	v_pk_fma_f32 v[84:85], v[82:83], v[12:13], v[14:15] op_sel_hi:[0,1,1]
	v_pk_fma_f32 v[14:15], v[82:83], v[12:13], v[14:15] neg_lo:[0,0,1] neg_hi:[0,0,1]
	s_wait_loadcnt 0x0
	v_pk_mul_f32 v[80:81], v[6:7], v[10:11]
	s_delay_alu instid0(VALU_DEP_1) | instskip(SKIP_1) | instid1(VALU_DEP_2)
	v_pk_fma_f32 v[86:87], v[6:7], v[16:17], v[80:81] op_sel:[0,0,1] op_sel_hi:[1,1,0]
	v_pk_fma_f32 v[6:7], v[6:7], v[16:17], v[80:81] op_sel:[0,0,1] op_sel_hi:[1,1,0] neg_lo:[0,0,1] neg_hi:[0,0,1]
	v_dual_mov_b32 v15, v85 :: v_dual_mov_b32 v7, v87
	s_delay_alu instid0(VALU_DEP_1) | instskip(SKIP_4) | instid1(VALU_DEP_1)
	v_pk_add_f32 v[6:7], v[14:15], v[6:7]
	global_store_b64 v[18:19], v[6:7], off offset:256
	global_load_b64 v[4:5], v[4:5], off offset:384
	s_wait_xcnt 0x1
	v_pk_mul_f32 v[6:7], v[78:79], v[8:9] op_sel_hi:[0,1]
	v_pk_fma_f32 v[78:79], v[76:77], v[12:13], v[6:7] op_sel_hi:[0,1,1]
	v_pk_fma_f32 v[6:7], v[76:77], v[12:13], v[6:7] neg_lo:[0,0,1] neg_hi:[0,0,1]
	s_wait_loadcnt 0x0
	v_pk_mul_f32 v[14:15], v[4:5], v[10:11]
	s_delay_alu instid0(VALU_DEP_1)
	v_pk_fma_f32 v[80:81], v[4:5], v[16:17], v[14:15] op_sel:[0,0,1] op_sel_hi:[1,1,0]
	s_wait_xcnt 0x0
	v_pk_fma_f32 v[4:5], v[4:5], v[16:17], v[14:15] op_sel:[0,0,1] op_sel_hi:[1,1,0] neg_lo:[0,0,1] neg_hi:[0,0,1]
	v_mov_b32_e32 v7, v79
	v_add_nc_u64_e32 v[14:15], v[2:3], v[0:1]
	v_add_nc_u64_e32 v[78:79], s[28:29], v[94:95]
	v_mov_b32_e32 v5, v81
	v_add_nc_u64_e32 v[2:3], s[18:19], v[2:3]
	s_delay_alu instid0(VALU_DEP_2)
	v_pk_add_f32 v[4:5], v[6:7], v[4:5]
	v_pk_mul_f32 v[6:7], v[72:73], v[8:9] op_sel_hi:[0,1]
	global_store_b64 v[18:19], v[4:5], off offset:384
	global_load_b64 v[4:5], v[14:15], off
	v_pk_fma_f32 v[72:73], v[74:75], v[12:13], v[6:7] op_sel_hi:[0,1,1]
	v_pk_fma_f32 v[6:7], v[74:75], v[12:13], v[6:7] neg_lo:[0,0,1] neg_hi:[0,0,1]
	s_wait_loadcnt 0x0
	v_pk_mul_f32 v[18:19], v[4:5], v[10:11]
	s_delay_alu instid0(VALU_DEP_1) | instskip(SKIP_3) | instid1(VALU_DEP_4)
	v_pk_fma_f32 v[76:77], v[4:5], v[16:17], v[18:19] op_sel:[0,0,1] op_sel_hi:[1,1,0]
	v_pk_fma_f32 v[4:5], v[4:5], v[16:17], v[18:19] op_sel:[0,0,1] op_sel_hi:[1,1,0] neg_lo:[0,0,1] neg_hi:[0,0,1]
	v_mov_b32_e32 v7, v73
	v_add_nc_u64_e32 v[18:19], v[78:79], v[0:1]
	v_mov_b32_e32 v5, v77
	s_delay_alu instid0(VALU_DEP_1)
	v_pk_add_f32 v[4:5], v[6:7], v[4:5]
	v_pk_mul_f32 v[6:7], v[70:71], v[8:9] op_sel_hi:[0,1]
	global_store_b64 v[18:19], v[4:5], off
	global_load_b64 v[4:5], v[14:15], off offset:128
	v_pk_fma_f32 v[72:73], v[68:69], v[12:13], v[6:7] op_sel_hi:[0,1,1]
	v_pk_fma_f32 v[6:7], v[68:69], v[12:13], v[6:7] neg_lo:[0,0,1] neg_hi:[0,0,1]
	s_wait_loadcnt 0x0
	v_pk_mul_f32 v[70:71], v[4:5], v[10:11]
	s_delay_alu instid0(VALU_DEP_1) | instskip(SKIP_1) | instid1(VALU_DEP_2)
	v_pk_fma_f32 v[74:75], v[4:5], v[16:17], v[70:71] op_sel:[0,0,1] op_sel_hi:[1,1,0]
	v_pk_fma_f32 v[4:5], v[4:5], v[16:17], v[70:71] op_sel:[0,0,1] op_sel_hi:[1,1,0] neg_lo:[0,0,1] neg_hi:[0,0,1]
	v_dual_mov_b32 v7, v73 :: v_dual_mov_b32 v5, v75
	s_delay_alu instid0(VALU_DEP_1)
	v_pk_add_f32 v[4:5], v[6:7], v[4:5]
	v_pk_mul_f32 v[6:7], v[66:67], v[8:9] op_sel_hi:[0,1]
	global_store_b64 v[18:19], v[4:5], off offset:128
	global_load_b64 v[4:5], v[14:15], off offset:256
	v_pk_fma_f32 v[68:69], v[64:65], v[12:13], v[6:7] op_sel_hi:[0,1,1]
	v_pk_fma_f32 v[6:7], v[64:65], v[12:13], v[6:7] neg_lo:[0,0,1] neg_hi:[0,0,1]
	s_wait_loadcnt 0x0
	v_pk_mul_f32 v[66:67], v[4:5], v[10:11]
	s_delay_alu instid0(VALU_DEP_1) | instskip(SKIP_1) | instid1(VALU_DEP_2)
	v_pk_fma_f32 v[70:71], v[4:5], v[16:17], v[66:67] op_sel:[0,0,1] op_sel_hi:[1,1,0]
	v_pk_fma_f32 v[4:5], v[4:5], v[16:17], v[66:67] op_sel:[0,0,1] op_sel_hi:[1,1,0] neg_lo:[0,0,1] neg_hi:[0,0,1]
	v_dual_mov_b32 v7, v69 :: v_dual_mov_b32 v5, v71
	s_delay_alu instid0(VALU_DEP_1)
	v_pk_add_f32 v[4:5], v[6:7], v[4:5]
	v_pk_mul_f32 v[6:7], v[62:63], v[8:9] op_sel_hi:[0,1]
	global_store_b64 v[18:19], v[4:5], off offset:256
	global_load_b64 v[4:5], v[14:15], off offset:384
	v_pk_fma_f32 v[62:63], v[60:61], v[12:13], v[6:7] op_sel_hi:[0,1,1]
	v_pk_fma_f32 v[6:7], v[60:61], v[12:13], v[6:7] neg_lo:[0,0,1] neg_hi:[0,0,1]
	s_wait_loadcnt 0x0
	s_wait_xcnt 0x0
	v_pk_mul_f32 v[14:15], v[4:5], v[10:11]
	s_delay_alu instid0(VALU_DEP_1)
	v_pk_fma_f32 v[64:65], v[4:5], v[16:17], v[14:15] op_sel:[0,0,1] op_sel_hi:[1,1,0]
	v_pk_fma_f32 v[4:5], v[4:5], v[16:17], v[14:15] op_sel:[0,0,1] op_sel_hi:[1,1,0] neg_lo:[0,0,1] neg_hi:[0,0,1]
	v_mov_b32_e32 v7, v63
	v_add_nc_u64_e32 v[14:15], v[2:3], v[0:1]
	v_add_nc_u64_e32 v[62:63], s[28:29], v[78:79]
	v_mov_b32_e32 v5, v65
	v_add_nc_u64_e32 v[2:3], s[18:19], v[2:3]
	s_delay_alu instid0(VALU_DEP_2) | instskip(SKIP_1) | instid1(VALU_DEP_3)
	v_pk_add_f32 v[4:5], v[6:7], v[4:5]
	v_pk_mul_f32 v[6:7], v[58:59], v[8:9] op_sel_hi:[0,1]
	v_add_nc_u64_e32 v[2:3], v[2:3], v[0:1]
	global_store_b64 v[18:19], v[4:5], off offset:384
	global_load_b64 v[4:5], v[14:15], off
	v_pk_fma_f32 v[58:59], v[56:57], v[12:13], v[6:7] op_sel_hi:[0,1,1]
	v_pk_fma_f32 v[6:7], v[56:57], v[12:13], v[6:7] neg_lo:[0,0,1] neg_hi:[0,0,1]
	s_wait_loadcnt 0x0
	v_pk_mul_f32 v[18:19], v[4:5], v[10:11]
	s_delay_alu instid0(VALU_DEP_1) | instskip(SKIP_3) | instid1(VALU_DEP_4)
	v_pk_fma_f32 v[60:61], v[4:5], v[16:17], v[18:19] op_sel:[0,0,1] op_sel_hi:[1,1,0]
	v_pk_fma_f32 v[4:5], v[4:5], v[16:17], v[18:19] op_sel:[0,0,1] op_sel_hi:[1,1,0] neg_lo:[0,0,1] neg_hi:[0,0,1]
	v_mov_b32_e32 v7, v59
	v_add_nc_u64_e32 v[18:19], v[62:63], v[0:1]
	v_mov_b32_e32 v5, v61
	s_delay_alu instid0(VALU_DEP_1)
	v_pk_add_f32 v[4:5], v[6:7], v[4:5]
	v_pk_mul_f32 v[6:7], v[54:55], v[8:9] op_sel_hi:[0,1]
	global_store_b64 v[18:19], v[4:5], off
	global_load_b64 v[4:5], v[14:15], off offset:128
	v_pk_fma_f32 v[56:57], v[52:53], v[12:13], v[6:7] op_sel_hi:[0,1,1]
	v_pk_fma_f32 v[6:7], v[52:53], v[12:13], v[6:7] neg_lo:[0,0,1] neg_hi:[0,0,1]
	s_wait_loadcnt 0x0
	v_pk_mul_f32 v[54:55], v[4:5], v[10:11]
	s_delay_alu instid0(VALU_DEP_1) | instskip(SKIP_1) | instid1(VALU_DEP_2)
	v_pk_fma_f32 v[58:59], v[4:5], v[16:17], v[54:55] op_sel:[0,0,1] op_sel_hi:[1,1,0]
	v_pk_fma_f32 v[4:5], v[4:5], v[16:17], v[54:55] op_sel:[0,0,1] op_sel_hi:[1,1,0] neg_lo:[0,0,1] neg_hi:[0,0,1]
	v_dual_mov_b32 v7, v57 :: v_dual_mov_b32 v5, v59
	s_delay_alu instid0(VALU_DEP_1)
	v_pk_add_f32 v[4:5], v[6:7], v[4:5]
	v_pk_mul_f32 v[6:7], v[50:51], v[8:9] op_sel_hi:[0,1]
	global_store_b64 v[18:19], v[4:5], off offset:128
	global_load_b64 v[4:5], v[14:15], off offset:256
	v_pk_fma_f32 v[52:53], v[48:49], v[12:13], v[6:7] op_sel_hi:[0,1,1]
	v_pk_fma_f32 v[6:7], v[48:49], v[12:13], v[6:7] neg_lo:[0,0,1] neg_hi:[0,0,1]
	s_wait_loadcnt 0x0
	v_pk_mul_f32 v[50:51], v[4:5], v[10:11]
	s_delay_alu instid0(VALU_DEP_1) | instskip(SKIP_1) | instid1(VALU_DEP_2)
	v_pk_fma_f32 v[54:55], v[4:5], v[16:17], v[50:51] op_sel:[0,0,1] op_sel_hi:[1,1,0]
	v_pk_fma_f32 v[4:5], v[4:5], v[16:17], v[50:51] op_sel:[0,0,1] op_sel_hi:[1,1,0] neg_lo:[0,0,1] neg_hi:[0,0,1]
	v_dual_mov_b32 v7, v53 :: v_dual_mov_b32 v5, v55
	s_delay_alu instid0(VALU_DEP_1)
	v_pk_add_f32 v[4:5], v[6:7], v[4:5]
	v_pk_mul_f32 v[6:7], v[46:47], v[8:9] op_sel_hi:[0,1]
	global_store_b64 v[18:19], v[4:5], off offset:256
	global_load_b64 v[4:5], v[14:15], off offset:384
	v_pk_fma_f32 v[46:47], v[44:45], v[12:13], v[6:7] op_sel_hi:[0,1,1]
	v_pk_fma_f32 v[6:7], v[44:45], v[12:13], v[6:7] neg_lo:[0,0,1] neg_hi:[0,0,1]
	v_add_nc_u64_e32 v[44:45], s[28:29], v[62:63]
	s_wait_loadcnt 0x0
	s_wait_xcnt 0x0
	v_pk_mul_f32 v[14:15], v[4:5], v[10:11]
	s_delay_alu instid0(VALU_DEP_1) | instskip(SKIP_1) | instid1(VALU_DEP_2)
	v_pk_fma_f32 v[48:49], v[4:5], v[16:17], v[14:15] op_sel:[0,0,1] op_sel_hi:[1,1,0]
	v_pk_fma_f32 v[4:5], v[4:5], v[16:17], v[14:15] op_sel:[0,0,1] op_sel_hi:[1,1,0] neg_lo:[0,0,1] neg_hi:[0,0,1]
	v_dual_mov_b32 v7, v47 :: v_dual_mov_b32 v5, v49
	s_delay_alu instid0(VALU_DEP_1)
	v_pk_add_f32 v[4:5], v[6:7], v[4:5]
	v_pk_mul_f32 v[6:7], v[42:43], v[8:9] op_sel_hi:[0,1]
	global_store_b64 v[18:19], v[4:5], off offset:384
	global_load_b64 v[4:5], v[2:3], off
	v_pk_fma_f32 v[18:19], v[40:41], v[12:13], v[6:7] op_sel_hi:[0,1,1]
	v_pk_fma_f32 v[6:7], v[40:41], v[12:13], v[6:7] neg_lo:[0,0,1] neg_hi:[0,0,1]
	s_wait_loadcnt 0x0
	v_pk_mul_f32 v[14:15], v[4:5], v[10:11]
	s_delay_alu instid0(VALU_DEP_1) | instskip(SKIP_3) | instid1(VALU_DEP_4)
	v_pk_fma_f32 v[42:43], v[4:5], v[16:17], v[14:15] op_sel:[0,0,1] op_sel_hi:[1,1,0]
	v_pk_fma_f32 v[4:5], v[4:5], v[16:17], v[14:15] op_sel:[0,0,1] op_sel_hi:[1,1,0] neg_lo:[0,0,1] neg_hi:[0,0,1]
	v_mov_b32_e32 v7, v19
	v_add_nc_u64_e32 v[14:15], v[44:45], v[0:1]
	v_mov_b32_e32 v5, v43
	s_delay_alu instid0(VALU_DEP_1)
	v_pk_add_f32 v[0:1], v[6:7], v[4:5]
	v_pk_mul_f32 v[4:5], v[38:39], v[8:9] op_sel_hi:[0,1]
	global_store_b64 v[14:15], v[0:1], off
	global_load_b64 v[0:1], v[2:3], off offset:128
	v_pk_fma_f32 v[18:19], v[36:37], v[12:13], v[4:5] op_sel_hi:[0,1,1]
	v_pk_fma_f32 v[4:5], v[36:37], v[12:13], v[4:5] neg_lo:[0,0,1] neg_hi:[0,0,1]
	s_wait_loadcnt 0x0
	v_pk_mul_f32 v[6:7], v[0:1], v[10:11]
	s_delay_alu instid0(VALU_DEP_1) | instskip(SKIP_1) | instid1(VALU_DEP_2)
	v_pk_fma_f32 v[40:41], v[0:1], v[16:17], v[6:7] op_sel:[0,0,1] op_sel_hi:[1,1,0]
	v_pk_fma_f32 v[0:1], v[0:1], v[16:17], v[6:7] op_sel:[0,0,1] op_sel_hi:[1,1,0] neg_lo:[0,0,1] neg_hi:[0,0,1]
	v_dual_mov_b32 v5, v19 :: v_dual_mov_b32 v1, v41
	s_delay_alu instid0(VALU_DEP_1)
	v_pk_add_f32 v[0:1], v[4:5], v[0:1]
	v_pk_mul_f32 v[4:5], v[34:35], v[8:9] op_sel_hi:[0,1]
	global_store_b64 v[14:15], v[0:1], off offset:128
	global_load_b64 v[0:1], v[2:3], off offset:256
	v_pk_fma_f32 v[8:9], v[32:33], v[12:13], v[4:5] op_sel_hi:[0,1,1]
	v_pk_fma_f32 v[4:5], v[32:33], v[12:13], v[4:5] neg_lo:[0,0,1] neg_hi:[0,0,1]
	s_wait_loadcnt 0x0
	v_pk_mul_f32 v[6:7], v[0:1], v[10:11]
	s_delay_alu instid0(VALU_DEP_1) | instskip(SKIP_2) | instid1(VALU_DEP_3)
	v_pk_fma_f32 v[10:11], v[0:1], v[16:17], v[6:7] op_sel:[0,0,1] op_sel_hi:[1,1,0]
	v_pk_fma_f32 v[0:1], v[0:1], v[16:17], v[6:7] op_sel:[0,0,1] op_sel_hi:[1,1,0] neg_lo:[0,0,1] neg_hi:[0,0,1]
	v_dual_mov_b32 v5, v9 :: v_dual_mul_f32 v7, s22, v30
	v_mov_b32_e32 v1, v11
	s_delay_alu instid0(VALU_DEP_2) | instskip(NEXT) | instid1(VALU_DEP_2)
	v_fma_f32 v7, -v31, s36, v7
	v_pk_add_f32 v[0:1], v[4:5], v[0:1]
	global_store_b64 v[14:15], v[0:1], off offset:256
	global_load_b64 v[0:1], v[2:3], off offset:384
	s_wait_xcnt 0x0
	v_mov_b64_e32 v[2:3], s[24:25]
	s_wait_loadcnt 0x0
	v_dual_mul_f32 v4, s35, v1 :: v_dual_mov_b32 v5, v0
	s_delay_alu instid0(VALU_DEP_1) | instskip(SKIP_1) | instid1(VALU_DEP_1)
	v_fma_f32 v6, v0, s34, -v4
	v_dual_mov_b32 v0, v31 :: v_dual_mov_b32 v4, v30
	v_pk_mul_f32 v[0:1], v[0:1], v[2:3]
	v_mov_b64_e32 v[2:3], s[6:7]
	s_delay_alu instid0(VALU_DEP_1) | instskip(SKIP_1) | instid1(VALU_DEP_2)
	v_pk_fma_f32 v[2:3], v[4:5], v[2:3], v[0:1]
	v_add_nc_u64_e32 v[0:1], 0x180, v[14:15]
	v_dual_add_f32 v4, v7, v6 :: v_dual_add_f32 v2, v2, v3
	global_store_b32 v[14:15], v4, off offset:384
	s_branch .LBB508_2
.LBB508_10:
	s_sendmsg sendmsg(MSG_DEALLOC_VGPRS)
	s_endpgm
	.section	.rodata,"a",@progbits
	.p2align	6, 0x0
	.amdhsa_kernel _ZN12_GLOBAL__N_127rocblas_gemm_batched_kernelI19rocblas_complex_numIfELi16ELi16ELi64ELi64ELi4ELi64ELi4ELi4ELi64ELc78ELc67EKS2_S3_S2_EEvlllT_PT11_llS6_llS4_PT12_llPT13_lli
		.amdhsa_group_segment_fixed_size 4096
		.amdhsa_private_segment_fixed_size 0
		.amdhsa_kernarg_size 140
		.amdhsa_user_sgpr_count 2
		.amdhsa_user_sgpr_dispatch_ptr 0
		.amdhsa_user_sgpr_queue_ptr 0
		.amdhsa_user_sgpr_kernarg_segment_ptr 1
		.amdhsa_user_sgpr_dispatch_id 0
		.amdhsa_user_sgpr_kernarg_preload_length 0
		.amdhsa_user_sgpr_kernarg_preload_offset 0
		.amdhsa_user_sgpr_private_segment_size 0
		.amdhsa_wavefront_size32 1
		.amdhsa_uses_dynamic_stack 0
		.amdhsa_enable_private_segment 0
		.amdhsa_system_sgpr_workgroup_id_x 1
		.amdhsa_system_sgpr_workgroup_id_y 1
		.amdhsa_system_sgpr_workgroup_id_z 1
		.amdhsa_system_sgpr_workgroup_info 0
		.amdhsa_system_vgpr_workitem_id 1
		.amdhsa_next_free_vgpr 193
		.amdhsa_next_free_sgpr 46
		.amdhsa_named_barrier_count 0
		.amdhsa_reserve_vcc 1
		.amdhsa_float_round_mode_32 0
		.amdhsa_float_round_mode_16_64 0
		.amdhsa_float_denorm_mode_32 3
		.amdhsa_float_denorm_mode_16_64 3
		.amdhsa_fp16_overflow 0
		.amdhsa_memory_ordered 1
		.amdhsa_forward_progress 1
		.amdhsa_inst_pref_size 48
		.amdhsa_round_robin_scheduling 0
		.amdhsa_exception_fp_ieee_invalid_op 0
		.amdhsa_exception_fp_denorm_src 0
		.amdhsa_exception_fp_ieee_div_zero 0
		.amdhsa_exception_fp_ieee_overflow 0
		.amdhsa_exception_fp_ieee_underflow 0
		.amdhsa_exception_fp_ieee_inexact 0
		.amdhsa_exception_int_div_zero 0
	.end_amdhsa_kernel
	.section	.text._ZN12_GLOBAL__N_127rocblas_gemm_batched_kernelI19rocblas_complex_numIfELi16ELi16ELi64ELi64ELi4ELi64ELi4ELi4ELi64ELc78ELc67EKS2_S3_S2_EEvlllT_PT11_llS6_llS4_PT12_llPT13_lli,"axG",@progbits,_ZN12_GLOBAL__N_127rocblas_gemm_batched_kernelI19rocblas_complex_numIfELi16ELi16ELi64ELi64ELi4ELi64ELi4ELi4ELi64ELc78ELc67EKS2_S3_S2_EEvlllT_PT11_llS6_llS4_PT12_llPT13_lli,comdat
.Lfunc_end508:
	.size	_ZN12_GLOBAL__N_127rocblas_gemm_batched_kernelI19rocblas_complex_numIfELi16ELi16ELi64ELi64ELi4ELi64ELi4ELi4ELi64ELc78ELc67EKS2_S3_S2_EEvlllT_PT11_llS6_llS4_PT12_llPT13_lli, .Lfunc_end508-_ZN12_GLOBAL__N_127rocblas_gemm_batched_kernelI19rocblas_complex_numIfELi16ELi16ELi64ELi64ELi4ELi64ELi4ELi4ELi64ELc78ELc67EKS2_S3_S2_EEvlllT_PT11_llS6_llS4_PT12_llPT13_lli
                                        ; -- End function
	.set _ZN12_GLOBAL__N_127rocblas_gemm_batched_kernelI19rocblas_complex_numIfELi16ELi16ELi64ELi64ELi4ELi64ELi4ELi4ELi64ELc78ELc67EKS2_S3_S2_EEvlllT_PT11_llS6_llS4_PT12_llPT13_lli.num_vgpr, 193
	.set _ZN12_GLOBAL__N_127rocblas_gemm_batched_kernelI19rocblas_complex_numIfELi16ELi16ELi64ELi64ELi4ELi64ELi4ELi4ELi64ELc78ELc67EKS2_S3_S2_EEvlllT_PT11_llS6_llS4_PT12_llPT13_lli.num_agpr, 0
	.set _ZN12_GLOBAL__N_127rocblas_gemm_batched_kernelI19rocblas_complex_numIfELi16ELi16ELi64ELi64ELi4ELi64ELi4ELi4ELi64ELc78ELc67EKS2_S3_S2_EEvlllT_PT11_llS6_llS4_PT12_llPT13_lli.numbered_sgpr, 46
	.set _ZN12_GLOBAL__N_127rocblas_gemm_batched_kernelI19rocblas_complex_numIfELi16ELi16ELi64ELi64ELi4ELi64ELi4ELi4ELi64ELc78ELc67EKS2_S3_S2_EEvlllT_PT11_llS6_llS4_PT12_llPT13_lli.num_named_barrier, 0
	.set _ZN12_GLOBAL__N_127rocblas_gemm_batched_kernelI19rocblas_complex_numIfELi16ELi16ELi64ELi64ELi4ELi64ELi4ELi4ELi64ELc78ELc67EKS2_S3_S2_EEvlllT_PT11_llS6_llS4_PT12_llPT13_lli.private_seg_size, 0
	.set _ZN12_GLOBAL__N_127rocblas_gemm_batched_kernelI19rocblas_complex_numIfELi16ELi16ELi64ELi64ELi4ELi64ELi4ELi4ELi64ELc78ELc67EKS2_S3_S2_EEvlllT_PT11_llS6_llS4_PT12_llPT13_lli.uses_vcc, 1
	.set _ZN12_GLOBAL__N_127rocblas_gemm_batched_kernelI19rocblas_complex_numIfELi16ELi16ELi64ELi64ELi4ELi64ELi4ELi4ELi64ELc78ELc67EKS2_S3_S2_EEvlllT_PT11_llS6_llS4_PT12_llPT13_lli.uses_flat_scratch, 0
	.set _ZN12_GLOBAL__N_127rocblas_gemm_batched_kernelI19rocblas_complex_numIfELi16ELi16ELi64ELi64ELi4ELi64ELi4ELi4ELi64ELc78ELc67EKS2_S3_S2_EEvlllT_PT11_llS6_llS4_PT12_llPT13_lli.has_dyn_sized_stack, 0
	.set _ZN12_GLOBAL__N_127rocblas_gemm_batched_kernelI19rocblas_complex_numIfELi16ELi16ELi64ELi64ELi4ELi64ELi4ELi4ELi64ELc78ELc67EKS2_S3_S2_EEvlllT_PT11_llS6_llS4_PT12_llPT13_lli.has_recursion, 0
	.set _ZN12_GLOBAL__N_127rocblas_gemm_batched_kernelI19rocblas_complex_numIfELi16ELi16ELi64ELi64ELi4ELi64ELi4ELi4ELi64ELc78ELc67EKS2_S3_S2_EEvlllT_PT11_llS6_llS4_PT12_llPT13_lli.has_indirect_call, 0
	.section	.AMDGPU.csdata,"",@progbits
; Kernel info:
; codeLenInByte = 6036
; TotalNumSgprs: 48
; NumVgprs: 193
; ScratchSize: 0
; MemoryBound: 0
; FloatMode: 240
; IeeeMode: 1
; LDSByteSize: 4096 bytes/workgroup (compile time only)
; SGPRBlocks: 0
; VGPRBlocks: 12
; NumSGPRsForWavesPerEU: 48
; NumVGPRsForWavesPerEU: 193
; NamedBarCnt: 0
; Occupancy: 4
; WaveLimiterHint : 1
; COMPUTE_PGM_RSRC2:SCRATCH_EN: 0
; COMPUTE_PGM_RSRC2:USER_SGPR: 2
; COMPUTE_PGM_RSRC2:TRAP_HANDLER: 0
; COMPUTE_PGM_RSRC2:TGID_X_EN: 1
; COMPUTE_PGM_RSRC2:TGID_Y_EN: 1
; COMPUTE_PGM_RSRC2:TGID_Z_EN: 1
; COMPUTE_PGM_RSRC2:TIDIG_COMP_CNT: 1
	.section	.text._ZN12_GLOBAL__N_127rocblas_gemm_batched_kernelI19rocblas_complex_numIfELi16ELi16ELi64ELi64ELi4ELi64ELi4ELi4ELi64ELc84ELc67EKS2_S3_S2_EEvlllT_PT11_llS6_llS4_PT12_llPT13_lli,"axG",@progbits,_ZN12_GLOBAL__N_127rocblas_gemm_batched_kernelI19rocblas_complex_numIfELi16ELi16ELi64ELi64ELi4ELi64ELi4ELi4ELi64ELc84ELc67EKS2_S3_S2_EEvlllT_PT11_llS6_llS4_PT12_llPT13_lli,comdat
	.globl	_ZN12_GLOBAL__N_127rocblas_gemm_batched_kernelI19rocblas_complex_numIfELi16ELi16ELi64ELi64ELi4ELi64ELi4ELi4ELi64ELc84ELc67EKS2_S3_S2_EEvlllT_PT11_llS6_llS4_PT12_llPT13_lli ; -- Begin function _ZN12_GLOBAL__N_127rocblas_gemm_batched_kernelI19rocblas_complex_numIfELi16ELi16ELi64ELi64ELi4ELi64ELi4ELi4ELi64ELc84ELc67EKS2_S3_S2_EEvlllT_PT11_llS6_llS4_PT12_llPT13_lli
	.p2align	8
	.type	_ZN12_GLOBAL__N_127rocblas_gemm_batched_kernelI19rocblas_complex_numIfELi16ELi16ELi64ELi64ELi4ELi64ELi4ELi4ELi64ELc84ELc67EKS2_S3_S2_EEvlllT_PT11_llS6_llS4_PT12_llPT13_lli,@function
_ZN12_GLOBAL__N_127rocblas_gemm_batched_kernelI19rocblas_complex_numIfELi16ELi16ELi64ELi64ELi4ELi64ELi4ELi4ELi64ELc84ELc67EKS2_S3_S2_EEvlllT_PT11_llS6_llS4_PT12_llPT13_lli: ; @_ZN12_GLOBAL__N_127rocblas_gemm_batched_kernelI19rocblas_complex_numIfELi16ELi16ELi64ELi64ELi4ELi64ELi4ELi4ELi64ELc84ELc67EKS2_S3_S2_EEvlllT_PT11_llS6_llS4_PT12_llPT13_lli
; %bb.0:
	s_load_b32 s33, s[0:1], 0x88
	s_bfe_u32 s2, ttmp6, 0x40014
	s_lshr_b32 s3, ttmp7, 16
	s_add_co_i32 s2, s2, 1
	s_bfe_u32 s4, ttmp6, 0x40008
	s_mul_i32 s2, s3, s2
	s_getreg_b32 s24, hwreg(HW_REG_IB_STS2, 6, 4)
	s_add_co_i32 s4, s4, s2
	s_cmp_eq_u32 s24, 0
	s_cselect_b32 s2, s3, s4
	s_mov_b32 s3, 0
	s_wait_kmcnt 0x0
	s_cmp_ge_i32 s2, s33
	s_cbranch_scc1 .LBB509_10
; %bb.1:
	v_bfe_u32 v2, v0, 10, 10
	v_and_b32_e32 v4, 0x3ff, v0
	s_bfe_u32 s25, ttmp6, 0x4000c
	s_bfe_u32 s27, ttmp6, 0x40010
	s_clause 0x1
	s_load_b256 s[12:19], s[0:1], 0x20
	s_load_b128 s[20:23], s[0:1], 0x78
	s_add_co_i32 s25, s25, 1
	s_and_b32 s36, ttmp7, 0xffff
	s_add_co_i32 s27, s27, 1
	s_and_b32 s26, ttmp6, 15
	s_mul_i32 s25, ttmp9, s25
	s_mul_i32 s27, s36, s27
	s_bfe_u32 s37, ttmp6, 0x40004
	v_lshl_add_u32 v5, v2, 4, v4
	v_mov_b32_e32 v3, 0
	s_add_co_i32 s26, s26, s25
	s_add_co_i32 s37, s37, s27
	s_load_b256 s[4:11], s[0:1], 0x58
	s_cmp_eq_u32 s24, 0
	v_and_b32_e32 v14, 63, v5
	s_cselect_b32 s25, s36, s37
	s_cselect_b32 s24, ttmp9, s26
	v_dual_mov_b32 v7, v3 :: v_dual_lshrrev_b32 v6, 2, v5
	s_clause 0x1
	s_load_b128 s[28:31], s[0:1], 0x40
	s_load_b64 s[34:35], s[0:1], 0x50
	s_lshl_b32 s26, s25, 6
	s_ashr_i32 s25, s24, 31
	s_mov_b32 s27, s3
	s_lshl_b64 s[36:37], s[24:25], 6
	v_add_nc_u64_e32 v[8:9], s[26:27], v[6:7]
	v_dual_mov_b32 v11, s37 :: v_dual_bitop2_b32 v7, 3, v0 bitop3:0x40
	v_or_b32_e32 v10, s36, v14
	v_add_nc_u64_e32 v[0:1], s[26:27], v[2:3]
	s_load_b128 s[24:27], s[0:1], 0x10
	s_delay_alu instid0(VALU_DEP_3)
	v_dual_lshlrev_b32 v15, 3, v7 :: v_dual_lshrrev_b32 v16, 6, v5
	v_lshlrev_b32_e32 v14, 3, v14
	s_wait_kmcnt 0x0
	v_mul_u64_e32 v[10:11], s[14:15], v[10:11]
	v_lshl_add_u32 v39, v2, 5, 0x800
	v_mul_u64_e32 v[12:13], s[6:7], v[0:1]
	v_mul_u64_e32 v[20:21], s[20:21], v[0:1]
	v_lshlrev_b32_e32 v2, 3, v16
	v_mad_nc_u64_u32 v[8:9], s28, v7, v[8:9]
	s_or_b32 s0, s34, s35
	v_dual_mov_b32 v5, v3 :: v_dual_lshlrev_b32 v37, 3, v4
	s_bitset0_b32 s0, 31
	v_lshl_or_b32 v6, v6, 5, v15
	s_cmp_eq_u32 s0, 0
	s_delay_alu instid0(VALU_DEP_2)
	v_add_nc_u64_e32 v[22:23], s[36:37], v[4:5]
	v_lshl_or_b32 v33, v16, 9, v14
	s_cselect_b32 s1, -1, 0
	v_add_nc_u32_e32 v35, 0x800, v6
	v_mad_u32 v9, s29, v7, v9
	v_cmp_gt_i64_e64 s0, s[24:25], 0
	s_lshl_b64 s[40:41], s[20:21], 4
	s_lshl_b64 s[42:43], s[6:7], 4
	s_mov_b32 s14, s27
	s_mov_b32 s15, s26
	;; [unrolled: 1-line block ×4, first 2 shown]
	v_cndmask_b32_e64 v4, 0, 1, s0
	s_mov_b32 s20, s26
	s_mov_b32 s21, s34
	;; [unrolled: 1-line block ×4, first 2 shown]
	v_cmp_ne_u32_e64 s0, 1, v4
	s_mov_b32 s38, s35
	s_mov_b32 s39, s35
	v_lshl_add_u64 v[0:1], v[10:11], 3, v[2:3]
	v_lshl_add_u64 v[2:3], v[8:9], 3, s[18:19]
	;; [unrolled: 1-line block ×3, first 2 shown]
	s_lshl_b64 s[4:5], s[16:17], 3
	s_lshl_b64 s[16:17], s[28:29], 5
	v_add_nc_u64_e32 v[26:27], s[12:13], v[0:1]
	v_add_nc_u64_e32 v[28:29], 4, v[2:3]
	s_lshl_b64 s[12:13], s[30:31], 3
	s_lshl_b64 s[18:19], s[42:43], 3
	;; [unrolled: 1-line block ×3, first 2 shown]
	s_branch .LBB509_3
.LBB509_2:                              ;   in Loop: Header=BB509_3 Depth=1
	s_add_co_i32 s2, s2, 0x10000
	global_store_b32 v[0:1], v2, off offset:4
	s_cmp_lt_i32 s2, s33
	s_cbranch_scc0 .LBB509_10
.LBB509_3:                              ; =>This Loop Header: Depth=1
                                        ;     Child Loop BB509_5 Depth 2
	v_dual_mov_b32 v31, 0 :: v_dual_mov_b32 v30, 0
	v_dual_mov_b32 v88, 0 :: v_dual_mov_b32 v90, 0
	;; [unrolled: 1-line block ×16, first 2 shown]
	s_and_b32 vcc_lo, exec_lo, s0
	s_cbranch_vccnz .LBB509_6
; %bb.4:                                ;   in Loop: Header=BB509_3 Depth=1
	v_mad_nc_u64_u32 v[92:93], s4, s2, v[26:27]
	v_mad_nc_u64_u32 v[94:95], s12, s2, v[28:29]
	v_dual_mov_b32 v34, 0 :: v_dual_mov_b32 v32, 0
	v_dual_mov_b32 v38, 0 :: v_dual_mov_b32 v36, 0
	;; [unrolled: 1-line block ×5, first 2 shown]
	v_mad_u32 v93, s5, s2, v93
	v_mad_u32 v95, s13, s2, v95
	v_dual_mov_b32 v54, 0 :: v_dual_mov_b32 v52, 0
	v_dual_mov_b32 v58, 0 :: v_dual_mov_b32 v56, 0
	;; [unrolled: 1-line block ×11, first 2 shown]
	s_mov_b64 s[30:31], 0
.LBB509_5:                              ;   Parent Loop BB509_3 Depth=1
                                        ; =>  This Inner Loop Header: Depth=2
	global_load_b64 v[0:1], v[94:95], off offset:-4
	global_load_b64 v[2:3], v[92:93], off
	s_add_nc_u64 s[30:31], s[30:31], 4
	s_wait_xcnt 0x0
	v_add_nc_u64_e32 v[92:93], 32, v[92:93]
	v_cmp_lt_i64_e64 s40, s[30:31], s[24:25]
	v_add_nc_u64_e32 v[94:95], s[16:17], v[94:95]
	s_and_b32 vcc_lo, exec_lo, s40
	s_wait_loadcnt 0x1
	v_xor_b32_e32 v1, 0x80000000, v1
	s_wait_loadcnt 0x0
	ds_store_b64 v33, v[2:3]
	ds_store_b64 v35, v[0:1]
	s_wait_dscnt 0x0
	s_barrier_signal -1
	s_barrier_wait -1
	ds_load_2addr_b64 v[0:3], v37 offset1:16
	ds_load_b128 v[8:11], v39
	ds_load_2addr_b64 v[4:7], v37 offset0:32 offset1:48
	ds_load_2addr_b64 v[12:15], v37 offset0:64 offset1:80
	;; [unrolled: 1-line block ×3, first 2 shown]
	ds_load_b128 v[96:99], v39 offset:16
	ds_load_2addr_b64 v[100:103], v37 offset0:128 offset1:144
	ds_load_2addr_b64 v[104:107], v37 offset0:160 offset1:176
	;; [unrolled: 1-line block ×4, first 2 shown]
	ds_load_b128 v[116:119], v39 offset:512
	ds_load_b128 v[120:123], v39 offset:528
	;; [unrolled: 1-line block ×6, first 2 shown]
	s_wait_dscnt 0x0
	s_barrier_signal -1
	s_barrier_wait -1
	v_dual_mul_f32 v41, v9, v1 :: v_dual_mul_f32 v43, v8, v1
	v_dual_mul_f32 v45, v9, v3 :: v_dual_mul_f32 v47, v8, v3
	;; [unrolled: 1-line block ×27, first 2 shown]
	v_dual_fma_f32 v41, v8, v0, -v41 :: v_dual_fmac_f32 v43, v9, v0
	v_dual_fma_f32 v45, v8, v2, -v45 :: v_dual_fmac_f32 v47, v9, v2
	;; [unrolled: 1-line block ×8, first 2 shown]
	v_pk_mul_f32 v[8:9], v[132:133], v[6:7] op_sel:[1,1] op_sel_hi:[0,1]
	v_dual_mul_f32 v5, v135, v13 :: v_dual_mul_f32 v166, v134, v13
	v_dual_mov_b32 v10, v135 :: v_dual_mov_b32 v11, v134
	v_dual_fma_f32 v73, v116, v0, -v73 :: v_dual_fmac_f32 v75, v117, v0
	v_dual_fma_f32 v77, v116, v2, -v77 :: v_dual_fmac_f32 v79, v117, v2
	;; [unrolled: 1-line block ×19, first 2 shown]
	v_pk_fma_f32 v[0:1], v[132:133], v[6:7], v[8:9] neg_lo:[0,0,1] neg_hi:[0,0,1]
	v_pk_fma_f32 v[2:3], v[132:133], v[6:7], v[8:9] op_sel_hi:[1,0,1]
	v_dual_fma_f32 v133, v134, v12, -v5 :: v_dual_fmac_f32 v166, v135, v12
	v_pk_mul_f32 v[4:5], v[10:11], v[18:19] op_sel:[0,1]
	v_dual_mul_f32 v13, v135, v15 :: v_dual_mul_f32 v119, v134, v15
	v_dual_mul_f32 v15, v135, v17 :: v_dual_mul_f32 v17, v134, v17
	v_dual_mul_f32 v156, v97, v103 :: v_dual_mul_f32 v158, v96, v103
	v_dual_mul_f32 v1, v97, v105 :: v_dual_mul_f32 v2, v96, v105
	v_pk_fma_f32 v[6:7], v[134:135], v[18:19], v[4:5] neg_lo:[0,0,1] neg_hi:[0,0,1]
	v_pk_fma_f32 v[4:5], v[134:135], v[18:19], v[4:5] op_sel_hi:[1,0,1]
	v_dual_mul_f32 v127, v97, v101 :: v_dual_mul_f32 v150, v96, v101
	v_dual_mul_f32 v8, v97, v107 :: v_dual_mul_f32 v132, v96, v107
	v_dual_fma_f32 v162, v134, v14, -v13 :: v_dual_fmac_f32 v119, v135, v14
	v_dual_mul_f32 v9, v99, v109 :: v_dual_mul_f32 v167, v98, v109
	v_dual_fma_f32 v168, v134, v16, -v15 :: v_dual_fmac_f32 v17, v135, v16
	v_dual_mul_f32 v4, v99, v111 :: v_dual_mul_f32 v16, v98, v111
	v_dual_mul_f32 v7, v99, v113 :: v_dual_mul_f32 v18, v98, v113
	;; [unrolled: 1-line block ×3, first 2 shown]
	v_dual_fma_f32 v135, v96, v102, -v156 :: v_dual_fmac_f32 v158, v97, v102
	v_dual_fma_f32 v156, v96, v104, -v1 :: v_dual_fmac_f32 v2, v97, v104
	v_dual_mul_f32 v1, v121, v103 :: v_dual_mul_f32 v11, v121, v101
	v_mul_f32_e32 v134, v120, v101
	v_dual_fma_f32 v127, v96, v100, -v127 :: v_dual_fmac_f32 v150, v97, v100
	v_fma_f32 v96, v96, v106, -v8
	v_dual_fmac_f32 v132, v97, v106 :: v_dual_fmac_f32 v167, v99, v108
	v_dual_fma_f32 v97, v98, v108, -v9 :: v_dual_fma_f32 v4, v98, v110, -v4
	v_dual_fma_f32 v169, v98, v112, -v7 :: v_dual_fmac_f32 v16, v99, v110
	v_fmac_f32_e32 v18, v99, v112
	v_dual_fma_f32 v98, v98, v114, -v10 :: v_dual_fmac_f32 v19, v99, v114
	v_dual_mul_f32 v99, v120, v103 :: v_dual_mul_f32 v7, v121, v105
	v_dual_mul_f32 v170, v120, v105 :: v_dual_fma_f32 v172, v120, v102, -v1
	v_dual_mul_f32 v1, v121, v107 :: v_dual_fma_f32 v171, v120, v100, -v11
	v_fmac_f32_e32 v134, v121, v100
	s_delay_alu instid0(VALU_DEP_3) | instskip(NEXT) | instid1(VALU_DEP_3)
	v_dual_fma_f32 v173, v120, v104, -v7 :: v_dual_fmac_f32 v170, v121, v104
	v_dual_fma_f32 v174, v120, v106, -v1 :: v_dual_mul_f32 v120, v120, v107
	v_dual_mul_f32 v1, v123, v109 :: v_dual_mul_f32 v175, v122, v109
	v_dual_fmac_f32 v99, v121, v102 :: v_dual_mul_f32 v177, v122, v111
	s_delay_alu instid0(VALU_DEP_2) | instskip(NEXT) | instid1(VALU_DEP_3)
	v_dual_fmac_f32 v120, v121, v106 :: v_dual_fma_f32 v121, v122, v108, -v1
	v_dual_fmac_f32 v175, v123, v108 :: v_dual_mul_f32 v1, v123, v111
	s_delay_alu instid0(VALU_DEP_3) | instskip(SKIP_1) | instid1(VALU_DEP_3)
	v_dual_fmac_f32 v177, v123, v110 :: v_dual_mul_f32 v179, v122, v113
	v_dual_mul_f32 v181, v128, v101 :: v_dual_mul_f32 v183, v128, v103
	v_dual_fma_f32 v176, v122, v110, -v1 :: v_dual_mul_f32 v1, v123, v113
	s_delay_alu instid0(VALU_DEP_3) | instskip(NEXT) | instid1(VALU_DEP_3)
	v_fmac_f32_e32 v179, v123, v112
	v_dual_fmac_f32 v181, v129, v100 :: v_dual_mul_f32 v185, v128, v105
	s_delay_alu instid0(VALU_DEP_3) | instskip(SKIP_1) | instid1(VALU_DEP_3)
	v_dual_fmac_f32 v183, v129, v102 :: v_dual_fma_f32 v178, v122, v112, -v1
	v_dual_mul_f32 v1, v123, v115 :: v_dual_mul_f32 v187, v130, v109
	v_dual_fmac_f32 v185, v129, v104 :: v_dual_mul_f32 v189, v130, v111
	v_mul_f32_e32 v191, v130, v113
	s_delay_alu instid0(VALU_DEP_3) | instskip(NEXT) | instid1(VALU_DEP_3)
	v_dual_fma_f32 v180, v122, v114, -v1 :: v_dual_mul_f32 v122, v122, v115
	v_dual_mul_f32 v1, v129, v101 :: v_dual_fmac_f32 v189, v131, v110
	v_fmac_f32_e32 v187, v131, v108
	s_delay_alu instid0(VALU_DEP_4) | instskip(NEXT) | instid1(VALU_DEP_3)
	v_fmac_f32_e32 v191, v131, v112
	v_dual_fmac_f32 v122, v123, v114 :: v_dual_fma_f32 v123, v128, v100, -v1
	v_mul_f32_e32 v1, v129, v103
	v_pk_mul_f32 v[8:9], v[136:137], v[106:107] op_sel:[1,1] op_sel_hi:[0,1]
	v_dual_mov_b32 v12, v139 :: v_dual_mov_b32 v13, v138
	v_add_f32_e32 v36, v36, v154
	s_delay_alu instid0(VALU_DEP_4) | instskip(NEXT) | instid1(VALU_DEP_4)
	v_dual_fma_f32 v182, v128, v102, -v1 :: v_dual_mul_f32 v1, v129, v105
	v_pk_fma_f32 v[10:11], v[136:137], v[106:107], v[8:9] neg_lo:[0,0,1] neg_hi:[0,0,1]
	v_pk_fma_f32 v[8:9], v[136:137], v[106:107], v[8:9] op_sel_hi:[1,0,1]
	v_pk_mul_f32 v[12:13], v[12:13], v[114:115] op_sel:[0,1]
	v_add_f32_e32 v72, v72, v75
	v_dual_fma_f32 v184, v128, v104, -v1 :: v_dual_mul_f32 v1, v129, v107
	v_dual_add_f32 v68, v68, v77 :: v_dual_add_f32 v70, v70, v79
	s_delay_alu instid0(VALU_DEP_4) | instskip(SKIP_1) | instid1(VALU_DEP_4)
	v_pk_fma_f32 v[14:15], v[138:139], v[114:115], v[12:13] neg_lo:[0,0,1] neg_hi:[0,0,1]
	v_pk_fma_f32 v[12:13], v[138:139], v[114:115], v[12:13] op_sel_hi:[1,0,1]
	v_dual_fma_f32 v186, v128, v106, -v1 :: v_dual_mul_f32 v128, v128, v107
	v_dual_mul_f32 v1, v131, v109 :: v_dual_mul_f32 v107, v138, v111
	v_dual_add_f32 v12, v88, v41 :: v_dual_add_f32 v41, v90, v43
	s_delay_alu instid0(VALU_DEP_2) | instskip(SKIP_3) | instid1(VALU_DEP_3)
	v_dual_fmac_f32 v128, v129, v106 :: v_dual_fma_f32 v129, v130, v108, -v1
	v_dual_mul_f32 v1, v131, v111 :: v_dual_add_f32 v43, v84, v45
	v_add_f32_e32 v45, v86, v47
	v_dual_add_f32 v47, v82, v49 :: v_dual_add_f32 v49, v80, v51
	v_dual_fma_f32 v188, v130, v110, -v1 :: v_dual_mul_f32 v1, v131, v113
	v_dual_add_f32 v51, v76, v53 :: v_dual_add_f32 v53, v78, v55
	v_add_f32_e32 v55, v74, v73
	v_dual_add_f32 v64, v64, v81 :: v_dual_add_f32 v66, v66, v83
	s_delay_alu instid0(VALU_DEP_4) | instskip(SKIP_2) | instid1(VALU_DEP_3)
	v_dual_fma_f32 v190, v130, v112, -v1 :: v_dual_mul_f32 v1, v131, v115
	v_dual_add_f32 v60, v60, v85 :: v_dual_add_f32 v62, v62, v87
	v_dual_add_f32 v56, v56, v140 :: v_dual_add_f32 v58, v58, v147
	v_dual_fma_f32 v192, v130, v114, -v1 :: v_dual_mul_f32 v130, v130, v115
	v_dual_mul_f32 v1, v137, v101 :: v_dual_mul_f32 v101, v136, v101
	v_dual_add_f32 v52, v52, v142 :: v_dual_add_f32 v54, v54, v149
	s_delay_alu instid0(VALU_DEP_2) | instskip(NEXT) | instid1(VALU_DEP_3)
	v_dual_fmac_f32 v130, v131, v114 :: v_dual_fma_f32 v131, v136, v100, -v1
	v_dual_mul_f32 v1, v137, v103 :: v_dual_fmac_f32 v101, v137, v100
	v_mul_f32_e32 v103, v136, v103
	v_dual_add_f32 v48, v48, v144 :: v_dual_add_f32 v50, v50, v151
	s_delay_alu instid0(VALU_DEP_3) | instskip(NEXT) | instid1(VALU_DEP_3)
	v_dual_fma_f32 v100, v136, v102, -v1 :: v_dual_mul_f32 v1, v137, v105
	v_dual_mul_f32 v105, v136, v105 :: v_dual_fmac_f32 v103, v137, v102
	v_dual_add_f32 v44, v44, v124 :: v_dual_add_f32 v46, v46, v153
	s_delay_alu instid0(VALU_DEP_3) | instskip(NEXT) | instid1(VALU_DEP_3)
	v_dual_fma_f32 v102, v136, v104, -v1 :: v_dual_mul_f32 v1, v139, v109
	v_dual_fmac_f32 v105, v137, v104 :: v_dual_mul_f32 v104, v138, v109
	v_dual_mul_f32 v109, v138, v113 :: v_dual_add_f32 v40, v40, v152
	v_add_f32_e32 v42, v42, v163
	s_delay_alu instid0(VALU_DEP_3) | instskip(NEXT) | instid1(VALU_DEP_3)
	v_dual_fma_f32 v8, v138, v108, -v1 :: v_dual_fmac_f32 v104, v139, v108
	v_dual_mul_f32 v1, v139, v111 :: v_dual_fmac_f32 v109, v139, v112
	v_dual_add_f32 v32, v32, v160 :: v_dual_add_f32 v34, v34, v165
	v_dual_mov_b32 v7, v5 :: v_dual_mov_b32 v15, v13
	s_delay_alu instid0(VALU_DEP_3) | instskip(SKIP_3) | instid1(VALU_DEP_3)
	v_dual_fma_f32 v106, v138, v110, -v1 :: v_dual_fmac_f32 v107, v139, v110
	v_dual_mul_f32 v1, v139, v113 :: v_dual_mov_b32 v11, v9
	v_dual_add_f32 v5, v12, v57 :: v_dual_add_f32 v9, v41, v59
	v_dual_add_f32 v12, v43, v61 :: v_dual_add_f32 v13, v45, v63
	v_dual_fma_f32 v108, v138, v112, -v1 :: v_dual_mov_b32 v1, v3
	v_dual_add_f32 v3, v38, v164 :: v_dual_add_f32 v38, v51, v69
	v_dual_add_f32 v41, v53, v71 :: v_dual_add_f32 v43, v55, v89
	v_add_f32_e32 v45, v72, v91
	s_delay_alu instid0(VALU_DEP_4)
	v_pk_add_f32 v[0:1], v[30:31], v[0:1]
	v_dual_add_f32 v30, v47, v65 :: v_dual_add_f32 v31, v49, v67
	v_dual_add_f32 v47, v68, v116 :: v_dual_add_f32 v49, v70, v141
	;; [unrolled: 1-line block ×11, first 2 shown]
	v_pk_add_f32 v[0:1], v[0:1], v[6:7]
	v_add_f32_e32 v5, v5, v127
	v_dual_add_f32 v6, v9, v150 :: v_dual_add_f32 v7, v12, v135
	v_dual_add_f32 v9, v13, v158 :: v_dual_add_f32 v13, v38, v96
	;; [unrolled: 1-line block ×6, first 2 shown]
	v_add_f32_e32 v45, v53, v170
	v_dual_add_f32 v47, v55, v174 :: v_dual_add_f32 v49, v57, v120
	v_dual_add_f32 v51, v56, v123 :: v_dual_add_f32 v53, v58, v181
	;; [unrolled: 1-line block ×8, first 2 shown]
	v_pk_add_f32 v[0:1], v[0:1], v[10:11]
	v_dual_add_f32 v88, v5, v97 :: v_dual_add_f32 v90, v6, v167
	v_dual_add_f32 v84, v7, v4 :: v_dual_add_f32 v82, v12, v169
	;; [unrolled: 1-line block ×15, first 2 shown]
	v_pk_add_f32 v[30:31], v[0:1], v[14:15]
	s_cbranch_vccnz .LBB509_5
.LBB509_6:                              ;   in Loop: Header=BB509_3 Depth=1
	s_mul_u64 s[30:31], s[22:23], s[2:3]
	s_and_not1_b32 vcc_lo, exec_lo, s1
	s_lshl_b64 s[30:31], s[30:31], 3
	s_mov_b32 s40, -1
	s_add_nc_u64 s[30:31], s[10:11], s[30:31]
                                        ; implicit-def: $vgpr2
                                        ; implicit-def: $vgpr0_vgpr1
	s_cbranch_vccz .LBB509_8
; %bb.7:                                ;   in Loop: Header=BB509_3 Depth=1
	s_and_not1_b32 vcc_lo, exec_lo, s40
	s_cbranch_vccnz .LBB509_2
	s_branch .LBB509_9
.LBB509_8:                              ;   in Loop: Header=BB509_3 Depth=1
	s_wait_xcnt 0x0
	v_mov_b64_e32 v[0:1], s[14:15]
	v_mov_b64_e32 v[6:7], s[26:27]
	v_lshlrev_b64_e32 v[2:3], 3, v[22:23]
	v_lshl_add_u64 v[4:5], v[20:21], 3, s[30:31]
	s_delay_alu instid0(VALU_DEP_4)
	v_pk_mul_f32 v[8:9], v[90:91], v[0:1] op_sel_hi:[0,1]
	v_pk_mul_f32 v[10:11], v[86:87], v[0:1] op_sel_hi:[0,1]
	;; [unrolled: 1-line block ×4, first 2 shown]
	v_add_nc_u64_e32 v[16:17], v[4:5], v[2:3]
	v_pk_fma_f32 v[18:19], v[88:89], v[6:7], v[8:9] neg_lo:[0,0,1] neg_hi:[0,0,1]
	v_pk_fma_f32 v[8:9], v[88:89], v[6:7], v[8:9] op_sel_hi:[0,1,1]
	v_pk_fma_f32 v[92:93], v[84:85], v[6:7], v[10:11] op_sel_hi:[0,1,1]
	;; [unrolled: 1-line block ×4, first 2 shown]
	v_pk_fma_f32 v[10:11], v[84:85], v[6:7], v[10:11] neg_lo:[0,0,1] neg_hi:[0,0,1]
	s_delay_alu instid0(VALU_DEP_4)
	v_dual_mov_b32 v19, v9 :: v_dual_mov_b32 v11, v93
	v_pk_fma_f32 v[8:9], v[82:83], v[6:7], v[12:13] neg_lo:[0,0,1] neg_hi:[0,0,1]
	v_mov_b32_e32 v9, v95
	v_pk_fma_f32 v[12:13], v[76:77], v[6:7], v[14:15] neg_lo:[0,0,1] neg_hi:[0,0,1]
	v_mov_b32_e32 v13, v97
	v_pk_mul_f32 v[14:15], v[72:73], v[0:1] op_sel_hi:[0,1]
	s_clause 0x3
	global_store_b64 v[16:17], v[18:19], off
	global_store_b64 v[16:17], v[10:11], off offset:128
	global_store_b64 v[16:17], v[8:9], off offset:256
	;; [unrolled: 1-line block ×3, first 2 shown]
	s_wait_xcnt 0x1
	v_pk_mul_f32 v[8:9], v[70:71], v[0:1] op_sel_hi:[0,1]
	s_wait_xcnt 0x0
	v_pk_mul_f32 v[16:17], v[66:67], v[0:1] op_sel_hi:[0,1]
	v_add_nc_u64_e32 v[4:5], s[28:29], v[4:5]
	v_pk_fma_f32 v[12:13], v[74:75], v[6:7], v[14:15] op_sel_hi:[0,1,1]
	v_pk_mul_f32 v[92:93], v[62:63], v[0:1] op_sel_hi:[0,1]
	v_pk_fma_f32 v[18:19], v[68:69], v[6:7], v[8:9] op_sel_hi:[0,1,1]
	v_pk_fma_f32 v[14:15], v[74:75], v[6:7], v[14:15] neg_lo:[0,0,1] neg_hi:[0,0,1]
	v_pk_fma_f32 v[8:9], v[68:69], v[6:7], v[8:9] neg_lo:[0,0,1] neg_hi:[0,0,1]
	v_mov_b32_e32 v15, v13
	v_pk_fma_f32 v[12:13], v[64:65], v[6:7], v[16:17] op_sel_hi:[0,1,1]
	v_mov_b32_e32 v9, v19
	v_pk_fma_f32 v[18:19], v[60:61], v[6:7], v[92:93] op_sel_hi:[0,1,1]
	v_add_nc_u64_e32 v[10:11], v[4:5], v[2:3]
	v_pk_fma_f32 v[16:17], v[64:65], v[6:7], v[16:17] neg_lo:[0,0,1] neg_hi:[0,0,1]
	v_mov_b32_e32 v17, v13
	v_pk_fma_f32 v[12:13], v[60:61], v[6:7], v[92:93] neg_lo:[0,0,1] neg_hi:[0,0,1]
	v_mov_b32_e32 v13, v19
	v_pk_mul_f32 v[18:19], v[58:59], v[0:1] op_sel_hi:[0,1]
	v_add_nc_u64_e32 v[4:5], s[28:29], v[4:5]
	s_clause 0x3
	global_store_b64 v[10:11], v[14:15], off
	global_store_b64 v[10:11], v[8:9], off offset:128
	global_store_b64 v[10:11], v[16:17], off offset:256
	;; [unrolled: 1-line block ×3, first 2 shown]
	s_wait_xcnt 0x0
	v_pk_mul_f32 v[10:11], v[54:55], v[0:1] op_sel_hi:[0,1]
	v_pk_mul_f32 v[14:15], v[50:51], v[0:1] op_sel_hi:[0,1]
	v_pk_fma_f32 v[12:13], v[56:57], v[6:7], v[18:19] op_sel_hi:[0,1,1]
	v_pk_fma_f32 v[16:17], v[56:57], v[6:7], v[18:19] neg_lo:[0,0,1] neg_hi:[0,0,1]
	v_pk_mul_f32 v[18:19], v[46:47], v[0:1] op_sel_hi:[0,1]
	v_pk_fma_f32 v[92:93], v[52:53], v[6:7], v[10:11] op_sel_hi:[0,1,1]
	v_add_nc_u64_e32 v[8:9], v[4:5], v[2:3]
	v_mov_b32_e32 v17, v13
	v_pk_fma_f32 v[12:13], v[48:49], v[6:7], v[14:15] op_sel_hi:[0,1,1]
	v_pk_fma_f32 v[94:95], v[44:45], v[6:7], v[18:19] op_sel_hi:[0,1,1]
	v_pk_fma_f32 v[10:11], v[52:53], v[6:7], v[10:11] neg_lo:[0,0,1] neg_hi:[0,0,1]
	v_mov_b32_e32 v11, v93
	v_pk_fma_f32 v[14:15], v[48:49], v[6:7], v[14:15] neg_lo:[0,0,1] neg_hi:[0,0,1]
	v_mov_b32_e32 v15, v13
	;; [unrolled: 2-line block ×3, first 2 shown]
	v_add_nc_u64_e32 v[4:5], s[28:29], v[4:5]
	v_pk_mul_f32 v[18:19], v[42:43], v[0:1] op_sel_hi:[0,1]
	s_clause 0x3
	global_store_b64 v[8:9], v[16:17], off
	global_store_b64 v[8:9], v[10:11], off offset:128
	global_store_b64 v[8:9], v[14:15], off offset:256
	;; [unrolled: 1-line block ×3, first 2 shown]
	s_wait_xcnt 0x0
	v_pk_mul_f32 v[8:9], v[38:39], v[0:1] op_sel_hi:[0,1]
	v_pk_fma_f32 v[10:11], v[40:41], v[6:7], v[18:19] op_sel_hi:[0,1,1]
	v_add_nc_u64_e32 v[4:5], v[4:5], v[2:3]
	v_pk_mul_f32 v[2:3], v[34:35], v[0:1] op_sel_hi:[0,1]
	s_delay_alu instid0(VALU_DEP_4)
	v_pk_fma_f32 v[14:15], v[36:37], v[6:7], v[8:9] op_sel_hi:[0,1,1]
	v_pk_fma_f32 v[12:13], v[40:41], v[6:7], v[18:19] neg_lo:[0,0,1] neg_hi:[0,0,1]
	v_pk_fma_f32 v[8:9], v[36:37], v[6:7], v[8:9] neg_lo:[0,0,1] neg_hi:[0,0,1]
	v_mov_b32_e32 v13, v11
	v_pk_fma_f32 v[10:11], v[32:33], v[6:7], v[2:3] op_sel_hi:[0,1,1]
	v_mov_b32_e32 v9, v15
	v_pk_mul_f32 v[14:15], v[30:31], v[0:1]
	v_mul_f32_e32 v10, s26, v30
	v_add_nc_u64_e32 v[0:1], 0x180, v[4:5]
	v_pk_fma_f32 v[6:7], v[32:33], v[6:7], v[2:3] neg_lo:[0,0,1] neg_hi:[0,0,1]
	s_delay_alu instid0(VALU_DEP_4) | instskip(NEXT) | instid1(VALU_DEP_4)
	v_dual_mov_b32 v7, v11 :: v_dual_add_f32 v2, v14, v15
	v_fma_f32 v3, -v31, s14, v10
	s_clause 0x3
	global_store_b64 v[4:5], v[12:13], off
	global_store_b64 v[4:5], v[8:9], off offset:128
	global_store_b64 v[4:5], v[6:7], off offset:256
	global_store_b32 v[4:5], v3, off offset:384
	s_cbranch_execnz .LBB509_2
.LBB509_9:                              ;   in Loop: Header=BB509_3 Depth=1
	s_mul_u64 s[40:41], s[8:9], s[2:3]
	s_wait_xcnt 0x0
	v_lshlrev_b64_e32 v[0:1], 3, v[22:23]
	s_wait_xcnt 0x0
	v_lshl_add_u64 v[2:3], s[40:41], 3, v[24:25]
	v_mov_b64_e32 v[8:9], s[14:15]
	v_mov_b64_e32 v[10:11], s[38:39]
	;; [unrolled: 1-line block ×4, first 2 shown]
	v_lshl_add_u64 v[94:95], v[20:21], 3, s[30:31]
	v_add_nc_u64_e32 v[4:5], v[2:3], v[0:1]
	v_add_nc_u64_e32 v[2:3], s[18:19], v[2:3]
	v_pk_mul_f32 v[14:15], v[90:91], v[8:9] op_sel_hi:[0,1]
	s_delay_alu instid0(VALU_DEP_1) | instskip(SKIP_4) | instid1(VALU_DEP_1)
	v_pk_fma_f32 v[90:91], v[88:89], v[12:13], v[14:15] op_sel_hi:[0,1,1]
	global_load_b64 v[6:7], v[4:5], off
	v_pk_fma_f32 v[14:15], v[88:89], v[12:13], v[14:15] neg_lo:[0,0,1] neg_hi:[0,0,1]
	s_wait_loadcnt 0x0
	v_pk_mul_f32 v[18:19], v[6:7], v[10:11]
	v_pk_fma_f32 v[92:93], v[6:7], v[16:17], v[18:19] op_sel:[0,0,1] op_sel_hi:[1,1,0]
	v_pk_fma_f32 v[6:7], v[6:7], v[16:17], v[18:19] op_sel:[0,0,1] op_sel_hi:[1,1,0] neg_lo:[0,0,1] neg_hi:[0,0,1]
	v_mov_b32_e32 v15, v91
	v_add_nc_u64_e32 v[18:19], v[94:95], v[0:1]
	s_delay_alu instid0(VALU_DEP_4) | instskip(NEXT) | instid1(VALU_DEP_1)
	v_mov_b32_e32 v7, v93
	v_pk_add_f32 v[6:7], v[14:15], v[6:7]
	v_pk_mul_f32 v[14:15], v[86:87], v[8:9] op_sel_hi:[0,1]
	global_store_b64 v[18:19], v[6:7], off
	global_load_b64 v[6:7], v[4:5], off offset:128
	v_pk_fma_f32 v[88:89], v[84:85], v[12:13], v[14:15] op_sel_hi:[0,1,1]
	v_pk_fma_f32 v[14:15], v[84:85], v[12:13], v[14:15] neg_lo:[0,0,1] neg_hi:[0,0,1]
	s_wait_loadcnt 0x0
	v_pk_mul_f32 v[86:87], v[6:7], v[10:11]
	s_delay_alu instid0(VALU_DEP_1) | instskip(SKIP_1) | instid1(VALU_DEP_2)
	v_pk_fma_f32 v[90:91], v[6:7], v[16:17], v[86:87] op_sel:[0,0,1] op_sel_hi:[1,1,0]
	v_pk_fma_f32 v[6:7], v[6:7], v[16:17], v[86:87] op_sel:[0,0,1] op_sel_hi:[1,1,0] neg_lo:[0,0,1] neg_hi:[0,0,1]
	v_dual_mov_b32 v15, v89 :: v_dual_mov_b32 v7, v91
	s_delay_alu instid0(VALU_DEP_1)
	v_pk_add_f32 v[6:7], v[14:15], v[6:7]
	v_pk_mul_f32 v[14:15], v[80:81], v[8:9] op_sel_hi:[0,1]
	global_store_b64 v[18:19], v[6:7], off offset:128
	global_load_b64 v[6:7], v[4:5], off offset:256
	v_pk_fma_f32 v[84:85], v[82:83], v[12:13], v[14:15] op_sel_hi:[0,1,1]
	v_pk_fma_f32 v[14:15], v[82:83], v[12:13], v[14:15] neg_lo:[0,0,1] neg_hi:[0,0,1]
	s_wait_loadcnt 0x0
	v_pk_mul_f32 v[80:81], v[6:7], v[10:11]
	s_delay_alu instid0(VALU_DEP_1) | instskip(SKIP_1) | instid1(VALU_DEP_2)
	v_pk_fma_f32 v[86:87], v[6:7], v[16:17], v[80:81] op_sel:[0,0,1] op_sel_hi:[1,1,0]
	v_pk_fma_f32 v[6:7], v[6:7], v[16:17], v[80:81] op_sel:[0,0,1] op_sel_hi:[1,1,0] neg_lo:[0,0,1] neg_hi:[0,0,1]
	v_dual_mov_b32 v15, v85 :: v_dual_mov_b32 v7, v87
	s_delay_alu instid0(VALU_DEP_1) | instskip(SKIP_4) | instid1(VALU_DEP_1)
	v_pk_add_f32 v[6:7], v[14:15], v[6:7]
	global_store_b64 v[18:19], v[6:7], off offset:256
	global_load_b64 v[4:5], v[4:5], off offset:384
	s_wait_xcnt 0x1
	v_pk_mul_f32 v[6:7], v[78:79], v[8:9] op_sel_hi:[0,1]
	v_pk_fma_f32 v[78:79], v[76:77], v[12:13], v[6:7] op_sel_hi:[0,1,1]
	v_pk_fma_f32 v[6:7], v[76:77], v[12:13], v[6:7] neg_lo:[0,0,1] neg_hi:[0,0,1]
	s_wait_loadcnt 0x0
	v_pk_mul_f32 v[14:15], v[4:5], v[10:11]
	s_delay_alu instid0(VALU_DEP_1)
	v_pk_fma_f32 v[80:81], v[4:5], v[16:17], v[14:15] op_sel:[0,0,1] op_sel_hi:[1,1,0]
	s_wait_xcnt 0x0
	v_pk_fma_f32 v[4:5], v[4:5], v[16:17], v[14:15] op_sel:[0,0,1] op_sel_hi:[1,1,0] neg_lo:[0,0,1] neg_hi:[0,0,1]
	v_mov_b32_e32 v7, v79
	v_add_nc_u64_e32 v[14:15], v[2:3], v[0:1]
	v_add_nc_u64_e32 v[78:79], s[28:29], v[94:95]
	v_mov_b32_e32 v5, v81
	v_add_nc_u64_e32 v[2:3], s[18:19], v[2:3]
	s_delay_alu instid0(VALU_DEP_2)
	v_pk_add_f32 v[4:5], v[6:7], v[4:5]
	v_pk_mul_f32 v[6:7], v[72:73], v[8:9] op_sel_hi:[0,1]
	global_store_b64 v[18:19], v[4:5], off offset:384
	global_load_b64 v[4:5], v[14:15], off
	v_pk_fma_f32 v[72:73], v[74:75], v[12:13], v[6:7] op_sel_hi:[0,1,1]
	v_pk_fma_f32 v[6:7], v[74:75], v[12:13], v[6:7] neg_lo:[0,0,1] neg_hi:[0,0,1]
	s_wait_loadcnt 0x0
	v_pk_mul_f32 v[18:19], v[4:5], v[10:11]
	s_delay_alu instid0(VALU_DEP_1) | instskip(SKIP_3) | instid1(VALU_DEP_4)
	v_pk_fma_f32 v[76:77], v[4:5], v[16:17], v[18:19] op_sel:[0,0,1] op_sel_hi:[1,1,0]
	v_pk_fma_f32 v[4:5], v[4:5], v[16:17], v[18:19] op_sel:[0,0,1] op_sel_hi:[1,1,0] neg_lo:[0,0,1] neg_hi:[0,0,1]
	v_mov_b32_e32 v7, v73
	v_add_nc_u64_e32 v[18:19], v[78:79], v[0:1]
	v_mov_b32_e32 v5, v77
	s_delay_alu instid0(VALU_DEP_1)
	v_pk_add_f32 v[4:5], v[6:7], v[4:5]
	v_pk_mul_f32 v[6:7], v[70:71], v[8:9] op_sel_hi:[0,1]
	global_store_b64 v[18:19], v[4:5], off
	global_load_b64 v[4:5], v[14:15], off offset:128
	v_pk_fma_f32 v[72:73], v[68:69], v[12:13], v[6:7] op_sel_hi:[0,1,1]
	v_pk_fma_f32 v[6:7], v[68:69], v[12:13], v[6:7] neg_lo:[0,0,1] neg_hi:[0,0,1]
	s_wait_loadcnt 0x0
	v_pk_mul_f32 v[70:71], v[4:5], v[10:11]
	s_delay_alu instid0(VALU_DEP_1) | instskip(SKIP_1) | instid1(VALU_DEP_2)
	v_pk_fma_f32 v[74:75], v[4:5], v[16:17], v[70:71] op_sel:[0,0,1] op_sel_hi:[1,1,0]
	v_pk_fma_f32 v[4:5], v[4:5], v[16:17], v[70:71] op_sel:[0,0,1] op_sel_hi:[1,1,0] neg_lo:[0,0,1] neg_hi:[0,0,1]
	v_dual_mov_b32 v7, v73 :: v_dual_mov_b32 v5, v75
	s_delay_alu instid0(VALU_DEP_1)
	v_pk_add_f32 v[4:5], v[6:7], v[4:5]
	v_pk_mul_f32 v[6:7], v[66:67], v[8:9] op_sel_hi:[0,1]
	global_store_b64 v[18:19], v[4:5], off offset:128
	global_load_b64 v[4:5], v[14:15], off offset:256
	v_pk_fma_f32 v[68:69], v[64:65], v[12:13], v[6:7] op_sel_hi:[0,1,1]
	v_pk_fma_f32 v[6:7], v[64:65], v[12:13], v[6:7] neg_lo:[0,0,1] neg_hi:[0,0,1]
	s_wait_loadcnt 0x0
	v_pk_mul_f32 v[66:67], v[4:5], v[10:11]
	s_delay_alu instid0(VALU_DEP_1) | instskip(SKIP_1) | instid1(VALU_DEP_2)
	v_pk_fma_f32 v[70:71], v[4:5], v[16:17], v[66:67] op_sel:[0,0,1] op_sel_hi:[1,1,0]
	v_pk_fma_f32 v[4:5], v[4:5], v[16:17], v[66:67] op_sel:[0,0,1] op_sel_hi:[1,1,0] neg_lo:[0,0,1] neg_hi:[0,0,1]
	v_dual_mov_b32 v7, v69 :: v_dual_mov_b32 v5, v71
	s_delay_alu instid0(VALU_DEP_1)
	v_pk_add_f32 v[4:5], v[6:7], v[4:5]
	v_pk_mul_f32 v[6:7], v[62:63], v[8:9] op_sel_hi:[0,1]
	global_store_b64 v[18:19], v[4:5], off offset:256
	global_load_b64 v[4:5], v[14:15], off offset:384
	v_pk_fma_f32 v[62:63], v[60:61], v[12:13], v[6:7] op_sel_hi:[0,1,1]
	v_pk_fma_f32 v[6:7], v[60:61], v[12:13], v[6:7] neg_lo:[0,0,1] neg_hi:[0,0,1]
	s_wait_loadcnt 0x0
	s_wait_xcnt 0x0
	v_pk_mul_f32 v[14:15], v[4:5], v[10:11]
	s_delay_alu instid0(VALU_DEP_1)
	v_pk_fma_f32 v[64:65], v[4:5], v[16:17], v[14:15] op_sel:[0,0,1] op_sel_hi:[1,1,0]
	v_pk_fma_f32 v[4:5], v[4:5], v[16:17], v[14:15] op_sel:[0,0,1] op_sel_hi:[1,1,0] neg_lo:[0,0,1] neg_hi:[0,0,1]
	v_mov_b32_e32 v7, v63
	v_add_nc_u64_e32 v[14:15], v[2:3], v[0:1]
	v_add_nc_u64_e32 v[62:63], s[28:29], v[78:79]
	v_mov_b32_e32 v5, v65
	v_add_nc_u64_e32 v[2:3], s[18:19], v[2:3]
	s_delay_alu instid0(VALU_DEP_2) | instskip(SKIP_1) | instid1(VALU_DEP_3)
	v_pk_add_f32 v[4:5], v[6:7], v[4:5]
	v_pk_mul_f32 v[6:7], v[58:59], v[8:9] op_sel_hi:[0,1]
	v_add_nc_u64_e32 v[2:3], v[2:3], v[0:1]
	global_store_b64 v[18:19], v[4:5], off offset:384
	global_load_b64 v[4:5], v[14:15], off
	v_pk_fma_f32 v[58:59], v[56:57], v[12:13], v[6:7] op_sel_hi:[0,1,1]
	v_pk_fma_f32 v[6:7], v[56:57], v[12:13], v[6:7] neg_lo:[0,0,1] neg_hi:[0,0,1]
	s_wait_loadcnt 0x0
	v_pk_mul_f32 v[18:19], v[4:5], v[10:11]
	s_delay_alu instid0(VALU_DEP_1) | instskip(SKIP_3) | instid1(VALU_DEP_4)
	v_pk_fma_f32 v[60:61], v[4:5], v[16:17], v[18:19] op_sel:[0,0,1] op_sel_hi:[1,1,0]
	v_pk_fma_f32 v[4:5], v[4:5], v[16:17], v[18:19] op_sel:[0,0,1] op_sel_hi:[1,1,0] neg_lo:[0,0,1] neg_hi:[0,0,1]
	v_mov_b32_e32 v7, v59
	v_add_nc_u64_e32 v[18:19], v[62:63], v[0:1]
	v_mov_b32_e32 v5, v61
	s_delay_alu instid0(VALU_DEP_1)
	v_pk_add_f32 v[4:5], v[6:7], v[4:5]
	v_pk_mul_f32 v[6:7], v[54:55], v[8:9] op_sel_hi:[0,1]
	global_store_b64 v[18:19], v[4:5], off
	global_load_b64 v[4:5], v[14:15], off offset:128
	v_pk_fma_f32 v[56:57], v[52:53], v[12:13], v[6:7] op_sel_hi:[0,1,1]
	v_pk_fma_f32 v[6:7], v[52:53], v[12:13], v[6:7] neg_lo:[0,0,1] neg_hi:[0,0,1]
	s_wait_loadcnt 0x0
	v_pk_mul_f32 v[54:55], v[4:5], v[10:11]
	s_delay_alu instid0(VALU_DEP_1) | instskip(SKIP_1) | instid1(VALU_DEP_2)
	v_pk_fma_f32 v[58:59], v[4:5], v[16:17], v[54:55] op_sel:[0,0,1] op_sel_hi:[1,1,0]
	v_pk_fma_f32 v[4:5], v[4:5], v[16:17], v[54:55] op_sel:[0,0,1] op_sel_hi:[1,1,0] neg_lo:[0,0,1] neg_hi:[0,0,1]
	v_dual_mov_b32 v7, v57 :: v_dual_mov_b32 v5, v59
	s_delay_alu instid0(VALU_DEP_1)
	v_pk_add_f32 v[4:5], v[6:7], v[4:5]
	v_pk_mul_f32 v[6:7], v[50:51], v[8:9] op_sel_hi:[0,1]
	global_store_b64 v[18:19], v[4:5], off offset:128
	global_load_b64 v[4:5], v[14:15], off offset:256
	v_pk_fma_f32 v[52:53], v[48:49], v[12:13], v[6:7] op_sel_hi:[0,1,1]
	v_pk_fma_f32 v[6:7], v[48:49], v[12:13], v[6:7] neg_lo:[0,0,1] neg_hi:[0,0,1]
	s_wait_loadcnt 0x0
	v_pk_mul_f32 v[50:51], v[4:5], v[10:11]
	s_delay_alu instid0(VALU_DEP_1) | instskip(SKIP_1) | instid1(VALU_DEP_2)
	v_pk_fma_f32 v[54:55], v[4:5], v[16:17], v[50:51] op_sel:[0,0,1] op_sel_hi:[1,1,0]
	v_pk_fma_f32 v[4:5], v[4:5], v[16:17], v[50:51] op_sel:[0,0,1] op_sel_hi:[1,1,0] neg_lo:[0,0,1] neg_hi:[0,0,1]
	v_dual_mov_b32 v7, v53 :: v_dual_mov_b32 v5, v55
	s_delay_alu instid0(VALU_DEP_1)
	v_pk_add_f32 v[4:5], v[6:7], v[4:5]
	v_pk_mul_f32 v[6:7], v[46:47], v[8:9] op_sel_hi:[0,1]
	global_store_b64 v[18:19], v[4:5], off offset:256
	global_load_b64 v[4:5], v[14:15], off offset:384
	v_pk_fma_f32 v[46:47], v[44:45], v[12:13], v[6:7] op_sel_hi:[0,1,1]
	v_pk_fma_f32 v[6:7], v[44:45], v[12:13], v[6:7] neg_lo:[0,0,1] neg_hi:[0,0,1]
	v_add_nc_u64_e32 v[44:45], s[28:29], v[62:63]
	s_wait_loadcnt 0x0
	s_wait_xcnt 0x0
	v_pk_mul_f32 v[14:15], v[4:5], v[10:11]
	s_delay_alu instid0(VALU_DEP_1) | instskip(SKIP_1) | instid1(VALU_DEP_2)
	v_pk_fma_f32 v[48:49], v[4:5], v[16:17], v[14:15] op_sel:[0,0,1] op_sel_hi:[1,1,0]
	v_pk_fma_f32 v[4:5], v[4:5], v[16:17], v[14:15] op_sel:[0,0,1] op_sel_hi:[1,1,0] neg_lo:[0,0,1] neg_hi:[0,0,1]
	v_dual_mov_b32 v7, v47 :: v_dual_mov_b32 v5, v49
	s_delay_alu instid0(VALU_DEP_1)
	v_pk_add_f32 v[4:5], v[6:7], v[4:5]
	v_pk_mul_f32 v[6:7], v[42:43], v[8:9] op_sel_hi:[0,1]
	global_store_b64 v[18:19], v[4:5], off offset:384
	global_load_b64 v[4:5], v[2:3], off
	v_pk_fma_f32 v[18:19], v[40:41], v[12:13], v[6:7] op_sel_hi:[0,1,1]
	v_pk_fma_f32 v[6:7], v[40:41], v[12:13], v[6:7] neg_lo:[0,0,1] neg_hi:[0,0,1]
	s_wait_loadcnt 0x0
	v_pk_mul_f32 v[14:15], v[4:5], v[10:11]
	s_delay_alu instid0(VALU_DEP_1) | instskip(SKIP_3) | instid1(VALU_DEP_4)
	v_pk_fma_f32 v[42:43], v[4:5], v[16:17], v[14:15] op_sel:[0,0,1] op_sel_hi:[1,1,0]
	v_pk_fma_f32 v[4:5], v[4:5], v[16:17], v[14:15] op_sel:[0,0,1] op_sel_hi:[1,1,0] neg_lo:[0,0,1] neg_hi:[0,0,1]
	v_mov_b32_e32 v7, v19
	v_add_nc_u64_e32 v[14:15], v[44:45], v[0:1]
	v_mov_b32_e32 v5, v43
	s_delay_alu instid0(VALU_DEP_1)
	v_pk_add_f32 v[0:1], v[6:7], v[4:5]
	v_pk_mul_f32 v[4:5], v[38:39], v[8:9] op_sel_hi:[0,1]
	global_store_b64 v[14:15], v[0:1], off
	global_load_b64 v[0:1], v[2:3], off offset:128
	v_pk_fma_f32 v[18:19], v[36:37], v[12:13], v[4:5] op_sel_hi:[0,1,1]
	v_pk_fma_f32 v[4:5], v[36:37], v[12:13], v[4:5] neg_lo:[0,0,1] neg_hi:[0,0,1]
	s_wait_loadcnt 0x0
	v_pk_mul_f32 v[6:7], v[0:1], v[10:11]
	s_delay_alu instid0(VALU_DEP_1) | instskip(SKIP_1) | instid1(VALU_DEP_2)
	v_pk_fma_f32 v[40:41], v[0:1], v[16:17], v[6:7] op_sel:[0,0,1] op_sel_hi:[1,1,0]
	v_pk_fma_f32 v[0:1], v[0:1], v[16:17], v[6:7] op_sel:[0,0,1] op_sel_hi:[1,1,0] neg_lo:[0,0,1] neg_hi:[0,0,1]
	v_dual_mov_b32 v5, v19 :: v_dual_mov_b32 v1, v41
	s_delay_alu instid0(VALU_DEP_1)
	v_pk_add_f32 v[0:1], v[4:5], v[0:1]
	v_pk_mul_f32 v[4:5], v[34:35], v[8:9] op_sel_hi:[0,1]
	global_store_b64 v[14:15], v[0:1], off offset:128
	global_load_b64 v[0:1], v[2:3], off offset:256
	v_pk_fma_f32 v[8:9], v[32:33], v[12:13], v[4:5] op_sel_hi:[0,1,1]
	v_pk_fma_f32 v[4:5], v[32:33], v[12:13], v[4:5] neg_lo:[0,0,1] neg_hi:[0,0,1]
	s_wait_loadcnt 0x0
	v_pk_mul_f32 v[6:7], v[0:1], v[10:11]
	s_delay_alu instid0(VALU_DEP_1) | instskip(SKIP_2) | instid1(VALU_DEP_3)
	v_pk_fma_f32 v[10:11], v[0:1], v[16:17], v[6:7] op_sel:[0,0,1] op_sel_hi:[1,1,0]
	v_pk_fma_f32 v[0:1], v[0:1], v[16:17], v[6:7] op_sel:[0,0,1] op_sel_hi:[1,1,0] neg_lo:[0,0,1] neg_hi:[0,0,1]
	v_dual_mov_b32 v5, v9 :: v_dual_mul_f32 v7, s26, v30
	v_mov_b32_e32 v1, v11
	s_delay_alu instid0(VALU_DEP_2) | instskip(NEXT) | instid1(VALU_DEP_2)
	v_fma_f32 v7, -v31, s14, v7
	v_pk_add_f32 v[0:1], v[4:5], v[0:1]
	global_store_b64 v[14:15], v[0:1], off offset:256
	global_load_b64 v[0:1], v[2:3], off offset:384
	s_wait_xcnt 0x0
	v_mov_b64_e32 v[2:3], s[20:21]
	s_wait_loadcnt 0x0
	v_dual_mul_f32 v4, s35, v1 :: v_dual_mov_b32 v5, v0
	s_delay_alu instid0(VALU_DEP_1) | instskip(SKIP_1) | instid1(VALU_DEP_1)
	v_fma_f32 v6, v0, s34, -v4
	v_dual_mov_b32 v0, v31 :: v_dual_mov_b32 v4, v30
	v_pk_mul_f32 v[0:1], v[0:1], v[2:3]
	v_mov_b64_e32 v[2:3], s[6:7]
	s_delay_alu instid0(VALU_DEP_1) | instskip(SKIP_1) | instid1(VALU_DEP_2)
	v_pk_fma_f32 v[2:3], v[4:5], v[2:3], v[0:1]
	v_add_nc_u64_e32 v[0:1], 0x180, v[14:15]
	v_dual_add_f32 v4, v7, v6 :: v_dual_add_f32 v2, v2, v3
	global_store_b32 v[14:15], v4, off offset:384
	s_branch .LBB509_2
.LBB509_10:
	s_sendmsg sendmsg(MSG_DEALLOC_VGPRS)
	s_endpgm
	.section	.rodata,"a",@progbits
	.p2align	6, 0x0
	.amdhsa_kernel _ZN12_GLOBAL__N_127rocblas_gemm_batched_kernelI19rocblas_complex_numIfELi16ELi16ELi64ELi64ELi4ELi64ELi4ELi4ELi64ELc84ELc67EKS2_S3_S2_EEvlllT_PT11_llS6_llS4_PT12_llPT13_lli
		.amdhsa_group_segment_fixed_size 4096
		.amdhsa_private_segment_fixed_size 0
		.amdhsa_kernarg_size 140
		.amdhsa_user_sgpr_count 2
		.amdhsa_user_sgpr_dispatch_ptr 0
		.amdhsa_user_sgpr_queue_ptr 0
		.amdhsa_user_sgpr_kernarg_segment_ptr 1
		.amdhsa_user_sgpr_dispatch_id 0
		.amdhsa_user_sgpr_kernarg_preload_length 0
		.amdhsa_user_sgpr_kernarg_preload_offset 0
		.amdhsa_user_sgpr_private_segment_size 0
		.amdhsa_wavefront_size32 1
		.amdhsa_uses_dynamic_stack 0
		.amdhsa_enable_private_segment 0
		.amdhsa_system_sgpr_workgroup_id_x 1
		.amdhsa_system_sgpr_workgroup_id_y 1
		.amdhsa_system_sgpr_workgroup_id_z 1
		.amdhsa_system_sgpr_workgroup_info 0
		.amdhsa_system_vgpr_workitem_id 1
		.amdhsa_next_free_vgpr 193
		.amdhsa_next_free_sgpr 44
		.amdhsa_named_barrier_count 0
		.amdhsa_reserve_vcc 1
		.amdhsa_float_round_mode_32 0
		.amdhsa_float_round_mode_16_64 0
		.amdhsa_float_denorm_mode_32 3
		.amdhsa_float_denorm_mode_16_64 3
		.amdhsa_fp16_overflow 0
		.amdhsa_memory_ordered 1
		.amdhsa_forward_progress 1
		.amdhsa_inst_pref_size 48
		.amdhsa_round_robin_scheduling 0
		.amdhsa_exception_fp_ieee_invalid_op 0
		.amdhsa_exception_fp_denorm_src 0
		.amdhsa_exception_fp_ieee_div_zero 0
		.amdhsa_exception_fp_ieee_overflow 0
		.amdhsa_exception_fp_ieee_underflow 0
		.amdhsa_exception_fp_ieee_inexact 0
		.amdhsa_exception_int_div_zero 0
	.end_amdhsa_kernel
	.section	.text._ZN12_GLOBAL__N_127rocblas_gemm_batched_kernelI19rocblas_complex_numIfELi16ELi16ELi64ELi64ELi4ELi64ELi4ELi4ELi64ELc84ELc67EKS2_S3_S2_EEvlllT_PT11_llS6_llS4_PT12_llPT13_lli,"axG",@progbits,_ZN12_GLOBAL__N_127rocblas_gemm_batched_kernelI19rocblas_complex_numIfELi16ELi16ELi64ELi64ELi4ELi64ELi4ELi4ELi64ELc84ELc67EKS2_S3_S2_EEvlllT_PT11_llS6_llS4_PT12_llPT13_lli,comdat
.Lfunc_end509:
	.size	_ZN12_GLOBAL__N_127rocblas_gemm_batched_kernelI19rocblas_complex_numIfELi16ELi16ELi64ELi64ELi4ELi64ELi4ELi4ELi64ELc84ELc67EKS2_S3_S2_EEvlllT_PT11_llS6_llS4_PT12_llPT13_lli, .Lfunc_end509-_ZN12_GLOBAL__N_127rocblas_gemm_batched_kernelI19rocblas_complex_numIfELi16ELi16ELi64ELi64ELi4ELi64ELi4ELi4ELi64ELc84ELc67EKS2_S3_S2_EEvlllT_PT11_llS6_llS4_PT12_llPT13_lli
                                        ; -- End function
	.set _ZN12_GLOBAL__N_127rocblas_gemm_batched_kernelI19rocblas_complex_numIfELi16ELi16ELi64ELi64ELi4ELi64ELi4ELi4ELi64ELc84ELc67EKS2_S3_S2_EEvlllT_PT11_llS6_llS4_PT12_llPT13_lli.num_vgpr, 193
	.set _ZN12_GLOBAL__N_127rocblas_gemm_batched_kernelI19rocblas_complex_numIfELi16ELi16ELi64ELi64ELi4ELi64ELi4ELi4ELi64ELc84ELc67EKS2_S3_S2_EEvlllT_PT11_llS6_llS4_PT12_llPT13_lli.num_agpr, 0
	.set _ZN12_GLOBAL__N_127rocblas_gemm_batched_kernelI19rocblas_complex_numIfELi16ELi16ELi64ELi64ELi4ELi64ELi4ELi4ELi64ELc84ELc67EKS2_S3_S2_EEvlllT_PT11_llS6_llS4_PT12_llPT13_lli.numbered_sgpr, 44
	.set _ZN12_GLOBAL__N_127rocblas_gemm_batched_kernelI19rocblas_complex_numIfELi16ELi16ELi64ELi64ELi4ELi64ELi4ELi4ELi64ELc84ELc67EKS2_S3_S2_EEvlllT_PT11_llS6_llS4_PT12_llPT13_lli.num_named_barrier, 0
	.set _ZN12_GLOBAL__N_127rocblas_gemm_batched_kernelI19rocblas_complex_numIfELi16ELi16ELi64ELi64ELi4ELi64ELi4ELi4ELi64ELc84ELc67EKS2_S3_S2_EEvlllT_PT11_llS6_llS4_PT12_llPT13_lli.private_seg_size, 0
	.set _ZN12_GLOBAL__N_127rocblas_gemm_batched_kernelI19rocblas_complex_numIfELi16ELi16ELi64ELi64ELi4ELi64ELi4ELi4ELi64ELc84ELc67EKS2_S3_S2_EEvlllT_PT11_llS6_llS4_PT12_llPT13_lli.uses_vcc, 1
	.set _ZN12_GLOBAL__N_127rocblas_gemm_batched_kernelI19rocblas_complex_numIfELi16ELi16ELi64ELi64ELi4ELi64ELi4ELi4ELi64ELc84ELc67EKS2_S3_S2_EEvlllT_PT11_llS6_llS4_PT12_llPT13_lli.uses_flat_scratch, 0
	.set _ZN12_GLOBAL__N_127rocblas_gemm_batched_kernelI19rocblas_complex_numIfELi16ELi16ELi64ELi64ELi4ELi64ELi4ELi4ELi64ELc84ELc67EKS2_S3_S2_EEvlllT_PT11_llS6_llS4_PT12_llPT13_lli.has_dyn_sized_stack, 0
	.set _ZN12_GLOBAL__N_127rocblas_gemm_batched_kernelI19rocblas_complex_numIfELi16ELi16ELi64ELi64ELi4ELi64ELi4ELi4ELi64ELc84ELc67EKS2_S3_S2_EEvlllT_PT11_llS6_llS4_PT12_llPT13_lli.has_recursion, 0
	.set _ZN12_GLOBAL__N_127rocblas_gemm_batched_kernelI19rocblas_complex_numIfELi16ELi16ELi64ELi64ELi4ELi64ELi4ELi4ELi64ELc84ELc67EKS2_S3_S2_EEvlllT_PT11_llS6_llS4_PT12_llPT13_lli.has_indirect_call, 0
	.section	.AMDGPU.csdata,"",@progbits
; Kernel info:
; codeLenInByte = 6040
; TotalNumSgprs: 46
; NumVgprs: 193
; ScratchSize: 0
; MemoryBound: 0
; FloatMode: 240
; IeeeMode: 1
; LDSByteSize: 4096 bytes/workgroup (compile time only)
; SGPRBlocks: 0
; VGPRBlocks: 12
; NumSGPRsForWavesPerEU: 46
; NumVGPRsForWavesPerEU: 193
; NamedBarCnt: 0
; Occupancy: 4
; WaveLimiterHint : 1
; COMPUTE_PGM_RSRC2:SCRATCH_EN: 0
; COMPUTE_PGM_RSRC2:USER_SGPR: 2
; COMPUTE_PGM_RSRC2:TRAP_HANDLER: 0
; COMPUTE_PGM_RSRC2:TGID_X_EN: 1
; COMPUTE_PGM_RSRC2:TGID_Y_EN: 1
; COMPUTE_PGM_RSRC2:TGID_Z_EN: 1
; COMPUTE_PGM_RSRC2:TIDIG_COMP_CNT: 1
	.section	.text._ZN12_GLOBAL__N_127rocblas_gemm_batched_kernelI19rocblas_complex_numIfELi16ELi16ELi32ELi32ELi8ELi32ELi8ELi8ELi32ELc78ELc78EKS2_S3_S2_EEvlllT_PT11_llS6_llS4_PT12_llPT13_lli,"axG",@progbits,_ZN12_GLOBAL__N_127rocblas_gemm_batched_kernelI19rocblas_complex_numIfELi16ELi16ELi32ELi32ELi8ELi32ELi8ELi8ELi32ELc78ELc78EKS2_S3_S2_EEvlllT_PT11_llS6_llS4_PT12_llPT13_lli,comdat
	.globl	_ZN12_GLOBAL__N_127rocblas_gemm_batched_kernelI19rocblas_complex_numIfELi16ELi16ELi32ELi32ELi8ELi32ELi8ELi8ELi32ELc78ELc78EKS2_S3_S2_EEvlllT_PT11_llS6_llS4_PT12_llPT13_lli ; -- Begin function _ZN12_GLOBAL__N_127rocblas_gemm_batched_kernelI19rocblas_complex_numIfELi16ELi16ELi32ELi32ELi8ELi32ELi8ELi8ELi32ELc78ELc78EKS2_S3_S2_EEvlllT_PT11_llS6_llS4_PT12_llPT13_lli
	.p2align	8
	.type	_ZN12_GLOBAL__N_127rocblas_gemm_batched_kernelI19rocblas_complex_numIfELi16ELi16ELi32ELi32ELi8ELi32ELi8ELi8ELi32ELc78ELc78EKS2_S3_S2_EEvlllT_PT11_llS6_llS4_PT12_llPT13_lli,@function
_ZN12_GLOBAL__N_127rocblas_gemm_batched_kernelI19rocblas_complex_numIfELi16ELi16ELi32ELi32ELi8ELi32ELi8ELi8ELi32ELc78ELc78EKS2_S3_S2_EEvlllT_PT11_llS6_llS4_PT12_llPT13_lli: ; @_ZN12_GLOBAL__N_127rocblas_gemm_batched_kernelI19rocblas_complex_numIfELi16ELi16ELi32ELi32ELi8ELi32ELi8ELi8ELi32ELc78ELc78EKS2_S3_S2_EEvlllT_PT11_llS6_llS4_PT12_llPT13_lli
; %bb.0:
	s_load_b32 s33, s[0:1], 0x88
	s_bfe_u32 s2, ttmp6, 0x40014
	s_lshr_b32 s3, ttmp7, 16
	s_add_co_i32 s2, s2, 1
	s_bfe_u32 s4, ttmp6, 0x40008
	s_mul_i32 s2, s3, s2
	s_getreg_b32 s24, hwreg(HW_REG_IB_STS2, 6, 4)
	s_add_co_i32 s4, s4, s2
	s_cmp_eq_u32 s24, 0
	s_cselect_b32 s2, s3, s4
	s_mov_b32 s3, 0
	s_wait_kmcnt 0x0
	s_cmp_ge_i32 s2, s33
	s_cbranch_scc1 .LBB510_10
; %bb.1:
	v_bfe_u32 v4, v0, 10, 10
	v_and_b32_e32 v2, 0x3ff, v0
	s_bfe_u32 s25, ttmp6, 0x4000c
	s_bfe_u32 s27, ttmp6, 0x40010
	s_clause 0x4
	s_load_b128 s[20:23], s[0:1], 0x10
	s_load_b256 s[12:19], s[0:1], 0x20
	s_load_b256 s[4:11], s[0:1], 0x58
	s_load_b128 s[28:31], s[0:1], 0x40
	s_load_b64 s[34:35], s[0:1], 0x50
	s_add_co_i32 s25, s25, 1
	s_and_b32 s36, ttmp7, 0xffff
	s_add_co_i32 s27, s27, 1
	v_lshl_add_u32 v12, v4, 4, v2
	v_mov_b32_e32 v5, 0
	s_and_b32 s26, ttmp6, 15
	s_mul_i32 s25, ttmp9, s25
	s_mul_i32 s27, s36, s27
	s_bfe_u32 s37, ttmp6, 0x40004
	s_add_co_i32 s26, s26, s25
	s_add_co_i32 s37, s37, s27
	s_cmp_eq_u32 s24, 0
	v_dual_mov_b32 v7, v5 :: v_dual_lshrrev_b32 v6, 3, v12
	v_mov_b32_e32 v3, v5
	s_cselect_b32 s24, s36, s37
	s_cselect_b32 s36, ttmp9, s26
	s_lshl_b32 s38, s24, 5
	s_mov_b32 s39, s3
	s_load_b128 s[24:27], s[0:1], 0x78
	v_add_nc_u64_e32 v[8:9], s[38:39], v[6:7]
	v_dual_lshlrev_b32 v7, 3, v0 :: v_dual_mov_b32 v11, v5
	v_dual_lshrrev_b32 v12, 5, v12 :: v_dual_bitop2_b32 v10, 31, v12 bitop3:0x40
	v_add_nc_u64_e32 v[0:1], s[38:39], v[4:5]
	s_delay_alu instid0(VALU_DEP_3)
	v_and_b32_e32 v20, 56, v7
	s_wait_kmcnt 0x0
	v_mul_u64_e32 v[8:9], s[28:29], v[8:9]
	v_lshlrev_b32_e32 v7, 3, v10
	s_ashr_i32 s37, s36, 31
	s_or_b32 s0, s34, s35
	s_lshl_b64 s[28:29], s[36:37], 5
	v_mul_u64_e32 v[22:23], s[6:7], v[0:1]
	v_lshl_or_b32 v14, v6, 6, v20
	v_lshl_or_b32 v13, v12, 8, v7
	v_mad_nc_u64_u32 v[6:7], s14, v12, s[28:29]
	s_bitset0_b32 s0, 31
	v_dual_lshlrev_b32 v17, 3, v2 :: v_dual_mov_b32 v21, v5
	v_mul_u64_e32 v[0:1], s[24:25], v[0:1]
	s_cmp_eq_u32 s0, 0
	v_cmp_gt_i64_e64 s0, s[20:21], 0
	v_add_nc_u64_e32 v[2:3], s[28:29], v[2:3]
	v_add_nc_u32_e32 v15, 0x800, v14
	v_lshl_add_u32 v19, v4, 6, 0x800
	s_cselect_b32 s1, -1, 0
	v_mad_u32 v7, s15, v12, v7
	s_mov_b32 s28, s23
	v_cndmask_b32_e64 v12, 0, 1, s0
	s_mov_b32 s29, s22
	s_lshl_b64 s[24:25], s[24:25], 4
	s_lshl_b64 s[6:7], s[6:7], 4
	s_mov_b32 s36, s23
	v_cmp_ne_u32_e64 s0, 1, v12
	s_mov_b32 s37, s35
	s_mov_b32 s38, s22
	;; [unrolled: 1-line block ×3, first 2 shown]
	v_add_nc_u64_e32 v[10:11], v[6:7], v[10:11]
	s_mov_b32 s40, s34
	v_lshl_add_u64 v[6:7], v[8:9], 3, v[20:21]
	s_mov_b32 s41, s34
	s_mov_b32 s42, s35
	s_mov_b32 s43, s35
	s_delay_alu instid0(VALU_DEP_1)
	v_add_nc_u64_e32 v[6:7], s[18:19], v[6:7]
	v_lshl_add_u64 v[4:5], v[22:23], 3, s[4:5]
	v_lshl_add_u64 v[8:9], v[10:11], 3, s[12:13]
	s_lshl_b64 s[4:5], s[16:17], 3
	s_lshl_b64 s[12:13], s[14:15], 6
	;; [unrolled: 1-line block ×3, first 2 shown]
	s_branch .LBB510_3
.LBB510_2:                              ;   in Loop: Header=BB510_3 Depth=1
	s_add_co_i32 s2, s2, 0x10000
	global_store_b32 v[24:25], v21, off offset:4
	s_cmp_lt_i32 s2, s33
	s_cbranch_scc0 .LBB510_10
.LBB510_3:                              ; =>This Loop Header: Depth=1
                                        ;     Child Loop BB510_5 Depth 2
	v_dual_mov_b32 v11, 0 :: v_dual_mov_b32 v10, 0
	v_dual_mov_b32 v20, 0 :: v_dual_mov_b32 v22, 0
	;; [unrolled: 1-line block ×3, first 2 shown]
	s_wait_xcnt 0x1
	v_dual_mov_b32 v14, 0 :: v_dual_mov_b32 v12, 0
	s_and_b32 vcc_lo, exec_lo, s0
	s_cbranch_vccnz .LBB510_6
; %bb.4:                                ;   in Loop: Header=BB510_3 Depth=1
	s_wait_xcnt 0x0
	v_mad_nc_u64_u32 v[24:25], s4, s2, v[8:9]
	v_mad_nc_u64_u32 v[26:27], s14, s2, v[6:7]
	v_dual_mov_b32 v12, 0 :: v_dual_mov_b32 v14, 0
	v_dual_mov_b32 v18, 0 :: v_dual_mov_b32 v16, 0
	;; [unrolled: 1-line block ×3, first 2 shown]
	s_delay_alu instid0(VALU_DEP_3)
	v_dual_mov_b32 v10, 0 :: v_dual_mov_b32 v11, v12
	s_mov_b64 s[16:17], 0
	v_mad_u32 v25, s5, s2, v25
	v_mad_u32 v27, s15, s2, v27
.LBB510_5:                              ;   Parent Loop BB510_3 Depth=1
                                        ; =>  This Inner Loop Header: Depth=2
	global_load_b64 v[28:29], v[24:25], off
	global_load_b64 v[30:31], v[26:27], off
	s_add_nc_u64 s[16:17], s[16:17], 8
	s_wait_xcnt 0x1
	v_add_nc_u64_e32 v[24:25], s[12:13], v[24:25]
	v_cmp_lt_i64_e64 s18, s[16:17], s[20:21]
	s_wait_xcnt 0x0
	v_add_nc_u64_e32 v[26:27], 64, v[26:27]
	s_wait_loadcnt 0x1
	ds_store_b64 v13, v[28:29]
	s_wait_loadcnt 0x0
	ds_store_b64 v15, v[30:31]
	s_wait_dscnt 0x0
	s_barrier_signal -1
	s_barrier_wait -1
	ds_load_b128 v[28:31], v19
	ds_load_2addr_b64 v[32:35], v17 offset1:16
	ds_load_2addr_b64 v[36:39], v17 offset0:32 offset1:48
	ds_load_b128 v[40:43], v19 offset:16
	ds_load_b128 v[44:47], v19 offset:1024
	;; [unrolled: 1-line block ×3, first 2 shown]
	ds_load_2addr_b64 v[52:55], v17 offset0:64 offset1:80
	ds_load_2addr_b64 v[56:59], v17 offset0:96 offset1:112
	;; [unrolled: 1-line block ×4, first 2 shown]
	ds_load_b128 v[68:71], v19 offset:32
	ds_load_b128 v[72:75], v19 offset:48
	ds_load_2addr_b64 v[76:79], v17 offset0:192 offset1:208
	ds_load_2addr_b64 v[80:83], v17 offset0:224 offset1:240
	ds_load_b128 v[84:87], v19 offset:1056
	ds_load_b128 v[88:91], v19 offset:1072
	s_and_b32 vcc_lo, exec_lo, s18
	s_wait_dscnt 0x0
	s_barrier_signal -1
	s_barrier_wait -1
	v_dual_mul_f32 v21, v29, v33 :: v_dual_mul_f32 v23, v28, v33
	v_dual_mul_f32 v96, v29, v35 :: v_dual_mul_f32 v97, v28, v35
	;; [unrolled: 1-line block ×3, first 2 shown]
	v_dual_mov_b32 v94, v47 :: v_dual_mov_b32 v95, v46
	v_dual_mul_f32 v98, v31, v37 :: v_dual_mul_f32 v99, v30, v37
	v_dual_mul_f32 v100, v31, v39 :: v_dual_mul_f32 v101, v30, v39
	v_pk_mul_f32 v[92:93], v[44:45], v[34:35] op_sel:[1,1] op_sel_hi:[0,1]
	v_dual_fma_f32 v21, v28, v32, -v21 :: v_dual_fmac_f32 v23, v29, v32
	v_dual_fma_f32 v102, v44, v32, -v102 :: v_dual_fmac_f32 v103, v45, v32
	v_pk_mul_f32 v[32:33], v[94:95], v[38:39] op_sel:[0,1]
	v_dual_fma_f32 v96, v28, v34, -v96 :: v_dual_fmac_f32 v97, v29, v34
	v_dual_fma_f32 v98, v30, v36, -v98 :: v_dual_fmac_f32 v99, v31, v36
	;; [unrolled: 1-line block ×3, first 2 shown]
	v_pk_fma_f32 v[28:29], v[44:45], v[34:35], v[92:93] neg_lo:[0,0,1] neg_hi:[0,0,1]
	v_pk_fma_f32 v[30:31], v[44:45], v[34:35], v[92:93] op_sel_hi:[1,0,1]
	v_pk_fma_f32 v[34:35], v[46:47], v[38:39], v[32:33] neg_lo:[0,0,1] neg_hi:[0,0,1]
	v_pk_fma_f32 v[32:33], v[46:47], v[38:39], v[32:33] op_sel_hi:[1,0,1]
	v_dual_mov_b32 v38, v51 :: v_dual_mov_b32 v39, v50
	v_dual_mul_f32 v104, v47, v37 :: v_dual_mul_f32 v105, v46, v37
	v_dual_mul_f32 v106, v41, v53 :: v_dual_mul_f32 v107, v40, v53
	;; [unrolled: 1-line block ×5, first 2 shown]
	v_pk_mul_f32 v[38:39], v[38:39], v[58:59] op_sel:[0,1]
	v_dual_mul_f32 v29, v49, v53 :: v_dual_mul_f32 v30, v48, v53
	v_dual_fma_f32 v92, v46, v36, -v104 :: v_dual_fmac_f32 v105, v47, v36
	v_pk_mul_f32 v[36:37], v[48:49], v[54:55] op_sel:[1,1] op_sel_hi:[0,1]
	v_dual_fma_f32 v95, v40, v52, -v106 :: v_dual_fmac_f32 v107, v41, v52
	v_dual_fma_f32 v104, v40, v54, -v108 :: v_dual_fmac_f32 v109, v41, v54
	;; [unrolled: 1-line block ×4, first 2 shown]
	v_pk_fma_f32 v[42:43], v[50:51], v[58:59], v[38:39] neg_lo:[0,0,1] neg_hi:[0,0,1]
	v_pk_fma_f32 v[38:39], v[50:51], v[58:59], v[38:39] op_sel_hi:[1,0,1]
	v_dual_mul_f32 v35, v69, v61 :: v_dual_mul_f32 v94, v68, v61
	v_dual_mul_f32 v53, v69, v63 :: v_dual_mul_f32 v110, v68, v63
	v_dual_fma_f32 v112, v48, v52, -v29 :: v_dual_fmac_f32 v30, v49, v52
	v_dual_mul_f32 v29, v71, v65 :: v_dual_mul_f32 v38, v71, v67
	v_mul_f32_e32 v114, v70, v67
	v_pk_fma_f32 v[40:41], v[48:49], v[54:55], v[36:37] neg_lo:[0,0,1] neg_hi:[0,0,1]
	v_pk_fma_f32 v[36:37], v[48:49], v[54:55], v[36:37] op_sel_hi:[1,0,1]
	v_dual_mov_b32 v46, v87 :: v_dual_mov_b32 v47, v86
	v_mul_f32_e32 v36, v70, v65
	v_dual_mul_f32 v41, v85, v61 :: v_dual_mul_f32 v61, v84, v61
	v_dual_fma_f32 v115, v68, v60, -v35 :: v_dual_fmac_f32 v94, v69, v60
	v_dual_fma_f32 v68, v68, v62, -v53 :: v_dual_fmac_f32 v110, v69, v62
	s_delay_alu instid0(VALU_DEP_4)
	v_dual_fma_f32 v69, v70, v64, -v29 :: v_dual_fmac_f32 v36, v71, v64
	v_dual_fma_f32 v38, v70, v66, -v38 :: v_dual_mul_f32 v29, v87, v65
	v_dual_mul_f32 v32, v51, v57 :: v_dual_mul_f32 v93, v50, v57
	v_pk_mul_f32 v[46:47], v[46:47], v[66:67] op_sel:[0,1]
	v_dual_fmac_f32 v114, v71, v66 :: v_dual_mul_f32 v65, v86, v65
	v_dual_fma_f32 v70, v84, v60, -v41 :: v_dual_mul_f32 v35, v73, v77
	v_fmac_f32_e32 v61, v85, v60
	v_dual_fma_f32 v60, v86, v64, -v29 :: v_dual_mul_f32 v29, v73, v79
	v_dual_fma_f32 v32, v50, v56, -v32 :: v_dual_fmac_f32 v93, v51, v56
	v_pk_mul_f32 v[44:45], v[84:85], v[62:63] op_sel:[1,1] op_sel_hi:[0,1]
	v_pk_fma_f32 v[50:51], v[86:87], v[66:67], v[46:47] neg_lo:[0,0,1] neg_hi:[0,0,1]
	v_pk_fma_f32 v[46:47], v[86:87], v[66:67], v[46:47] op_sel_hi:[1,0,1]
	v_pk_mul_f32 v[52:53], v[88:89], v[78:79] op_sel:[1,1] op_sel_hi:[0,1]
	v_dual_fmac_f32 v65, v87, v64 :: v_dual_mul_f32 v46, v72, v79
	v_dual_mul_f32 v41, v75, v81 :: v_dual_mul_f32 v43, v75, v83
	v_dual_fma_f32 v67, v72, v78, -v29 :: v_dual_mul_f32 v29, v91, v81
	v_pk_fma_f32 v[48:49], v[84:85], v[62:63], v[44:45] neg_lo:[0,0,1] neg_hi:[0,0,1]
	v_pk_fma_f32 v[44:45], v[84:85], v[62:63], v[44:45] op_sel_hi:[1,0,1]
	v_pk_fma_f32 v[54:55], v[88:89], v[78:79], v[52:53] neg_lo:[0,0,1] neg_hi:[0,0,1]
	v_pk_fma_f32 v[52:53], v[88:89], v[78:79], v[52:53] op_sel_hi:[1,0,1]
	v_mul_f32_e32 v44, v72, v77
	v_dual_mul_f32 v62, v74, v81 :: v_dual_mul_f32 v63, v74, v83
	v_dual_mul_f32 v49, v89, v77 :: v_dual_mul_f32 v64, v88, v77
	s_delay_alu instid0(VALU_DEP_3) | instskip(NEXT) | instid1(VALU_DEP_3)
	v_dual_fma_f32 v66, v72, v76, -v35 :: v_dual_fmac_f32 v44, v73, v76
	v_dual_fma_f32 v71, v74, v80, -v41 :: v_dual_fmac_f32 v62, v75, v80
	v_fma_f32 v72, v74, v82, -v43
	v_dual_mul_f32 v52, v90, v81 :: v_dual_fma_f32 v74, v90, v80, -v29
	v_dual_add_f32 v14, v14, v102 :: v_dual_mov_b32 v29, v31
	v_dual_add_f32 v20, v20, v21 :: v_dual_add_f32 v21, v22, v23
	v_dual_add_f32 v16, v16, v96 :: v_dual_add_f32 v18, v18, v97
	v_dual_add_f32 v12, v12, v103 :: v_dual_mov_b32 v41, v37
	s_delay_alu instid0(VALU_DEP_4) | instskip(SKIP_4) | instid1(VALU_DEP_4)
	v_pk_add_f32 v[10:11], v[10:11], v[28:29]
	v_dual_mov_b32 v35, v33 :: v_dual_mov_b32 v43, v39
	v_dual_add_f32 v20, v20, v98 :: v_dual_add_f32 v21, v21, v99
	v_dual_add_f32 v16, v16, v100 :: v_dual_add_f32 v18, v18, v101
	;; [unrolled: 1-line block ×3, first 2 shown]
	v_pk_add_f32 v[10:11], v[10:11], v[34:35]
	v_dual_mov_b32 v56, v91 :: v_dual_mov_b32 v57, v90
	s_delay_alu instid0(VALU_DEP_4)
	v_dual_add_f32 v20, v20, v95 :: v_dual_add_f32 v18, v18, v109
	v_dual_add_f32 v21, v21, v107 :: v_dual_add_f32 v16, v16, v104
	;; [unrolled: 1-line block ×3, first 2 shown]
	v_pk_add_f32 v[10:11], v[10:11], v[40:41]
	v_dual_fmac_f32 v46, v73, v78 :: v_dual_fma_f32 v73, v88, v76, -v49
	v_pk_mul_f32 v[56:57], v[56:57], v[82:83] op_sel:[0,1]
	v_dual_mov_b32 v49, v45 :: v_dual_mov_b32 v55, v53
	v_dual_add_f32 v20, v20, v106 :: v_dual_add_f32 v21, v21, v111
	v_dual_add_f32 v16, v16, v108 :: v_dual_add_f32 v18, v18, v113
	v_dual_add_f32 v14, v14, v32 :: v_dual_add_f32 v12, v12, v93
	v_pk_add_f32 v[10:11], v[10:11], v[42:43]
	v_pk_fma_f32 v[58:59], v[90:91], v[82:83], v[56:57] neg_lo:[0,0,1] neg_hi:[0,0,1]
	v_pk_fma_f32 v[56:57], v[90:91], v[82:83], v[56:57] op_sel_hi:[1,0,1]
	v_dual_mov_b32 v51, v47 :: v_dual_add_f32 v20, v20, v115
	v_dual_add_f32 v21, v21, v94 :: v_dual_add_f32 v16, v16, v68
	v_add_f32_e32 v18, v18, v110
	v_dual_add_f32 v14, v14, v70 :: v_dual_add_f32 v12, v12, v61
	v_pk_add_f32 v[10:11], v[10:11], v[48:49]
	v_dual_fmac_f32 v63, v75, v82 :: v_dual_fmac_f32 v64, v89, v76
	v_dual_mov_b32 v59, v57 :: v_dual_add_f32 v20, v20, v69
	v_dual_add_f32 v21, v21, v36 :: v_dual_add_f32 v16, v16, v38
	v_add_f32_e32 v14, v14, v60
	v_dual_add_f32 v18, v18, v114 :: v_dual_add_f32 v12, v12, v65
	v_pk_add_f32 v[10:11], v[10:11], v[50:51]
	v_dual_fmac_f32 v52, v91, v80 :: v_dual_add_f32 v20, v20, v66
	v_dual_add_f32 v21, v21, v44 :: v_dual_add_f32 v16, v16, v67
	s_delay_alu instid0(VALU_DEP_4) | instskip(SKIP_2) | instid1(VALU_DEP_4)
	v_add_f32_e32 v18, v18, v46
	v_dual_add_f32 v14, v14, v73 :: v_dual_add_f32 v12, v12, v64
	v_pk_add_f32 v[10:11], v[10:11], v[54:55]
	v_dual_add_f32 v20, v20, v71 :: v_dual_add_f32 v22, v21, v62
	s_delay_alu instid0(VALU_DEP_4) | instskip(NEXT) | instid1(VALU_DEP_4)
	v_dual_add_f32 v16, v16, v72 :: v_dual_add_f32 v18, v18, v63
	v_dual_add_f32 v14, v14, v74 :: v_dual_add_f32 v12, v12, v52
	s_delay_alu instid0(VALU_DEP_4)
	v_pk_add_f32 v[10:11], v[10:11], v[58:59]
	s_cbranch_vccnz .LBB510_5
.LBB510_6:                              ;   in Loop: Header=BB510_3 Depth=1
	s_mul_u64 s[16:17], s[26:27], s[2:3]
	s_and_not1_b32 vcc_lo, exec_lo, s1
	s_lshl_b64 s[16:17], s[16:17], 3
	s_mov_b32 s18, -1
	s_add_nc_u64 s[16:17], s[10:11], s[16:17]
                                        ; implicit-def: $vgpr21
                                        ; implicit-def: $vgpr24_vgpr25
	s_cbranch_vccz .LBB510_8
; %bb.7:                                ;   in Loop: Header=BB510_3 Depth=1
	s_and_not1_b32 vcc_lo, exec_lo, s18
	s_cbranch_vccnz .LBB510_2
	s_branch .LBB510_9
.LBB510_8:                              ;   in Loop: Header=BB510_3 Depth=1
	s_wait_xcnt 0x0
	v_mov_b64_e32 v[24:25], s[28:29]
	v_lshl_add_u64 v[26:27], v[0:1], 3, s[16:17]
	v_mov_b64_e32 v[30:31], s[22:23]
	v_lshlrev_b64_e32 v[28:29], 3, v[2:3]
	s_delay_alu instid0(VALU_DEP_3)
	v_lshl_add_u64 v[36:37], s[24:25], 3, v[26:27]
	v_pk_mul_f32 v[32:33], v[22:23], v[24:25] op_sel_hi:[0,1]
	v_pk_mul_f32 v[34:35], v[18:19], v[24:25] op_sel_hi:[0,1]
	;; [unrolled: 1-line block ×3, first 2 shown]
	v_add_nc_u64_e32 v[26:27], v[26:27], v[28:29]
	v_add_nc_u64_e32 v[28:29], v[36:37], v[28:29]
	v_pk_fma_f32 v[40:41], v[20:21], v[30:31], v[32:33] neg_lo:[0,0,1] neg_hi:[0,0,1]
	v_pk_fma_f32 v[32:33], v[20:21], v[30:31], v[32:33] op_sel_hi:[0,1,1]
	v_pk_fma_f32 v[42:43], v[16:17], v[30:31], v[34:35] neg_lo:[0,0,1] neg_hi:[0,0,1]
	v_pk_fma_f32 v[34:35], v[16:17], v[30:31], v[34:35] op_sel_hi:[0,1,1]
	v_pk_fma_f32 v[36:37], v[14:15], v[30:31], v[38:39] op_sel_hi:[0,1,1]
	s_delay_alu instid0(VALU_DEP_4)
	v_dual_mul_f32 v21, s22, v10 :: v_dual_mov_b32 v41, v33
	v_pk_mul_f32 v[32:33], v[10:11], v[24:25]
	v_add_nc_u64_e32 v[24:25], 0x80, v[28:29]
	v_pk_fma_f32 v[30:31], v[14:15], v[30:31], v[38:39] neg_lo:[0,0,1] neg_hi:[0,0,1]
	v_dual_mov_b32 v43, v35 :: v_dual_mov_b32 v31, v37
	v_fma_f32 v23, -v11, s28, v21
	v_add_f32_e32 v21, v32, v33
	s_clause 0x3
	global_store_b64 v[26:27], v[40:41], off
	global_store_b64 v[26:27], v[42:43], off offset:128
	global_store_b64 v[28:29], v[30:31], off
	global_store_b32 v[28:29], v23, off offset:128
	s_cbranch_execnz .LBB510_2
.LBB510_9:                              ;   in Loop: Header=BB510_3 Depth=1
	s_mul_u64 s[18:19], s[8:9], s[2:3]
	s_wait_xcnt 0x0
	v_lshlrev_b64_e32 v[24:25], 3, v[2:3]
	s_wait_xcnt 0x2
	v_lshl_add_u64 v[26:27], s[18:19], 3, v[4:5]
	v_mov_b64_e32 v[32:33], s[28:29]
	v_mov_b64_e32 v[34:35], s[42:43]
	;; [unrolled: 1-line block ×4, first 2 shown]
	v_lshl_add_u64 v[46:47], v[0:1], 3, s[16:17]
	s_wait_xcnt 0x0
	v_add_nc_u64_e32 v[28:29], v[26:27], v[24:25]
	v_lshl_add_u64 v[26:27], s[6:7], 3, v[26:27]
	v_pk_mul_f32 v[22:23], v[22:23], v[32:33] op_sel_hi:[0,1]
	s_delay_alu instid0(VALU_DEP_2)
	v_add_nc_u64_e32 v[26:27], v[26:27], v[24:25]
	global_load_b64 v[30:31], v[28:29], off
	v_pk_fma_f32 v[42:43], v[20:21], v[36:37], v[22:23] op_sel_hi:[0,1,1]
	v_pk_fma_f32 v[20:21], v[20:21], v[36:37], v[22:23] neg_lo:[0,0,1] neg_hi:[0,0,1]
	s_wait_loadcnt 0x0
	v_pk_mul_f32 v[40:41], v[30:31], v[34:35]
	s_delay_alu instid0(VALU_DEP_1) | instskip(SKIP_3) | instid1(VALU_DEP_4)
	v_pk_fma_f32 v[44:45], v[30:31], v[38:39], v[40:41] op_sel:[0,0,1] op_sel_hi:[1,1,0]
	v_pk_fma_f32 v[22:23], v[30:31], v[38:39], v[40:41] op_sel:[0,0,1] op_sel_hi:[1,1,0] neg_lo:[0,0,1] neg_hi:[0,0,1]
	v_mov_b32_e32 v21, v43
	v_add_nc_u64_e32 v[30:31], v[46:47], v[24:25]
	v_mov_b32_e32 v23, v45
	s_delay_alu instid0(VALU_DEP_1)
	v_pk_add_f32 v[20:21], v[20:21], v[22:23]
	v_pk_mul_f32 v[22:23], v[18:19], v[32:33] op_sel_hi:[0,1]
	global_store_b64 v[30:31], v[20:21], off
	global_load_b64 v[20:21], v[28:29], off offset:128
	v_pk_fma_f32 v[40:41], v[16:17], v[36:37], v[22:23] op_sel_hi:[0,1,1]
	v_pk_fma_f32 v[22:23], v[16:17], v[36:37], v[22:23] neg_lo:[0,0,1] neg_hi:[0,0,1]
	s_wait_loadcnt 0x0
	s_wait_xcnt 0x0
	v_pk_mul_f32 v[28:29], v[20:21], v[34:35]
	s_delay_alu instid0(VALU_DEP_1) | instskip(SKIP_1) | instid1(VALU_DEP_2)
	v_pk_fma_f32 v[42:43], v[20:21], v[38:39], v[28:29] op_sel:[0,0,1] op_sel_hi:[1,1,0]
	v_pk_fma_f32 v[20:21], v[20:21], v[38:39], v[28:29] op_sel:[0,0,1] op_sel_hi:[1,1,0] neg_lo:[0,0,1] neg_hi:[0,0,1]
	v_dual_mov_b32 v23, v41 :: v_dual_mov_b32 v21, v43
	s_delay_alu instid0(VALU_DEP_1)
	v_pk_add_f32 v[20:21], v[22:23], v[20:21]
	v_pk_mul_f32 v[22:23], v[12:13], v[32:33] op_sel_hi:[0,1]
	global_store_b64 v[30:31], v[20:21], off offset:128
	global_load_b64 v[20:21], v[26:27], off
	v_pk_fma_f32 v[30:31], v[14:15], v[36:37], v[22:23] op_sel_hi:[0,1,1]
	v_pk_fma_f32 v[22:23], v[14:15], v[36:37], v[22:23] neg_lo:[0,0,1] neg_hi:[0,0,1]
	v_mul_f32_e32 v14, s22, v10
	s_delay_alu instid0(VALU_DEP_1) | instskip(SKIP_3) | instid1(VALU_DEP_2)
	v_fma_f32 v14, -v11, s28, v14
	s_wait_loadcnt 0x0
	v_pk_mul_f32 v[28:29], v[20:21], v[34:35]
	v_lshl_add_u64 v[34:35], s[24:25], 3, v[46:47]
	v_pk_fma_f32 v[32:33], v[20:21], v[38:39], v[28:29] op_sel:[0,0,1] op_sel_hi:[1,1,0]
	v_pk_fma_f32 v[20:21], v[20:21], v[38:39], v[28:29] op_sel:[0,0,1] op_sel_hi:[1,1,0] neg_lo:[0,0,1] neg_hi:[0,0,1]
	v_mov_b32_e32 v23, v31
	s_delay_alu instid0(VALU_DEP_4) | instskip(NEXT) | instid1(VALU_DEP_4)
	v_add_nc_u64_e32 v[28:29], v[34:35], v[24:25]
	v_dual_mov_b32 v24, v10 :: v_dual_mov_b32 v21, v33
	s_delay_alu instid0(VALU_DEP_1)
	v_pk_add_f32 v[20:21], v[22:23], v[20:21]
	v_mov_b64_e32 v[22:23], s[38:39]
	global_store_b64 v[28:29], v[20:21], off
	global_load_b64 v[20:21], v[26:27], off offset:128
	s_wait_loadcnt 0x0
	v_dual_mul_f32 v12, s35, v21 :: v_dual_mov_b32 v25, v20
	s_delay_alu instid0(VALU_DEP_1) | instskip(NEXT) | instid1(VALU_DEP_1)
	v_fma_f32 v12, v20, s34, -v12
	v_dual_mov_b32 v20, v11 :: v_dual_add_f32 v12, v14, v12
	s_delay_alu instid0(VALU_DEP_1) | instskip(SKIP_4) | instid1(VALU_DEP_2)
	v_pk_mul_f32 v[20:21], v[20:21], v[22:23]
	v_mov_b64_e32 v[22:23], s[36:37]
	global_store_b32 v[28:29], v12, off offset:128
	v_pk_fma_f32 v[10:11], v[24:25], v[22:23], v[20:21]
	v_add_nc_u64_e32 v[24:25], 0x80, v[28:29]
	v_add_f32_e32 v21, v10, v11
	s_branch .LBB510_2
.LBB510_10:
	s_sendmsg sendmsg(MSG_DEALLOC_VGPRS)
	s_endpgm
	.section	.rodata,"a",@progbits
	.p2align	6, 0x0
	.amdhsa_kernel _ZN12_GLOBAL__N_127rocblas_gemm_batched_kernelI19rocblas_complex_numIfELi16ELi16ELi32ELi32ELi8ELi32ELi8ELi8ELi32ELc78ELc78EKS2_S3_S2_EEvlllT_PT11_llS6_llS4_PT12_llPT13_lli
		.amdhsa_group_segment_fixed_size 4096
		.amdhsa_private_segment_fixed_size 0
		.amdhsa_kernarg_size 140
		.amdhsa_user_sgpr_count 2
		.amdhsa_user_sgpr_dispatch_ptr 0
		.amdhsa_user_sgpr_queue_ptr 0
		.amdhsa_user_sgpr_kernarg_segment_ptr 1
		.amdhsa_user_sgpr_dispatch_id 0
		.amdhsa_user_sgpr_kernarg_preload_length 0
		.amdhsa_user_sgpr_kernarg_preload_offset 0
		.amdhsa_user_sgpr_private_segment_size 0
		.amdhsa_wavefront_size32 1
		.amdhsa_uses_dynamic_stack 0
		.amdhsa_enable_private_segment 0
		.amdhsa_system_sgpr_workgroup_id_x 1
		.amdhsa_system_sgpr_workgroup_id_y 1
		.amdhsa_system_sgpr_workgroup_id_z 1
		.amdhsa_system_sgpr_workgroup_info 0
		.amdhsa_system_vgpr_workitem_id 1
		.amdhsa_next_free_vgpr 116
		.amdhsa_next_free_sgpr 44
		.amdhsa_named_barrier_count 0
		.amdhsa_reserve_vcc 1
		.amdhsa_float_round_mode_32 0
		.amdhsa_float_round_mode_16_64 0
		.amdhsa_float_denorm_mode_32 3
		.amdhsa_float_denorm_mode_16_64 3
		.amdhsa_fp16_overflow 0
		.amdhsa_memory_ordered 1
		.amdhsa_forward_progress 1
		.amdhsa_inst_pref_size 22
		.amdhsa_round_robin_scheduling 0
		.amdhsa_exception_fp_ieee_invalid_op 0
		.amdhsa_exception_fp_denorm_src 0
		.amdhsa_exception_fp_ieee_div_zero 0
		.amdhsa_exception_fp_ieee_overflow 0
		.amdhsa_exception_fp_ieee_underflow 0
		.amdhsa_exception_fp_ieee_inexact 0
		.amdhsa_exception_int_div_zero 0
	.end_amdhsa_kernel
	.section	.text._ZN12_GLOBAL__N_127rocblas_gemm_batched_kernelI19rocblas_complex_numIfELi16ELi16ELi32ELi32ELi8ELi32ELi8ELi8ELi32ELc78ELc78EKS2_S3_S2_EEvlllT_PT11_llS6_llS4_PT12_llPT13_lli,"axG",@progbits,_ZN12_GLOBAL__N_127rocblas_gemm_batched_kernelI19rocblas_complex_numIfELi16ELi16ELi32ELi32ELi8ELi32ELi8ELi8ELi32ELc78ELc78EKS2_S3_S2_EEvlllT_PT11_llS6_llS4_PT12_llPT13_lli,comdat
.Lfunc_end510:
	.size	_ZN12_GLOBAL__N_127rocblas_gemm_batched_kernelI19rocblas_complex_numIfELi16ELi16ELi32ELi32ELi8ELi32ELi8ELi8ELi32ELc78ELc78EKS2_S3_S2_EEvlllT_PT11_llS6_llS4_PT12_llPT13_lli, .Lfunc_end510-_ZN12_GLOBAL__N_127rocblas_gemm_batched_kernelI19rocblas_complex_numIfELi16ELi16ELi32ELi32ELi8ELi32ELi8ELi8ELi32ELc78ELc78EKS2_S3_S2_EEvlllT_PT11_llS6_llS4_PT12_llPT13_lli
                                        ; -- End function
	.set _ZN12_GLOBAL__N_127rocblas_gemm_batched_kernelI19rocblas_complex_numIfELi16ELi16ELi32ELi32ELi8ELi32ELi8ELi8ELi32ELc78ELc78EKS2_S3_S2_EEvlllT_PT11_llS6_llS4_PT12_llPT13_lli.num_vgpr, 116
	.set _ZN12_GLOBAL__N_127rocblas_gemm_batched_kernelI19rocblas_complex_numIfELi16ELi16ELi32ELi32ELi8ELi32ELi8ELi8ELi32ELc78ELc78EKS2_S3_S2_EEvlllT_PT11_llS6_llS4_PT12_llPT13_lli.num_agpr, 0
	.set _ZN12_GLOBAL__N_127rocblas_gemm_batched_kernelI19rocblas_complex_numIfELi16ELi16ELi32ELi32ELi8ELi32ELi8ELi8ELi32ELc78ELc78EKS2_S3_S2_EEvlllT_PT11_llS6_llS4_PT12_llPT13_lli.numbered_sgpr, 44
	.set _ZN12_GLOBAL__N_127rocblas_gemm_batched_kernelI19rocblas_complex_numIfELi16ELi16ELi32ELi32ELi8ELi32ELi8ELi8ELi32ELc78ELc78EKS2_S3_S2_EEvlllT_PT11_llS6_llS4_PT12_llPT13_lli.num_named_barrier, 0
	.set _ZN12_GLOBAL__N_127rocblas_gemm_batched_kernelI19rocblas_complex_numIfELi16ELi16ELi32ELi32ELi8ELi32ELi8ELi8ELi32ELc78ELc78EKS2_S3_S2_EEvlllT_PT11_llS6_llS4_PT12_llPT13_lli.private_seg_size, 0
	.set _ZN12_GLOBAL__N_127rocblas_gemm_batched_kernelI19rocblas_complex_numIfELi16ELi16ELi32ELi32ELi8ELi32ELi8ELi8ELi32ELc78ELc78EKS2_S3_S2_EEvlllT_PT11_llS6_llS4_PT12_llPT13_lli.uses_vcc, 1
	.set _ZN12_GLOBAL__N_127rocblas_gemm_batched_kernelI19rocblas_complex_numIfELi16ELi16ELi32ELi32ELi8ELi32ELi8ELi8ELi32ELc78ELc78EKS2_S3_S2_EEvlllT_PT11_llS6_llS4_PT12_llPT13_lli.uses_flat_scratch, 0
	.set _ZN12_GLOBAL__N_127rocblas_gemm_batched_kernelI19rocblas_complex_numIfELi16ELi16ELi32ELi32ELi8ELi32ELi8ELi8ELi32ELc78ELc78EKS2_S3_S2_EEvlllT_PT11_llS6_llS4_PT12_llPT13_lli.has_dyn_sized_stack, 0
	.set _ZN12_GLOBAL__N_127rocblas_gemm_batched_kernelI19rocblas_complex_numIfELi16ELi16ELi32ELi32ELi8ELi32ELi8ELi8ELi32ELc78ELc78EKS2_S3_S2_EEvlllT_PT11_llS6_llS4_PT12_llPT13_lli.has_recursion, 0
	.set _ZN12_GLOBAL__N_127rocblas_gemm_batched_kernelI19rocblas_complex_numIfELi16ELi16ELi32ELi32ELi8ELi32ELi8ELi8ELi32ELc78ELc78EKS2_S3_S2_EEvlllT_PT11_llS6_llS4_PT12_llPT13_lli.has_indirect_call, 0
	.section	.AMDGPU.csdata,"",@progbits
; Kernel info:
; codeLenInByte = 2812
; TotalNumSgprs: 46
; NumVgprs: 116
; ScratchSize: 0
; MemoryBound: 0
; FloatMode: 240
; IeeeMode: 1
; LDSByteSize: 4096 bytes/workgroup (compile time only)
; SGPRBlocks: 0
; VGPRBlocks: 7
; NumSGPRsForWavesPerEU: 46
; NumVGPRsForWavesPerEU: 116
; NamedBarCnt: 0
; Occupancy: 8
; WaveLimiterHint : 1
; COMPUTE_PGM_RSRC2:SCRATCH_EN: 0
; COMPUTE_PGM_RSRC2:USER_SGPR: 2
; COMPUTE_PGM_RSRC2:TRAP_HANDLER: 0
; COMPUTE_PGM_RSRC2:TGID_X_EN: 1
; COMPUTE_PGM_RSRC2:TGID_Y_EN: 1
; COMPUTE_PGM_RSRC2:TGID_Z_EN: 1
; COMPUTE_PGM_RSRC2:TIDIG_COMP_CNT: 1
	.section	.text._ZN12_GLOBAL__N_127rocblas_gemm_batched_kernelI19rocblas_complex_numIfELi16ELi16ELi32ELi32ELi8ELi32ELi8ELi8ELi32ELc84ELc78EKS2_S3_S2_EEvlllT_PT11_llS6_llS4_PT12_llPT13_lli,"axG",@progbits,_ZN12_GLOBAL__N_127rocblas_gemm_batched_kernelI19rocblas_complex_numIfELi16ELi16ELi32ELi32ELi8ELi32ELi8ELi8ELi32ELc84ELc78EKS2_S3_S2_EEvlllT_PT11_llS6_llS4_PT12_llPT13_lli,comdat
	.globl	_ZN12_GLOBAL__N_127rocblas_gemm_batched_kernelI19rocblas_complex_numIfELi16ELi16ELi32ELi32ELi8ELi32ELi8ELi8ELi32ELc84ELc78EKS2_S3_S2_EEvlllT_PT11_llS6_llS4_PT12_llPT13_lli ; -- Begin function _ZN12_GLOBAL__N_127rocblas_gemm_batched_kernelI19rocblas_complex_numIfELi16ELi16ELi32ELi32ELi8ELi32ELi8ELi8ELi32ELc84ELc78EKS2_S3_S2_EEvlllT_PT11_llS6_llS4_PT12_llPT13_lli
	.p2align	8
	.type	_ZN12_GLOBAL__N_127rocblas_gemm_batched_kernelI19rocblas_complex_numIfELi16ELi16ELi32ELi32ELi8ELi32ELi8ELi8ELi32ELc84ELc78EKS2_S3_S2_EEvlllT_PT11_llS6_llS4_PT12_llPT13_lli,@function
_ZN12_GLOBAL__N_127rocblas_gemm_batched_kernelI19rocblas_complex_numIfELi16ELi16ELi32ELi32ELi8ELi32ELi8ELi8ELi32ELc84ELc78EKS2_S3_S2_EEvlllT_PT11_llS6_llS4_PT12_llPT13_lli: ; @_ZN12_GLOBAL__N_127rocblas_gemm_batched_kernelI19rocblas_complex_numIfELi16ELi16ELi32ELi32ELi8ELi32ELi8ELi8ELi32ELc84ELc78EKS2_S3_S2_EEvlllT_PT11_llS6_llS4_PT12_llPT13_lli
; %bb.0:
	s_load_b32 s33, s[0:1], 0x88
	s_bfe_u32 s2, ttmp6, 0x40014
	s_lshr_b32 s3, ttmp7, 16
	s_add_co_i32 s2, s2, 1
	s_bfe_u32 s4, ttmp6, 0x40008
	s_mul_i32 s2, s3, s2
	s_getreg_b32 s24, hwreg(HW_REG_IB_STS2, 6, 4)
	s_add_co_i32 s4, s4, s2
	s_cmp_eq_u32 s24, 0
	s_cselect_b32 s2, s3, s4
	s_mov_b32 s3, 0
	s_wait_kmcnt 0x0
	s_cmp_ge_i32 s2, s33
	s_cbranch_scc1 .LBB511_10
; %bb.1:
	v_bfe_u32 v4, v0, 10, 10
	v_and_b32_e32 v2, 0x3ff, v0
	s_bfe_u32 s25, ttmp6, 0x4000c
	s_bfe_u32 s27, ttmp6, 0x40010
	s_clause 0x3
	s_load_b256 s[12:19], s[0:1], 0x20
	s_load_b128 s[20:23], s[0:1], 0x78
	s_load_b128 s[28:31], s[0:1], 0x40
	s_load_b64 s[34:35], s[0:1], 0x50
	s_add_co_i32 s25, s25, 1
	s_and_b32 s36, ttmp7, 0xffff
	s_add_co_i32 s27, s27, 1
	v_lshl_add_u32 v3, v4, 4, v2
	v_mov_b32_e32 v5, 0
	s_and_b32 s26, ttmp6, 15
	s_mul_i32 s25, ttmp9, s25
	s_mul_i32 s27, s36, s27
	s_bfe_u32 s37, ttmp6, 0x40004
	s_add_co_i32 s26, s26, s25
	s_add_co_i32 s37, s37, s27
	s_load_b256 s[4:11], s[0:1], 0x58
	s_cmp_eq_u32 s24, 0
	v_dual_lshrrev_b32 v6, 3, v3 :: v_dual_bitop2_b32 v11, 31, v3 bitop3:0x40
	v_mov_b32_e32 v7, v5
	s_cselect_b32 s24, ttmp9, s26
	s_cselect_b32 s26, s36, s37
	s_ashr_i32 s25, s24, 31
	s_lshl_b32 s36, s26, 5
	s_mov_b32 s37, s3
	s_lshl_b64 s[38:39], s[24:25], 5
	v_add_nc_u64_e32 v[8:9], s[36:37], v[6:7]
	v_dual_lshlrev_b32 v7, 3, v0 :: v_dual_bitop2_b32 v0, s38, v11 bitop3:0x54
	v_mov_b32_e32 v1, s39
	v_add_nc_u64_e32 v[16:17], s[36:37], v[4:5]
	s_load_b128 s[24:27], s[0:1], 0x10
	s_delay_alu instid0(VALU_DEP_3)
	v_and_b32_e32 v10, 56, v7
	s_wait_kmcnt 0x0
	v_mul_u64_e32 v[8:9], s[28:29], v[8:9]
	v_mul_u64_e32 v[20:21], s[14:15], v[0:1]
	v_dual_lshrrev_b32 v7, 5, v3 :: v_dual_mov_b32 v3, v5
	v_lshlrev_b32_e32 v0, 3, v11
	v_lshl_or_b32 v1, v6, 6, v10
	v_mul_u64_e32 v[22:23], s[6:7], v[16:17]
	s_or_b32 s0, s34, s35
	v_lshl_add_u32 v19, v4, 6, 0x800
	v_lshl_or_b32 v13, v7, 8, v0
	v_add_nc_u32_e32 v15, 0x800, v1
	v_mul_u64_e32 v[0:1], s[20:21], v[16:17]
	s_bitset0_b32 s0, 31
	v_dual_mov_b32 v11, v5 :: v_dual_lshlrev_b32 v4, 3, v7
	s_cmp_eq_u32 s0, 0
	v_lshlrev_b32_e32 v17, 3, v2
	v_add_nc_u64_e32 v[2:3], s[38:39], v[2:3]
	v_cmp_gt_i64_e64 s0, s[24:25], 0
	s_cselect_b32 s1, -1, 0
	s_mov_b32 s14, s27
	s_mov_b32 s15, s26
	s_lshl_b64 s[20:21], s[20:21], 4
	s_lshl_b64 s[6:7], s[6:7], 4
	s_mov_b32 s28, s27
	s_mov_b32 s29, s35
	;; [unrolled: 1-line block ×8, first 2 shown]
	v_lshl_add_u64 v[6:7], v[8:9], 3, v[10:11]
	v_lshl_add_u64 v[4:5], v[20:21], 3, v[4:5]
	v_cndmask_b32_e64 v10, 0, 1, s0
	s_delay_alu instid0(VALU_DEP_3) | instskip(NEXT) | instid1(VALU_DEP_3)
	v_add_nc_u64_e32 v[6:7], s[18:19], v[6:7]
	v_add_nc_u64_e32 v[4:5], s[12:13], v[4:5]
	v_lshl_add_u64 v[8:9], v[22:23], 3, s[4:5]
	s_delay_alu instid0(VALU_DEP_4)
	v_cmp_ne_u32_e64 s0, 1, v10
	s_lshl_b64 s[4:5], s[16:17], 3
	s_lshl_b64 s[12:13], s[30:31], 3
	s_branch .LBB511_3
.LBB511_2:                              ;   in Loop: Header=BB511_3 Depth=1
	s_add_co_i32 s2, s2, 0x10000
	global_store_b32 v[24:25], v21, off offset:4
	s_cmp_lt_i32 s2, s33
	s_cbranch_scc0 .LBB511_10
.LBB511_3:                              ; =>This Loop Header: Depth=1
                                        ;     Child Loop BB511_5 Depth 2
	v_dual_mov_b32 v11, 0 :: v_dual_mov_b32 v10, 0
	v_dual_mov_b32 v20, 0 :: v_dual_mov_b32 v22, 0
	;; [unrolled: 1-line block ×3, first 2 shown]
	s_wait_xcnt 0x1
	v_dual_mov_b32 v14, 0 :: v_dual_mov_b32 v12, 0
	s_and_b32 vcc_lo, exec_lo, s0
	s_cbranch_vccnz .LBB511_6
; %bb.4:                                ;   in Loop: Header=BB511_3 Depth=1
	s_wait_xcnt 0x0
	v_mad_nc_u64_u32 v[24:25], s4, s2, v[4:5]
	v_mad_nc_u64_u32 v[26:27], s12, s2, v[6:7]
	v_dual_mov_b32 v12, 0 :: v_dual_mov_b32 v14, 0
	v_dual_mov_b32 v18, 0 :: v_dual_mov_b32 v16, 0
	;; [unrolled: 1-line block ×3, first 2 shown]
	s_delay_alu instid0(VALU_DEP_3)
	v_dual_mov_b32 v10, 0 :: v_dual_mov_b32 v11, v12
	s_mov_b64 s[16:17], 0
	v_mad_u32 v25, s5, s2, v25
	v_mad_u32 v27, s13, s2, v27
.LBB511_5:                              ;   Parent Loop BB511_3 Depth=1
                                        ; =>  This Inner Loop Header: Depth=2
	global_load_b64 v[28:29], v[24:25], off
	global_load_b64 v[30:31], v[26:27], off
	s_add_nc_u64 s[16:17], s[16:17], 8
	s_wait_xcnt 0x1
	v_add_nc_u64_e32 v[24:25], 64, v[24:25]
	v_cmp_lt_i64_e64 s18, s[16:17], s[24:25]
	s_wait_xcnt 0x0
	v_add_nc_u64_e32 v[26:27], 64, v[26:27]
	s_wait_loadcnt 0x1
	ds_store_b64 v13, v[28:29]
	s_wait_loadcnt 0x0
	ds_store_b64 v15, v[30:31]
	s_wait_dscnt 0x0
	s_barrier_signal -1
	s_barrier_wait -1
	ds_load_b128 v[28:31], v19
	ds_load_2addr_b64 v[32:35], v17 offset1:16
	ds_load_2addr_b64 v[36:39], v17 offset0:32 offset1:48
	ds_load_b128 v[40:43], v19 offset:16
	ds_load_b128 v[44:47], v19 offset:1024
	;; [unrolled: 1-line block ×3, first 2 shown]
	ds_load_2addr_b64 v[52:55], v17 offset0:64 offset1:80
	ds_load_2addr_b64 v[56:59], v17 offset0:96 offset1:112
	;; [unrolled: 1-line block ×4, first 2 shown]
	ds_load_b128 v[68:71], v19 offset:32
	ds_load_b128 v[72:75], v19 offset:48
	ds_load_2addr_b64 v[76:79], v17 offset0:192 offset1:208
	ds_load_2addr_b64 v[80:83], v17 offset0:224 offset1:240
	ds_load_b128 v[84:87], v19 offset:1056
	ds_load_b128 v[88:91], v19 offset:1072
	s_and_b32 vcc_lo, exec_lo, s18
	s_wait_dscnt 0x0
	s_barrier_signal -1
	s_barrier_wait -1
	v_dual_mul_f32 v21, v29, v33 :: v_dual_mul_f32 v23, v28, v33
	v_dual_mul_f32 v96, v29, v35 :: v_dual_mul_f32 v97, v28, v35
	;; [unrolled: 1-line block ×3, first 2 shown]
	v_dual_mov_b32 v94, v47 :: v_dual_mov_b32 v95, v46
	v_dual_mul_f32 v98, v31, v37 :: v_dual_mul_f32 v99, v30, v37
	v_dual_mul_f32 v100, v31, v39 :: v_dual_mul_f32 v101, v30, v39
	v_pk_mul_f32 v[92:93], v[44:45], v[34:35] op_sel:[1,1] op_sel_hi:[0,1]
	v_dual_fma_f32 v21, v28, v32, -v21 :: v_dual_fmac_f32 v23, v29, v32
	v_dual_fma_f32 v102, v44, v32, -v102 :: v_dual_fmac_f32 v103, v45, v32
	v_pk_mul_f32 v[32:33], v[94:95], v[38:39] op_sel:[0,1]
	v_dual_fma_f32 v96, v28, v34, -v96 :: v_dual_fmac_f32 v97, v29, v34
	v_dual_fma_f32 v98, v30, v36, -v98 :: v_dual_fmac_f32 v99, v31, v36
	v_dual_fma_f32 v100, v30, v38, -v100 :: v_dual_fmac_f32 v101, v31, v38
	v_pk_fma_f32 v[28:29], v[44:45], v[34:35], v[92:93] neg_lo:[0,0,1] neg_hi:[0,0,1]
	v_pk_fma_f32 v[30:31], v[44:45], v[34:35], v[92:93] op_sel_hi:[1,0,1]
	v_pk_fma_f32 v[34:35], v[46:47], v[38:39], v[32:33] neg_lo:[0,0,1] neg_hi:[0,0,1]
	v_pk_fma_f32 v[32:33], v[46:47], v[38:39], v[32:33] op_sel_hi:[1,0,1]
	v_dual_mov_b32 v38, v51 :: v_dual_mov_b32 v39, v50
	v_dual_mul_f32 v104, v47, v37 :: v_dual_mul_f32 v105, v46, v37
	v_dual_mul_f32 v106, v41, v53 :: v_dual_mul_f32 v107, v40, v53
	;; [unrolled: 1-line block ×5, first 2 shown]
	v_pk_mul_f32 v[38:39], v[38:39], v[58:59] op_sel:[0,1]
	v_dual_mul_f32 v29, v49, v53 :: v_dual_mul_f32 v30, v48, v53
	v_dual_fma_f32 v92, v46, v36, -v104 :: v_dual_fmac_f32 v105, v47, v36
	v_pk_mul_f32 v[36:37], v[48:49], v[54:55] op_sel:[1,1] op_sel_hi:[0,1]
	v_dual_fma_f32 v95, v40, v52, -v106 :: v_dual_fmac_f32 v107, v41, v52
	v_dual_fma_f32 v104, v40, v54, -v108 :: v_dual_fmac_f32 v109, v41, v54
	;; [unrolled: 1-line block ×4, first 2 shown]
	v_pk_fma_f32 v[42:43], v[50:51], v[58:59], v[38:39] neg_lo:[0,0,1] neg_hi:[0,0,1]
	v_pk_fma_f32 v[38:39], v[50:51], v[58:59], v[38:39] op_sel_hi:[1,0,1]
	v_dual_mul_f32 v35, v69, v61 :: v_dual_mul_f32 v94, v68, v61
	v_dual_mul_f32 v53, v69, v63 :: v_dual_mul_f32 v110, v68, v63
	v_dual_fma_f32 v112, v48, v52, -v29 :: v_dual_fmac_f32 v30, v49, v52
	v_dual_mul_f32 v29, v71, v65 :: v_dual_mul_f32 v38, v71, v67
	v_mul_f32_e32 v114, v70, v67
	v_pk_fma_f32 v[40:41], v[48:49], v[54:55], v[36:37] neg_lo:[0,0,1] neg_hi:[0,0,1]
	v_pk_fma_f32 v[36:37], v[48:49], v[54:55], v[36:37] op_sel_hi:[1,0,1]
	v_dual_mov_b32 v46, v87 :: v_dual_mov_b32 v47, v86
	v_mul_f32_e32 v36, v70, v65
	v_dual_mul_f32 v41, v85, v61 :: v_dual_mul_f32 v61, v84, v61
	v_dual_fma_f32 v115, v68, v60, -v35 :: v_dual_fmac_f32 v94, v69, v60
	v_dual_fma_f32 v68, v68, v62, -v53 :: v_dual_fmac_f32 v110, v69, v62
	s_delay_alu instid0(VALU_DEP_4)
	v_dual_fma_f32 v69, v70, v64, -v29 :: v_dual_fmac_f32 v36, v71, v64
	v_dual_fma_f32 v38, v70, v66, -v38 :: v_dual_mul_f32 v29, v87, v65
	v_dual_mul_f32 v32, v51, v57 :: v_dual_mul_f32 v93, v50, v57
	v_pk_mul_f32 v[46:47], v[46:47], v[66:67] op_sel:[0,1]
	v_dual_fmac_f32 v114, v71, v66 :: v_dual_mul_f32 v65, v86, v65
	v_dual_fma_f32 v70, v84, v60, -v41 :: v_dual_mul_f32 v35, v73, v77
	v_fmac_f32_e32 v61, v85, v60
	v_dual_fma_f32 v60, v86, v64, -v29 :: v_dual_mul_f32 v29, v73, v79
	v_dual_fma_f32 v32, v50, v56, -v32 :: v_dual_fmac_f32 v93, v51, v56
	v_pk_mul_f32 v[44:45], v[84:85], v[62:63] op_sel:[1,1] op_sel_hi:[0,1]
	v_pk_fma_f32 v[50:51], v[86:87], v[66:67], v[46:47] neg_lo:[0,0,1] neg_hi:[0,0,1]
	v_pk_fma_f32 v[46:47], v[86:87], v[66:67], v[46:47] op_sel_hi:[1,0,1]
	v_pk_mul_f32 v[52:53], v[88:89], v[78:79] op_sel:[1,1] op_sel_hi:[0,1]
	v_dual_fmac_f32 v65, v87, v64 :: v_dual_mul_f32 v46, v72, v79
	v_dual_mul_f32 v41, v75, v81 :: v_dual_mul_f32 v43, v75, v83
	v_dual_fma_f32 v67, v72, v78, -v29 :: v_dual_mul_f32 v29, v91, v81
	v_pk_fma_f32 v[48:49], v[84:85], v[62:63], v[44:45] neg_lo:[0,0,1] neg_hi:[0,0,1]
	v_pk_fma_f32 v[44:45], v[84:85], v[62:63], v[44:45] op_sel_hi:[1,0,1]
	v_pk_fma_f32 v[54:55], v[88:89], v[78:79], v[52:53] neg_lo:[0,0,1] neg_hi:[0,0,1]
	v_pk_fma_f32 v[52:53], v[88:89], v[78:79], v[52:53] op_sel_hi:[1,0,1]
	v_mul_f32_e32 v44, v72, v77
	v_dual_mul_f32 v62, v74, v81 :: v_dual_mul_f32 v63, v74, v83
	v_dual_mul_f32 v49, v89, v77 :: v_dual_mul_f32 v64, v88, v77
	s_delay_alu instid0(VALU_DEP_3) | instskip(NEXT) | instid1(VALU_DEP_3)
	v_dual_fma_f32 v66, v72, v76, -v35 :: v_dual_fmac_f32 v44, v73, v76
	v_dual_fma_f32 v71, v74, v80, -v41 :: v_dual_fmac_f32 v62, v75, v80
	v_fma_f32 v72, v74, v82, -v43
	v_dual_mul_f32 v52, v90, v81 :: v_dual_fma_f32 v74, v90, v80, -v29
	v_dual_add_f32 v14, v14, v102 :: v_dual_mov_b32 v29, v31
	v_dual_add_f32 v20, v20, v21 :: v_dual_add_f32 v21, v22, v23
	v_dual_add_f32 v16, v16, v96 :: v_dual_add_f32 v18, v18, v97
	v_dual_add_f32 v12, v12, v103 :: v_dual_mov_b32 v41, v37
	s_delay_alu instid0(VALU_DEP_4) | instskip(SKIP_4) | instid1(VALU_DEP_4)
	v_pk_add_f32 v[10:11], v[10:11], v[28:29]
	v_dual_mov_b32 v35, v33 :: v_dual_mov_b32 v43, v39
	v_dual_add_f32 v20, v20, v98 :: v_dual_add_f32 v21, v21, v99
	v_dual_add_f32 v16, v16, v100 :: v_dual_add_f32 v18, v18, v101
	;; [unrolled: 1-line block ×3, first 2 shown]
	v_pk_add_f32 v[10:11], v[10:11], v[34:35]
	v_dual_mov_b32 v56, v91 :: v_dual_mov_b32 v57, v90
	s_delay_alu instid0(VALU_DEP_4)
	v_dual_add_f32 v20, v20, v95 :: v_dual_add_f32 v18, v18, v109
	v_dual_add_f32 v21, v21, v107 :: v_dual_add_f32 v16, v16, v104
	;; [unrolled: 1-line block ×3, first 2 shown]
	v_pk_add_f32 v[10:11], v[10:11], v[40:41]
	v_dual_fmac_f32 v46, v73, v78 :: v_dual_fma_f32 v73, v88, v76, -v49
	v_pk_mul_f32 v[56:57], v[56:57], v[82:83] op_sel:[0,1]
	v_dual_mov_b32 v49, v45 :: v_dual_mov_b32 v55, v53
	v_dual_add_f32 v20, v20, v106 :: v_dual_add_f32 v21, v21, v111
	v_dual_add_f32 v16, v16, v108 :: v_dual_add_f32 v18, v18, v113
	;; [unrolled: 1-line block ×3, first 2 shown]
	v_pk_add_f32 v[10:11], v[10:11], v[42:43]
	v_pk_fma_f32 v[58:59], v[90:91], v[82:83], v[56:57] neg_lo:[0,0,1] neg_hi:[0,0,1]
	v_pk_fma_f32 v[56:57], v[90:91], v[82:83], v[56:57] op_sel_hi:[1,0,1]
	v_dual_mov_b32 v51, v47 :: v_dual_add_f32 v20, v20, v115
	v_dual_add_f32 v21, v21, v94 :: v_dual_add_f32 v16, v16, v68
	v_add_f32_e32 v18, v18, v110
	v_dual_add_f32 v14, v14, v70 :: v_dual_add_f32 v12, v12, v61
	v_pk_add_f32 v[10:11], v[10:11], v[48:49]
	v_dual_fmac_f32 v63, v75, v82 :: v_dual_fmac_f32 v64, v89, v76
	v_dual_mov_b32 v59, v57 :: v_dual_add_f32 v20, v20, v69
	v_dual_add_f32 v21, v21, v36 :: v_dual_add_f32 v16, v16, v38
	v_add_f32_e32 v14, v14, v60
	v_dual_add_f32 v18, v18, v114 :: v_dual_add_f32 v12, v12, v65
	v_pk_add_f32 v[10:11], v[10:11], v[50:51]
	v_dual_fmac_f32 v52, v91, v80 :: v_dual_add_f32 v20, v20, v66
	v_dual_add_f32 v21, v21, v44 :: v_dual_add_f32 v16, v16, v67
	s_delay_alu instid0(VALU_DEP_4) | instskip(SKIP_2) | instid1(VALU_DEP_4)
	v_add_f32_e32 v18, v18, v46
	v_dual_add_f32 v14, v14, v73 :: v_dual_add_f32 v12, v12, v64
	v_pk_add_f32 v[10:11], v[10:11], v[54:55]
	v_dual_add_f32 v20, v20, v71 :: v_dual_add_f32 v22, v21, v62
	s_delay_alu instid0(VALU_DEP_4) | instskip(NEXT) | instid1(VALU_DEP_4)
	v_dual_add_f32 v16, v16, v72 :: v_dual_add_f32 v18, v18, v63
	v_dual_add_f32 v14, v14, v74 :: v_dual_add_f32 v12, v12, v52
	s_delay_alu instid0(VALU_DEP_4)
	v_pk_add_f32 v[10:11], v[10:11], v[58:59]
	s_cbranch_vccnz .LBB511_5
.LBB511_6:                              ;   in Loop: Header=BB511_3 Depth=1
	s_mul_u64 s[16:17], s[22:23], s[2:3]
	s_and_not1_b32 vcc_lo, exec_lo, s1
	s_lshl_b64 s[16:17], s[16:17], 3
	s_mov_b32 s18, -1
	s_add_nc_u64 s[16:17], s[10:11], s[16:17]
                                        ; implicit-def: $vgpr21
                                        ; implicit-def: $vgpr24_vgpr25
	s_cbranch_vccz .LBB511_8
; %bb.7:                                ;   in Loop: Header=BB511_3 Depth=1
	s_and_not1_b32 vcc_lo, exec_lo, s18
	s_cbranch_vccnz .LBB511_2
	s_branch .LBB511_9
.LBB511_8:                              ;   in Loop: Header=BB511_3 Depth=1
	s_wait_xcnt 0x0
	v_mov_b64_e32 v[24:25], s[14:15]
	v_lshl_add_u64 v[26:27], v[0:1], 3, s[16:17]
	v_mov_b64_e32 v[30:31], s[26:27]
	v_lshlrev_b64_e32 v[28:29], 3, v[2:3]
	s_delay_alu instid0(VALU_DEP_3)
	v_lshl_add_u64 v[36:37], s[20:21], 3, v[26:27]
	v_pk_mul_f32 v[32:33], v[22:23], v[24:25] op_sel_hi:[0,1]
	v_pk_mul_f32 v[34:35], v[18:19], v[24:25] op_sel_hi:[0,1]
	;; [unrolled: 1-line block ×3, first 2 shown]
	v_add_nc_u64_e32 v[26:27], v[26:27], v[28:29]
	v_add_nc_u64_e32 v[28:29], v[36:37], v[28:29]
	v_pk_fma_f32 v[40:41], v[20:21], v[30:31], v[32:33] neg_lo:[0,0,1] neg_hi:[0,0,1]
	v_pk_fma_f32 v[32:33], v[20:21], v[30:31], v[32:33] op_sel_hi:[0,1,1]
	v_pk_fma_f32 v[42:43], v[16:17], v[30:31], v[34:35] neg_lo:[0,0,1] neg_hi:[0,0,1]
	v_pk_fma_f32 v[34:35], v[16:17], v[30:31], v[34:35] op_sel_hi:[0,1,1]
	v_pk_fma_f32 v[36:37], v[14:15], v[30:31], v[38:39] op_sel_hi:[0,1,1]
	s_delay_alu instid0(VALU_DEP_4)
	v_dual_mul_f32 v21, s26, v10 :: v_dual_mov_b32 v41, v33
	v_pk_mul_f32 v[32:33], v[10:11], v[24:25]
	v_add_nc_u64_e32 v[24:25], 0x80, v[28:29]
	v_pk_fma_f32 v[30:31], v[14:15], v[30:31], v[38:39] neg_lo:[0,0,1] neg_hi:[0,0,1]
	v_dual_mov_b32 v43, v35 :: v_dual_mov_b32 v31, v37
	v_fma_f32 v23, -v11, s14, v21
	v_add_f32_e32 v21, v32, v33
	s_clause 0x3
	global_store_b64 v[26:27], v[40:41], off
	global_store_b64 v[26:27], v[42:43], off offset:128
	global_store_b64 v[28:29], v[30:31], off
	global_store_b32 v[28:29], v23, off offset:128
	s_cbranch_execnz .LBB511_2
.LBB511_9:                              ;   in Loop: Header=BB511_3 Depth=1
	s_mul_u64 s[18:19], s[8:9], s[2:3]
	s_wait_xcnt 0x0
	v_lshlrev_b64_e32 v[24:25], 3, v[2:3]
	s_wait_xcnt 0x2
	v_lshl_add_u64 v[26:27], s[18:19], 3, v[8:9]
	v_mov_b64_e32 v[32:33], s[14:15]
	v_mov_b64_e32 v[34:35], s[40:41]
	;; [unrolled: 1-line block ×4, first 2 shown]
	v_lshl_add_u64 v[46:47], v[0:1], 3, s[16:17]
	s_wait_xcnt 0x0
	v_add_nc_u64_e32 v[28:29], v[26:27], v[24:25]
	v_lshl_add_u64 v[26:27], s[6:7], 3, v[26:27]
	v_pk_mul_f32 v[22:23], v[22:23], v[32:33] op_sel_hi:[0,1]
	s_delay_alu instid0(VALU_DEP_2)
	v_add_nc_u64_e32 v[26:27], v[26:27], v[24:25]
	global_load_b64 v[30:31], v[28:29], off
	v_pk_fma_f32 v[42:43], v[20:21], v[36:37], v[22:23] op_sel_hi:[0,1,1]
	v_pk_fma_f32 v[20:21], v[20:21], v[36:37], v[22:23] neg_lo:[0,0,1] neg_hi:[0,0,1]
	s_wait_loadcnt 0x0
	v_pk_mul_f32 v[40:41], v[30:31], v[34:35]
	s_delay_alu instid0(VALU_DEP_1) | instskip(SKIP_3) | instid1(VALU_DEP_4)
	v_pk_fma_f32 v[44:45], v[30:31], v[38:39], v[40:41] op_sel:[0,0,1] op_sel_hi:[1,1,0]
	v_pk_fma_f32 v[22:23], v[30:31], v[38:39], v[40:41] op_sel:[0,0,1] op_sel_hi:[1,1,0] neg_lo:[0,0,1] neg_hi:[0,0,1]
	v_mov_b32_e32 v21, v43
	v_add_nc_u64_e32 v[30:31], v[46:47], v[24:25]
	v_mov_b32_e32 v23, v45
	s_delay_alu instid0(VALU_DEP_1)
	v_pk_add_f32 v[20:21], v[20:21], v[22:23]
	v_pk_mul_f32 v[22:23], v[18:19], v[32:33] op_sel_hi:[0,1]
	global_store_b64 v[30:31], v[20:21], off
	global_load_b64 v[20:21], v[28:29], off offset:128
	v_pk_fma_f32 v[40:41], v[16:17], v[36:37], v[22:23] op_sel_hi:[0,1,1]
	v_pk_fma_f32 v[22:23], v[16:17], v[36:37], v[22:23] neg_lo:[0,0,1] neg_hi:[0,0,1]
	s_wait_loadcnt 0x0
	s_wait_xcnt 0x0
	v_pk_mul_f32 v[28:29], v[20:21], v[34:35]
	s_delay_alu instid0(VALU_DEP_1) | instskip(SKIP_1) | instid1(VALU_DEP_2)
	v_pk_fma_f32 v[42:43], v[20:21], v[38:39], v[28:29] op_sel:[0,0,1] op_sel_hi:[1,1,0]
	v_pk_fma_f32 v[20:21], v[20:21], v[38:39], v[28:29] op_sel:[0,0,1] op_sel_hi:[1,1,0] neg_lo:[0,0,1] neg_hi:[0,0,1]
	v_dual_mov_b32 v23, v41 :: v_dual_mov_b32 v21, v43
	s_delay_alu instid0(VALU_DEP_1)
	v_pk_add_f32 v[20:21], v[22:23], v[20:21]
	v_pk_mul_f32 v[22:23], v[12:13], v[32:33] op_sel_hi:[0,1]
	global_store_b64 v[30:31], v[20:21], off offset:128
	global_load_b64 v[20:21], v[26:27], off
	v_pk_fma_f32 v[30:31], v[14:15], v[36:37], v[22:23] op_sel_hi:[0,1,1]
	v_pk_fma_f32 v[22:23], v[14:15], v[36:37], v[22:23] neg_lo:[0,0,1] neg_hi:[0,0,1]
	v_mul_f32_e32 v14, s26, v10
	s_delay_alu instid0(VALU_DEP_1) | instskip(SKIP_3) | instid1(VALU_DEP_2)
	v_fma_f32 v14, -v11, s14, v14
	s_wait_loadcnt 0x0
	v_pk_mul_f32 v[28:29], v[20:21], v[34:35]
	v_lshl_add_u64 v[34:35], s[20:21], 3, v[46:47]
	v_pk_fma_f32 v[32:33], v[20:21], v[38:39], v[28:29] op_sel:[0,0,1] op_sel_hi:[1,1,0]
	v_pk_fma_f32 v[20:21], v[20:21], v[38:39], v[28:29] op_sel:[0,0,1] op_sel_hi:[1,1,0] neg_lo:[0,0,1] neg_hi:[0,0,1]
	v_mov_b32_e32 v23, v31
	s_delay_alu instid0(VALU_DEP_4) | instskip(NEXT) | instid1(VALU_DEP_4)
	v_add_nc_u64_e32 v[28:29], v[34:35], v[24:25]
	v_dual_mov_b32 v24, v10 :: v_dual_mov_b32 v21, v33
	s_delay_alu instid0(VALU_DEP_1)
	v_pk_add_f32 v[20:21], v[22:23], v[20:21]
	v_mov_b64_e32 v[22:23], s[36:37]
	global_store_b64 v[28:29], v[20:21], off
	global_load_b64 v[20:21], v[26:27], off offset:128
	s_wait_loadcnt 0x0
	v_dual_mul_f32 v12, s35, v21 :: v_dual_mov_b32 v25, v20
	s_delay_alu instid0(VALU_DEP_1) | instskip(NEXT) | instid1(VALU_DEP_1)
	v_fma_f32 v12, v20, s34, -v12
	v_dual_mov_b32 v20, v11 :: v_dual_add_f32 v12, v14, v12
	s_delay_alu instid0(VALU_DEP_1) | instskip(SKIP_4) | instid1(VALU_DEP_2)
	v_pk_mul_f32 v[20:21], v[20:21], v[22:23]
	v_mov_b64_e32 v[22:23], s[28:29]
	global_store_b32 v[28:29], v12, off offset:128
	v_pk_fma_f32 v[10:11], v[24:25], v[22:23], v[20:21]
	v_add_nc_u64_e32 v[24:25], 0x80, v[28:29]
	v_add_f32_e32 v21, v10, v11
	s_branch .LBB511_2
.LBB511_10:
	s_sendmsg sendmsg(MSG_DEALLOC_VGPRS)
	s_endpgm
	.section	.rodata,"a",@progbits
	.p2align	6, 0x0
	.amdhsa_kernel _ZN12_GLOBAL__N_127rocblas_gemm_batched_kernelI19rocblas_complex_numIfELi16ELi16ELi32ELi32ELi8ELi32ELi8ELi8ELi32ELc84ELc78EKS2_S3_S2_EEvlllT_PT11_llS6_llS4_PT12_llPT13_lli
		.amdhsa_group_segment_fixed_size 4096
		.amdhsa_private_segment_fixed_size 0
		.amdhsa_kernarg_size 140
		.amdhsa_user_sgpr_count 2
		.amdhsa_user_sgpr_dispatch_ptr 0
		.amdhsa_user_sgpr_queue_ptr 0
		.amdhsa_user_sgpr_kernarg_segment_ptr 1
		.amdhsa_user_sgpr_dispatch_id 0
		.amdhsa_user_sgpr_kernarg_preload_length 0
		.amdhsa_user_sgpr_kernarg_preload_offset 0
		.amdhsa_user_sgpr_private_segment_size 0
		.amdhsa_wavefront_size32 1
		.amdhsa_uses_dynamic_stack 0
		.amdhsa_enable_private_segment 0
		.amdhsa_system_sgpr_workgroup_id_x 1
		.amdhsa_system_sgpr_workgroup_id_y 1
		.amdhsa_system_sgpr_workgroup_id_z 1
		.amdhsa_system_sgpr_workgroup_info 0
		.amdhsa_system_vgpr_workitem_id 1
		.amdhsa_next_free_vgpr 116
		.amdhsa_next_free_sgpr 42
		.amdhsa_named_barrier_count 0
		.amdhsa_reserve_vcc 1
		.amdhsa_float_round_mode_32 0
		.amdhsa_float_round_mode_16_64 0
		.amdhsa_float_denorm_mode_32 3
		.amdhsa_float_denorm_mode_16_64 3
		.amdhsa_fp16_overflow 0
		.amdhsa_memory_ordered 1
		.amdhsa_forward_progress 1
		.amdhsa_inst_pref_size 22
		.amdhsa_round_robin_scheduling 0
		.amdhsa_exception_fp_ieee_invalid_op 0
		.amdhsa_exception_fp_denorm_src 0
		.amdhsa_exception_fp_ieee_div_zero 0
		.amdhsa_exception_fp_ieee_overflow 0
		.amdhsa_exception_fp_ieee_underflow 0
		.amdhsa_exception_fp_ieee_inexact 0
		.amdhsa_exception_int_div_zero 0
	.end_amdhsa_kernel
	.section	.text._ZN12_GLOBAL__N_127rocblas_gemm_batched_kernelI19rocblas_complex_numIfELi16ELi16ELi32ELi32ELi8ELi32ELi8ELi8ELi32ELc84ELc78EKS2_S3_S2_EEvlllT_PT11_llS6_llS4_PT12_llPT13_lli,"axG",@progbits,_ZN12_GLOBAL__N_127rocblas_gemm_batched_kernelI19rocblas_complex_numIfELi16ELi16ELi32ELi32ELi8ELi32ELi8ELi8ELi32ELc84ELc78EKS2_S3_S2_EEvlllT_PT11_llS6_llS4_PT12_llPT13_lli,comdat
.Lfunc_end511:
	.size	_ZN12_GLOBAL__N_127rocblas_gemm_batched_kernelI19rocblas_complex_numIfELi16ELi16ELi32ELi32ELi8ELi32ELi8ELi8ELi32ELc84ELc78EKS2_S3_S2_EEvlllT_PT11_llS6_llS4_PT12_llPT13_lli, .Lfunc_end511-_ZN12_GLOBAL__N_127rocblas_gemm_batched_kernelI19rocblas_complex_numIfELi16ELi16ELi32ELi32ELi8ELi32ELi8ELi8ELi32ELc84ELc78EKS2_S3_S2_EEvlllT_PT11_llS6_llS4_PT12_llPT13_lli
                                        ; -- End function
	.set _ZN12_GLOBAL__N_127rocblas_gemm_batched_kernelI19rocblas_complex_numIfELi16ELi16ELi32ELi32ELi8ELi32ELi8ELi8ELi32ELc84ELc78EKS2_S3_S2_EEvlllT_PT11_llS6_llS4_PT12_llPT13_lli.num_vgpr, 116
	.set _ZN12_GLOBAL__N_127rocblas_gemm_batched_kernelI19rocblas_complex_numIfELi16ELi16ELi32ELi32ELi8ELi32ELi8ELi8ELi32ELc84ELc78EKS2_S3_S2_EEvlllT_PT11_llS6_llS4_PT12_llPT13_lli.num_agpr, 0
	.set _ZN12_GLOBAL__N_127rocblas_gemm_batched_kernelI19rocblas_complex_numIfELi16ELi16ELi32ELi32ELi8ELi32ELi8ELi8ELi32ELc84ELc78EKS2_S3_S2_EEvlllT_PT11_llS6_llS4_PT12_llPT13_lli.numbered_sgpr, 42
	.set _ZN12_GLOBAL__N_127rocblas_gemm_batched_kernelI19rocblas_complex_numIfELi16ELi16ELi32ELi32ELi8ELi32ELi8ELi8ELi32ELc84ELc78EKS2_S3_S2_EEvlllT_PT11_llS6_llS4_PT12_llPT13_lli.num_named_barrier, 0
	.set _ZN12_GLOBAL__N_127rocblas_gemm_batched_kernelI19rocblas_complex_numIfELi16ELi16ELi32ELi32ELi8ELi32ELi8ELi8ELi32ELc84ELc78EKS2_S3_S2_EEvlllT_PT11_llS6_llS4_PT12_llPT13_lli.private_seg_size, 0
	.set _ZN12_GLOBAL__N_127rocblas_gemm_batched_kernelI19rocblas_complex_numIfELi16ELi16ELi32ELi32ELi8ELi32ELi8ELi8ELi32ELc84ELc78EKS2_S3_S2_EEvlllT_PT11_llS6_llS4_PT12_llPT13_lli.uses_vcc, 1
	.set _ZN12_GLOBAL__N_127rocblas_gemm_batched_kernelI19rocblas_complex_numIfELi16ELi16ELi32ELi32ELi8ELi32ELi8ELi8ELi32ELc84ELc78EKS2_S3_S2_EEvlllT_PT11_llS6_llS4_PT12_llPT13_lli.uses_flat_scratch, 0
	.set _ZN12_GLOBAL__N_127rocblas_gemm_batched_kernelI19rocblas_complex_numIfELi16ELi16ELi32ELi32ELi8ELi32ELi8ELi8ELi32ELc84ELc78EKS2_S3_S2_EEvlllT_PT11_llS6_llS4_PT12_llPT13_lli.has_dyn_sized_stack, 0
	.set _ZN12_GLOBAL__N_127rocblas_gemm_batched_kernelI19rocblas_complex_numIfELi16ELi16ELi32ELi32ELi8ELi32ELi8ELi8ELi32ELc84ELc78EKS2_S3_S2_EEvlllT_PT11_llS6_llS4_PT12_llPT13_lli.has_recursion, 0
	.set _ZN12_GLOBAL__N_127rocblas_gemm_batched_kernelI19rocblas_complex_numIfELi16ELi16ELi32ELi32ELi8ELi32ELi8ELi8ELi32ELc84ELc78EKS2_S3_S2_EEvlllT_PT11_llS6_llS4_PT12_llPT13_lli.has_indirect_call, 0
	.section	.AMDGPU.csdata,"",@progbits
; Kernel info:
; codeLenInByte = 2808
; TotalNumSgprs: 44
; NumVgprs: 116
; ScratchSize: 0
; MemoryBound: 0
; FloatMode: 240
; IeeeMode: 1
; LDSByteSize: 4096 bytes/workgroup (compile time only)
; SGPRBlocks: 0
; VGPRBlocks: 7
; NumSGPRsForWavesPerEU: 44
; NumVGPRsForWavesPerEU: 116
; NamedBarCnt: 0
; Occupancy: 8
; WaveLimiterHint : 1
; COMPUTE_PGM_RSRC2:SCRATCH_EN: 0
; COMPUTE_PGM_RSRC2:USER_SGPR: 2
; COMPUTE_PGM_RSRC2:TRAP_HANDLER: 0
; COMPUTE_PGM_RSRC2:TGID_X_EN: 1
; COMPUTE_PGM_RSRC2:TGID_Y_EN: 1
; COMPUTE_PGM_RSRC2:TGID_Z_EN: 1
; COMPUTE_PGM_RSRC2:TIDIG_COMP_CNT: 1
	.section	.text._ZN12_GLOBAL__N_127rocblas_gemm_batched_kernelI19rocblas_complex_numIfELi16ELi16ELi32ELi32ELi8ELi32ELi8ELi8ELi32ELc78ELc84EKS2_S3_S2_EEvlllT_PT11_llS6_llS4_PT12_llPT13_lli,"axG",@progbits,_ZN12_GLOBAL__N_127rocblas_gemm_batched_kernelI19rocblas_complex_numIfELi16ELi16ELi32ELi32ELi8ELi32ELi8ELi8ELi32ELc78ELc84EKS2_S3_S2_EEvlllT_PT11_llS6_llS4_PT12_llPT13_lli,comdat
	.globl	_ZN12_GLOBAL__N_127rocblas_gemm_batched_kernelI19rocblas_complex_numIfELi16ELi16ELi32ELi32ELi8ELi32ELi8ELi8ELi32ELc78ELc84EKS2_S3_S2_EEvlllT_PT11_llS6_llS4_PT12_llPT13_lli ; -- Begin function _ZN12_GLOBAL__N_127rocblas_gemm_batched_kernelI19rocblas_complex_numIfELi16ELi16ELi32ELi32ELi8ELi32ELi8ELi8ELi32ELc78ELc84EKS2_S3_S2_EEvlllT_PT11_llS6_llS4_PT12_llPT13_lli
	.p2align	8
	.type	_ZN12_GLOBAL__N_127rocblas_gemm_batched_kernelI19rocblas_complex_numIfELi16ELi16ELi32ELi32ELi8ELi32ELi8ELi8ELi32ELc78ELc84EKS2_S3_S2_EEvlllT_PT11_llS6_llS4_PT12_llPT13_lli,@function
_ZN12_GLOBAL__N_127rocblas_gemm_batched_kernelI19rocblas_complex_numIfELi16ELi16ELi32ELi32ELi8ELi32ELi8ELi8ELi32ELc78ELc84EKS2_S3_S2_EEvlllT_PT11_llS6_llS4_PT12_llPT13_lli: ; @_ZN12_GLOBAL__N_127rocblas_gemm_batched_kernelI19rocblas_complex_numIfELi16ELi16ELi32ELi32ELi8ELi32ELi8ELi8ELi32ELc78ELc84EKS2_S3_S2_EEvlllT_PT11_llS6_llS4_PT12_llPT13_lli
; %bb.0:
	s_load_b32 s33, s[0:1], 0x88
	s_bfe_u32 s2, ttmp6, 0x40014
	s_lshr_b32 s3, ttmp7, 16
	s_add_co_i32 s2, s2, 1
	s_bfe_u32 s4, ttmp6, 0x40008
	s_mul_i32 s2, s3, s2
	s_getreg_b32 s20, hwreg(HW_REG_IB_STS2, 6, 4)
	s_add_co_i32 s4, s4, s2
	s_cmp_eq_u32 s20, 0
	s_cselect_b32 s2, s3, s4
	s_mov_b32 s3, 0
	s_wait_kmcnt 0x0
	s_cmp_ge_i32 s2, s33
	s_cbranch_scc1 .LBB512_10
; %bb.1:
	s_bfe_u32 s21, ttmp6, 0x4000c
	s_bfe_u32 s23, ttmp6, 0x40010
	s_add_co_i32 s21, s21, 1
	s_and_b32 s24, ttmp7, 0xffff
	s_add_co_i32 s23, s23, 1
	s_and_b32 s22, ttmp6, 15
	s_mul_i32 s21, ttmp9, s21
	s_mul_i32 s23, s24, s23
	s_bfe_u32 s25, ttmp6, 0x40004
	s_clause 0x2
	s_load_b256 s[12:19], s[0:1], 0x20
	s_load_b128 s[28:31], s[0:1], 0x40
	s_load_b256 s[4:11], s[0:1], 0x58
	s_add_co_i32 s22, s22, s21
	s_add_co_i32 s25, s25, s23
	s_cmp_eq_u32 s20, 0
	v_bfe_u32 v2, v0, 10, 10
	v_and_b32_e32 v4, 0x3ff, v0
	s_cselect_b32 s20, s24, s25
	s_cselect_b32 s36, ttmp9, s22
	s_lshl_b32 s38, s20, 5
	s_load_b128 s[20:23], s[0:1], 0x78
	v_lshl_add_u32 v11, v2, 4, v4
	v_mov_b32_e32 v3, 0
	s_mov_b32 s39, s3
	v_and_b32_e32 v12, 7, v0
	s_clause 0x1
	s_load_b64 s[34:35], s[0:1], 0x50
	s_load_b128 s[24:27], s[0:1], 0x10
	v_dual_mov_b32 v7, v3 :: v_dual_lshrrev_b32 v6, 3, v11
	v_add_nc_u64_e32 v[0:1], s[38:39], v[2:3]
	v_lshrrev_b32_e32 v14, 5, v11
	s_ashr_i32 s37, s36, 31
	v_dual_mov_b32 v5, v3 :: v_dual_bitop2_b32 v10, 31, v11 bitop3:0x40
	v_add_nc_u64_e32 v[8:9], s[38:39], v[6:7]
	v_lshlrev_b32_e32 v7, 3, v12
	s_wait_kmcnt 0x0
	v_mul_u64_e32 v[20:21], s[6:7], v[0:1]
	s_lshl_b64 s[36:37], s[36:37], 5
	v_dual_lshlrev_b32 v13, 3, v10 :: v_dual_mov_b32 v11, v3
	v_lshl_or_b32 v15, v6, 6, v7
	v_mad_nc_u64_u32 v[6:7], s14, v14, s[36:37]
	v_mul_u64_e32 v[0:1], s[20:21], v[0:1]
	v_mad_nc_u64_u32 v[8:9], s28, v12, v[8:9]
	v_lshl_add_u32 v19, v2, 6, 0x800
	s_or_b32 s0, s34, s35
	v_add_nc_u64_e32 v[2:3], s[36:37], v[4:5]
	s_bitset0_b32 s0, 31
	v_lshl_or_b32 v13, v14, 8, v13
	s_cmp_eq_u32 s0, 0
	v_cmp_gt_i64_e64 s0, s[24:25], 0
	v_add_nc_u32_e32 v15, 0x800, v15
	v_mad_u32 v7, s15, v14, v7
	v_lshlrev_b32_e32 v17, 3, v4
	v_mad_u32 v9, s29, v12, v9
	s_cselect_b32 s1, -1, 0
	s_mov_b32 s36, s27
	s_mov_b32 s37, s26
	s_lshl_b64 s[20:21], s[20:21], 4
	s_lshl_b64 s[6:7], s[6:7], 4
	s_mov_b32 s38, s27
	s_mov_b32 s39, s35
	s_mov_b32 s40, s26
	v_add_nc_u64_e32 v[6:7], v[6:7], v[10:11]
	v_cndmask_b32_e64 v10, 0, 1, s0
	v_lshl_add_u64 v[8:9], v[8:9], 3, s[18:19]
	s_mov_b32 s41, s34
	s_mov_b32 s42, s34
	v_lshl_add_u64 v[4:5], v[20:21], 3, s[4:5]
	v_cmp_ne_u32_e64 s0, 1, v10
	v_lshl_add_u64 v[6:7], v[6:7], 3, s[12:13]
	s_mov_b32 s43, s34
	s_mov_b32 s44, s35
	;; [unrolled: 1-line block ×3, first 2 shown]
	s_lshl_b64 s[4:5], s[16:17], 3
	s_lshl_b64 s[12:13], s[14:15], 6
	;; [unrolled: 1-line block ×4, first 2 shown]
	s_branch .LBB512_3
.LBB512_2:                              ;   in Loop: Header=BB512_3 Depth=1
	s_add_co_i32 s2, s2, 0x10000
	global_store_b32 v[24:25], v21, off offset:4
	s_cmp_lt_i32 s2, s33
	s_cbranch_scc0 .LBB512_10
.LBB512_3:                              ; =>This Loop Header: Depth=1
                                        ;     Child Loop BB512_5 Depth 2
	v_dual_mov_b32 v11, 0 :: v_dual_mov_b32 v10, 0
	v_dual_mov_b32 v20, 0 :: v_dual_mov_b32 v22, 0
	;; [unrolled: 1-line block ×3, first 2 shown]
	s_wait_xcnt 0x1
	v_dual_mov_b32 v14, 0 :: v_dual_mov_b32 v12, 0
	s_and_b32 vcc_lo, exec_lo, s0
	s_cbranch_vccnz .LBB512_6
; %bb.4:                                ;   in Loop: Header=BB512_3 Depth=1
	s_wait_xcnt 0x0
	v_mad_nc_u64_u32 v[24:25], s4, s2, v[6:7]
	v_mad_nc_u64_u32 v[26:27], s14, s2, v[8:9]
	v_dual_mov_b32 v12, 0 :: v_dual_mov_b32 v14, 0
	v_dual_mov_b32 v18, 0 :: v_dual_mov_b32 v16, 0
	;; [unrolled: 1-line block ×3, first 2 shown]
	s_delay_alu instid0(VALU_DEP_3)
	v_dual_mov_b32 v10, 0 :: v_dual_mov_b32 v11, v12
	s_mov_b64 s[18:19], 0
	v_mad_u32 v25, s5, s2, v25
	v_mad_u32 v27, s15, s2, v27
.LBB512_5:                              ;   Parent Loop BB512_3 Depth=1
                                        ; =>  This Inner Loop Header: Depth=2
	global_load_b64 v[28:29], v[24:25], off
	global_load_b64 v[30:31], v[26:27], off
	s_add_nc_u64 s[18:19], s[18:19], 8
	s_wait_xcnt 0x1
	v_add_nc_u64_e32 v[24:25], s[12:13], v[24:25]
	v_cmp_lt_i64_e64 s28, s[18:19], s[24:25]
	s_wait_xcnt 0x0
	v_add_nc_u64_e32 v[26:27], s[16:17], v[26:27]
	s_wait_loadcnt 0x1
	ds_store_b64 v13, v[28:29]
	s_wait_loadcnt 0x0
	ds_store_b64 v15, v[30:31]
	s_wait_dscnt 0x0
	s_barrier_signal -1
	s_barrier_wait -1
	ds_load_b128 v[28:31], v19
	ds_load_2addr_b64 v[32:35], v17 offset1:16
	ds_load_2addr_b64 v[36:39], v17 offset0:32 offset1:48
	ds_load_b128 v[40:43], v19 offset:16
	ds_load_b128 v[44:47], v19 offset:1024
	;; [unrolled: 1-line block ×3, first 2 shown]
	ds_load_2addr_b64 v[52:55], v17 offset0:64 offset1:80
	ds_load_2addr_b64 v[56:59], v17 offset0:96 offset1:112
	ds_load_2addr_b64 v[60:63], v17 offset0:128 offset1:144
	ds_load_2addr_b64 v[64:67], v17 offset0:160 offset1:176
	ds_load_b128 v[68:71], v19 offset:32
	ds_load_b128 v[72:75], v19 offset:48
	ds_load_2addr_b64 v[76:79], v17 offset0:192 offset1:208
	ds_load_2addr_b64 v[80:83], v17 offset0:224 offset1:240
	ds_load_b128 v[84:87], v19 offset:1056
	ds_load_b128 v[88:91], v19 offset:1072
	s_and_b32 vcc_lo, exec_lo, s28
	s_wait_dscnt 0x0
	s_barrier_signal -1
	s_barrier_wait -1
	v_dual_mul_f32 v21, v29, v33 :: v_dual_mul_f32 v23, v28, v33
	v_dual_mul_f32 v96, v29, v35 :: v_dual_mul_f32 v97, v28, v35
	;; [unrolled: 1-line block ×3, first 2 shown]
	v_dual_mov_b32 v94, v47 :: v_dual_mov_b32 v95, v46
	v_dual_mul_f32 v98, v31, v37 :: v_dual_mul_f32 v99, v30, v37
	v_dual_mul_f32 v100, v31, v39 :: v_dual_mul_f32 v101, v30, v39
	v_pk_mul_f32 v[92:93], v[44:45], v[34:35] op_sel:[1,1] op_sel_hi:[0,1]
	v_dual_fma_f32 v21, v28, v32, -v21 :: v_dual_fmac_f32 v23, v29, v32
	v_dual_fma_f32 v102, v44, v32, -v102 :: v_dual_fmac_f32 v103, v45, v32
	v_pk_mul_f32 v[32:33], v[94:95], v[38:39] op_sel:[0,1]
	v_dual_fma_f32 v96, v28, v34, -v96 :: v_dual_fmac_f32 v97, v29, v34
	v_dual_fma_f32 v98, v30, v36, -v98 :: v_dual_fmac_f32 v99, v31, v36
	;; [unrolled: 1-line block ×3, first 2 shown]
	v_pk_fma_f32 v[28:29], v[44:45], v[34:35], v[92:93] neg_lo:[0,0,1] neg_hi:[0,0,1]
	v_pk_fma_f32 v[30:31], v[44:45], v[34:35], v[92:93] op_sel_hi:[1,0,1]
	v_pk_fma_f32 v[34:35], v[46:47], v[38:39], v[32:33] neg_lo:[0,0,1] neg_hi:[0,0,1]
	v_pk_fma_f32 v[32:33], v[46:47], v[38:39], v[32:33] op_sel_hi:[1,0,1]
	v_dual_mov_b32 v38, v51 :: v_dual_mov_b32 v39, v50
	v_dual_mul_f32 v104, v47, v37 :: v_dual_mul_f32 v105, v46, v37
	v_dual_mul_f32 v106, v41, v53 :: v_dual_mul_f32 v107, v40, v53
	v_dual_mul_f32 v108, v41, v55 :: v_dual_mul_f32 v109, v40, v55
	v_dual_mul_f32 v110, v43, v57 :: v_dual_mul_f32 v111, v42, v57
	v_dual_mul_f32 v112, v43, v59 :: v_dual_mul_f32 v113, v42, v59
	v_pk_mul_f32 v[38:39], v[38:39], v[58:59] op_sel:[0,1]
	v_dual_mul_f32 v29, v49, v53 :: v_dual_mul_f32 v30, v48, v53
	v_dual_fma_f32 v92, v46, v36, -v104 :: v_dual_fmac_f32 v105, v47, v36
	v_pk_mul_f32 v[36:37], v[48:49], v[54:55] op_sel:[1,1] op_sel_hi:[0,1]
	v_dual_fma_f32 v95, v40, v52, -v106 :: v_dual_fmac_f32 v107, v41, v52
	v_dual_fma_f32 v104, v40, v54, -v108 :: v_dual_fmac_f32 v109, v41, v54
	;; [unrolled: 1-line block ×4, first 2 shown]
	v_pk_fma_f32 v[42:43], v[50:51], v[58:59], v[38:39] neg_lo:[0,0,1] neg_hi:[0,0,1]
	v_pk_fma_f32 v[38:39], v[50:51], v[58:59], v[38:39] op_sel_hi:[1,0,1]
	v_dual_mul_f32 v35, v69, v61 :: v_dual_mul_f32 v94, v68, v61
	v_dual_mul_f32 v53, v69, v63 :: v_dual_mul_f32 v110, v68, v63
	v_dual_fma_f32 v112, v48, v52, -v29 :: v_dual_fmac_f32 v30, v49, v52
	v_dual_mul_f32 v29, v71, v65 :: v_dual_mul_f32 v38, v71, v67
	v_mul_f32_e32 v114, v70, v67
	v_pk_fma_f32 v[40:41], v[48:49], v[54:55], v[36:37] neg_lo:[0,0,1] neg_hi:[0,0,1]
	v_pk_fma_f32 v[36:37], v[48:49], v[54:55], v[36:37] op_sel_hi:[1,0,1]
	v_dual_mov_b32 v46, v87 :: v_dual_mov_b32 v47, v86
	v_mul_f32_e32 v36, v70, v65
	v_dual_mul_f32 v41, v85, v61 :: v_dual_mul_f32 v61, v84, v61
	v_dual_fma_f32 v115, v68, v60, -v35 :: v_dual_fmac_f32 v94, v69, v60
	v_dual_fma_f32 v68, v68, v62, -v53 :: v_dual_fmac_f32 v110, v69, v62
	s_delay_alu instid0(VALU_DEP_4)
	v_dual_fma_f32 v69, v70, v64, -v29 :: v_dual_fmac_f32 v36, v71, v64
	v_dual_fma_f32 v38, v70, v66, -v38 :: v_dual_mul_f32 v29, v87, v65
	v_dual_mul_f32 v32, v51, v57 :: v_dual_mul_f32 v93, v50, v57
	v_pk_mul_f32 v[46:47], v[46:47], v[66:67] op_sel:[0,1]
	v_dual_fmac_f32 v114, v71, v66 :: v_dual_mul_f32 v65, v86, v65
	v_dual_fma_f32 v70, v84, v60, -v41 :: v_dual_mul_f32 v35, v73, v77
	v_fmac_f32_e32 v61, v85, v60
	v_dual_fma_f32 v60, v86, v64, -v29 :: v_dual_mul_f32 v29, v73, v79
	v_dual_fma_f32 v32, v50, v56, -v32 :: v_dual_fmac_f32 v93, v51, v56
	v_pk_mul_f32 v[44:45], v[84:85], v[62:63] op_sel:[1,1] op_sel_hi:[0,1]
	v_pk_fma_f32 v[50:51], v[86:87], v[66:67], v[46:47] neg_lo:[0,0,1] neg_hi:[0,0,1]
	v_pk_fma_f32 v[46:47], v[86:87], v[66:67], v[46:47] op_sel_hi:[1,0,1]
	v_pk_mul_f32 v[52:53], v[88:89], v[78:79] op_sel:[1,1] op_sel_hi:[0,1]
	v_dual_fmac_f32 v65, v87, v64 :: v_dual_mul_f32 v46, v72, v79
	v_dual_mul_f32 v41, v75, v81 :: v_dual_mul_f32 v43, v75, v83
	v_dual_fma_f32 v67, v72, v78, -v29 :: v_dual_mul_f32 v29, v91, v81
	v_pk_fma_f32 v[48:49], v[84:85], v[62:63], v[44:45] neg_lo:[0,0,1] neg_hi:[0,0,1]
	v_pk_fma_f32 v[44:45], v[84:85], v[62:63], v[44:45] op_sel_hi:[1,0,1]
	v_pk_fma_f32 v[54:55], v[88:89], v[78:79], v[52:53] neg_lo:[0,0,1] neg_hi:[0,0,1]
	v_pk_fma_f32 v[52:53], v[88:89], v[78:79], v[52:53] op_sel_hi:[1,0,1]
	v_mul_f32_e32 v44, v72, v77
	v_dual_mul_f32 v62, v74, v81 :: v_dual_mul_f32 v63, v74, v83
	v_dual_mul_f32 v49, v89, v77 :: v_dual_mul_f32 v64, v88, v77
	s_delay_alu instid0(VALU_DEP_3) | instskip(NEXT) | instid1(VALU_DEP_3)
	v_dual_fma_f32 v66, v72, v76, -v35 :: v_dual_fmac_f32 v44, v73, v76
	v_dual_fma_f32 v71, v74, v80, -v41 :: v_dual_fmac_f32 v62, v75, v80
	v_fma_f32 v72, v74, v82, -v43
	v_dual_mul_f32 v52, v90, v81 :: v_dual_fma_f32 v74, v90, v80, -v29
	v_dual_add_f32 v14, v14, v102 :: v_dual_mov_b32 v29, v31
	v_dual_add_f32 v20, v20, v21 :: v_dual_add_f32 v21, v22, v23
	v_dual_add_f32 v16, v16, v96 :: v_dual_add_f32 v18, v18, v97
	v_dual_add_f32 v12, v12, v103 :: v_dual_mov_b32 v41, v37
	s_delay_alu instid0(VALU_DEP_4) | instskip(SKIP_4) | instid1(VALU_DEP_4)
	v_pk_add_f32 v[10:11], v[10:11], v[28:29]
	v_dual_mov_b32 v35, v33 :: v_dual_mov_b32 v43, v39
	v_dual_add_f32 v20, v20, v98 :: v_dual_add_f32 v21, v21, v99
	v_dual_add_f32 v16, v16, v100 :: v_dual_add_f32 v18, v18, v101
	;; [unrolled: 1-line block ×3, first 2 shown]
	v_pk_add_f32 v[10:11], v[10:11], v[34:35]
	v_dual_mov_b32 v56, v91 :: v_dual_mov_b32 v57, v90
	s_delay_alu instid0(VALU_DEP_4)
	v_dual_add_f32 v20, v20, v95 :: v_dual_add_f32 v18, v18, v109
	v_dual_add_f32 v21, v21, v107 :: v_dual_add_f32 v16, v16, v104
	;; [unrolled: 1-line block ×3, first 2 shown]
	v_pk_add_f32 v[10:11], v[10:11], v[40:41]
	v_dual_fmac_f32 v46, v73, v78 :: v_dual_fma_f32 v73, v88, v76, -v49
	v_pk_mul_f32 v[56:57], v[56:57], v[82:83] op_sel:[0,1]
	v_dual_mov_b32 v49, v45 :: v_dual_mov_b32 v55, v53
	v_dual_add_f32 v20, v20, v106 :: v_dual_add_f32 v21, v21, v111
	v_dual_add_f32 v16, v16, v108 :: v_dual_add_f32 v18, v18, v113
	;; [unrolled: 1-line block ×3, first 2 shown]
	v_pk_add_f32 v[10:11], v[10:11], v[42:43]
	v_pk_fma_f32 v[58:59], v[90:91], v[82:83], v[56:57] neg_lo:[0,0,1] neg_hi:[0,0,1]
	v_pk_fma_f32 v[56:57], v[90:91], v[82:83], v[56:57] op_sel_hi:[1,0,1]
	v_dual_mov_b32 v51, v47 :: v_dual_add_f32 v20, v20, v115
	v_dual_add_f32 v21, v21, v94 :: v_dual_add_f32 v16, v16, v68
	v_add_f32_e32 v18, v18, v110
	v_dual_add_f32 v14, v14, v70 :: v_dual_add_f32 v12, v12, v61
	v_pk_add_f32 v[10:11], v[10:11], v[48:49]
	v_dual_fmac_f32 v63, v75, v82 :: v_dual_fmac_f32 v64, v89, v76
	v_dual_mov_b32 v59, v57 :: v_dual_add_f32 v20, v20, v69
	v_dual_add_f32 v21, v21, v36 :: v_dual_add_f32 v16, v16, v38
	v_add_f32_e32 v14, v14, v60
	v_dual_add_f32 v18, v18, v114 :: v_dual_add_f32 v12, v12, v65
	v_pk_add_f32 v[10:11], v[10:11], v[50:51]
	v_dual_fmac_f32 v52, v91, v80 :: v_dual_add_f32 v20, v20, v66
	v_dual_add_f32 v21, v21, v44 :: v_dual_add_f32 v16, v16, v67
	s_delay_alu instid0(VALU_DEP_4) | instskip(SKIP_2) | instid1(VALU_DEP_4)
	v_add_f32_e32 v18, v18, v46
	v_dual_add_f32 v14, v14, v73 :: v_dual_add_f32 v12, v12, v64
	v_pk_add_f32 v[10:11], v[10:11], v[54:55]
	v_dual_add_f32 v20, v20, v71 :: v_dual_add_f32 v22, v21, v62
	s_delay_alu instid0(VALU_DEP_4) | instskip(NEXT) | instid1(VALU_DEP_4)
	v_dual_add_f32 v16, v16, v72 :: v_dual_add_f32 v18, v18, v63
	v_dual_add_f32 v14, v14, v74 :: v_dual_add_f32 v12, v12, v52
	s_delay_alu instid0(VALU_DEP_4)
	v_pk_add_f32 v[10:11], v[10:11], v[58:59]
	s_cbranch_vccnz .LBB512_5
.LBB512_6:                              ;   in Loop: Header=BB512_3 Depth=1
	s_mul_u64 s[18:19], s[22:23], s[2:3]
	s_and_not1_b32 vcc_lo, exec_lo, s1
	s_lshl_b64 s[18:19], s[18:19], 3
	s_mov_b32 s28, -1
	s_add_nc_u64 s[18:19], s[10:11], s[18:19]
                                        ; implicit-def: $vgpr21
                                        ; implicit-def: $vgpr24_vgpr25
	s_cbranch_vccz .LBB512_8
; %bb.7:                                ;   in Loop: Header=BB512_3 Depth=1
	s_and_not1_b32 vcc_lo, exec_lo, s28
	s_cbranch_vccnz .LBB512_2
	s_branch .LBB512_9
.LBB512_8:                              ;   in Loop: Header=BB512_3 Depth=1
	s_wait_xcnt 0x0
	v_mov_b64_e32 v[24:25], s[36:37]
	v_lshl_add_u64 v[26:27], v[0:1], 3, s[18:19]
	v_mov_b64_e32 v[30:31], s[26:27]
	v_lshlrev_b64_e32 v[28:29], 3, v[2:3]
	s_delay_alu instid0(VALU_DEP_3)
	v_lshl_add_u64 v[36:37], s[20:21], 3, v[26:27]
	v_pk_mul_f32 v[32:33], v[22:23], v[24:25] op_sel_hi:[0,1]
	v_pk_mul_f32 v[34:35], v[18:19], v[24:25] op_sel_hi:[0,1]
	;; [unrolled: 1-line block ×3, first 2 shown]
	v_add_nc_u64_e32 v[26:27], v[26:27], v[28:29]
	v_add_nc_u64_e32 v[28:29], v[36:37], v[28:29]
	v_pk_fma_f32 v[40:41], v[20:21], v[30:31], v[32:33] neg_lo:[0,0,1] neg_hi:[0,0,1]
	v_pk_fma_f32 v[32:33], v[20:21], v[30:31], v[32:33] op_sel_hi:[0,1,1]
	v_pk_fma_f32 v[42:43], v[16:17], v[30:31], v[34:35] neg_lo:[0,0,1] neg_hi:[0,0,1]
	v_pk_fma_f32 v[34:35], v[16:17], v[30:31], v[34:35] op_sel_hi:[0,1,1]
	v_pk_fma_f32 v[36:37], v[14:15], v[30:31], v[38:39] op_sel_hi:[0,1,1]
	s_delay_alu instid0(VALU_DEP_4)
	v_dual_mul_f32 v21, s26, v10 :: v_dual_mov_b32 v41, v33
	v_pk_mul_f32 v[32:33], v[10:11], v[24:25]
	v_add_nc_u64_e32 v[24:25], 0x80, v[28:29]
	v_pk_fma_f32 v[30:31], v[14:15], v[30:31], v[38:39] neg_lo:[0,0,1] neg_hi:[0,0,1]
	v_dual_mov_b32 v43, v35 :: v_dual_mov_b32 v31, v37
	v_fma_f32 v23, -v11, s36, v21
	v_add_f32_e32 v21, v32, v33
	s_clause 0x3
	global_store_b64 v[26:27], v[40:41], off
	global_store_b64 v[26:27], v[42:43], off offset:128
	global_store_b64 v[28:29], v[30:31], off
	global_store_b32 v[28:29], v23, off offset:128
	s_cbranch_execnz .LBB512_2
.LBB512_9:                              ;   in Loop: Header=BB512_3 Depth=1
	s_mul_u64 s[28:29], s[8:9], s[2:3]
	s_wait_xcnt 0x0
	v_lshlrev_b64_e32 v[24:25], 3, v[2:3]
	s_wait_xcnt 0x2
	v_lshl_add_u64 v[26:27], s[28:29], 3, v[4:5]
	v_mov_b64_e32 v[32:33], s[36:37]
	v_mov_b64_e32 v[34:35], s[44:45]
	;; [unrolled: 1-line block ×4, first 2 shown]
	v_lshl_add_u64 v[46:47], v[0:1], 3, s[18:19]
	s_wait_xcnt 0x0
	v_add_nc_u64_e32 v[28:29], v[26:27], v[24:25]
	v_lshl_add_u64 v[26:27], s[6:7], 3, v[26:27]
	v_pk_mul_f32 v[22:23], v[22:23], v[32:33] op_sel_hi:[0,1]
	s_delay_alu instid0(VALU_DEP_2)
	v_add_nc_u64_e32 v[26:27], v[26:27], v[24:25]
	global_load_b64 v[30:31], v[28:29], off
	v_pk_fma_f32 v[42:43], v[20:21], v[36:37], v[22:23] op_sel_hi:[0,1,1]
	v_pk_fma_f32 v[20:21], v[20:21], v[36:37], v[22:23] neg_lo:[0,0,1] neg_hi:[0,0,1]
	s_wait_loadcnt 0x0
	v_pk_mul_f32 v[40:41], v[30:31], v[34:35]
	s_delay_alu instid0(VALU_DEP_1) | instskip(SKIP_3) | instid1(VALU_DEP_4)
	v_pk_fma_f32 v[44:45], v[30:31], v[38:39], v[40:41] op_sel:[0,0,1] op_sel_hi:[1,1,0]
	v_pk_fma_f32 v[22:23], v[30:31], v[38:39], v[40:41] op_sel:[0,0,1] op_sel_hi:[1,1,0] neg_lo:[0,0,1] neg_hi:[0,0,1]
	v_mov_b32_e32 v21, v43
	v_add_nc_u64_e32 v[30:31], v[46:47], v[24:25]
	v_mov_b32_e32 v23, v45
	s_delay_alu instid0(VALU_DEP_1)
	v_pk_add_f32 v[20:21], v[20:21], v[22:23]
	v_pk_mul_f32 v[22:23], v[18:19], v[32:33] op_sel_hi:[0,1]
	global_store_b64 v[30:31], v[20:21], off
	global_load_b64 v[20:21], v[28:29], off offset:128
	v_pk_fma_f32 v[40:41], v[16:17], v[36:37], v[22:23] op_sel_hi:[0,1,1]
	v_pk_fma_f32 v[22:23], v[16:17], v[36:37], v[22:23] neg_lo:[0,0,1] neg_hi:[0,0,1]
	s_wait_loadcnt 0x0
	s_wait_xcnt 0x0
	v_pk_mul_f32 v[28:29], v[20:21], v[34:35]
	s_delay_alu instid0(VALU_DEP_1) | instskip(SKIP_1) | instid1(VALU_DEP_2)
	v_pk_fma_f32 v[42:43], v[20:21], v[38:39], v[28:29] op_sel:[0,0,1] op_sel_hi:[1,1,0]
	v_pk_fma_f32 v[20:21], v[20:21], v[38:39], v[28:29] op_sel:[0,0,1] op_sel_hi:[1,1,0] neg_lo:[0,0,1] neg_hi:[0,0,1]
	v_dual_mov_b32 v23, v41 :: v_dual_mov_b32 v21, v43
	s_delay_alu instid0(VALU_DEP_1)
	v_pk_add_f32 v[20:21], v[22:23], v[20:21]
	v_pk_mul_f32 v[22:23], v[12:13], v[32:33] op_sel_hi:[0,1]
	global_store_b64 v[30:31], v[20:21], off offset:128
	global_load_b64 v[20:21], v[26:27], off
	v_pk_fma_f32 v[30:31], v[14:15], v[36:37], v[22:23] op_sel_hi:[0,1,1]
	v_pk_fma_f32 v[22:23], v[14:15], v[36:37], v[22:23] neg_lo:[0,0,1] neg_hi:[0,0,1]
	v_mul_f32_e32 v14, s26, v10
	s_delay_alu instid0(VALU_DEP_1) | instskip(SKIP_3) | instid1(VALU_DEP_2)
	v_fma_f32 v14, -v11, s36, v14
	s_wait_loadcnt 0x0
	v_pk_mul_f32 v[28:29], v[20:21], v[34:35]
	v_lshl_add_u64 v[34:35], s[20:21], 3, v[46:47]
	v_pk_fma_f32 v[32:33], v[20:21], v[38:39], v[28:29] op_sel:[0,0,1] op_sel_hi:[1,1,0]
	v_pk_fma_f32 v[20:21], v[20:21], v[38:39], v[28:29] op_sel:[0,0,1] op_sel_hi:[1,1,0] neg_lo:[0,0,1] neg_hi:[0,0,1]
	v_mov_b32_e32 v23, v31
	s_delay_alu instid0(VALU_DEP_4) | instskip(NEXT) | instid1(VALU_DEP_4)
	v_add_nc_u64_e32 v[28:29], v[34:35], v[24:25]
	v_dual_mov_b32 v24, v10 :: v_dual_mov_b32 v21, v33
	s_delay_alu instid0(VALU_DEP_1)
	v_pk_add_f32 v[20:21], v[22:23], v[20:21]
	v_mov_b64_e32 v[22:23], s[40:41]
	global_store_b64 v[28:29], v[20:21], off
	global_load_b64 v[20:21], v[26:27], off offset:128
	s_wait_loadcnt 0x0
	v_dual_mul_f32 v12, s35, v21 :: v_dual_mov_b32 v25, v20
	s_delay_alu instid0(VALU_DEP_1) | instskip(NEXT) | instid1(VALU_DEP_1)
	v_fma_f32 v12, v20, s34, -v12
	v_dual_mov_b32 v20, v11 :: v_dual_add_f32 v12, v14, v12
	s_delay_alu instid0(VALU_DEP_1) | instskip(SKIP_4) | instid1(VALU_DEP_2)
	v_pk_mul_f32 v[20:21], v[20:21], v[22:23]
	v_mov_b64_e32 v[22:23], s[38:39]
	global_store_b32 v[28:29], v12, off offset:128
	v_pk_fma_f32 v[10:11], v[24:25], v[22:23], v[20:21]
	v_add_nc_u64_e32 v[24:25], 0x80, v[28:29]
	v_add_f32_e32 v21, v10, v11
	s_branch .LBB512_2
.LBB512_10:
	s_sendmsg sendmsg(MSG_DEALLOC_VGPRS)
	s_endpgm
	.section	.rodata,"a",@progbits
	.p2align	6, 0x0
	.amdhsa_kernel _ZN12_GLOBAL__N_127rocblas_gemm_batched_kernelI19rocblas_complex_numIfELi16ELi16ELi32ELi32ELi8ELi32ELi8ELi8ELi32ELc78ELc84EKS2_S3_S2_EEvlllT_PT11_llS6_llS4_PT12_llPT13_lli
		.amdhsa_group_segment_fixed_size 4096
		.amdhsa_private_segment_fixed_size 0
		.amdhsa_kernarg_size 140
		.amdhsa_user_sgpr_count 2
		.amdhsa_user_sgpr_dispatch_ptr 0
		.amdhsa_user_sgpr_queue_ptr 0
		.amdhsa_user_sgpr_kernarg_segment_ptr 1
		.amdhsa_user_sgpr_dispatch_id 0
		.amdhsa_user_sgpr_kernarg_preload_length 0
		.amdhsa_user_sgpr_kernarg_preload_offset 0
		.amdhsa_user_sgpr_private_segment_size 0
		.amdhsa_wavefront_size32 1
		.amdhsa_uses_dynamic_stack 0
		.amdhsa_enable_private_segment 0
		.amdhsa_system_sgpr_workgroup_id_x 1
		.amdhsa_system_sgpr_workgroup_id_y 1
		.amdhsa_system_sgpr_workgroup_id_z 1
		.amdhsa_system_sgpr_workgroup_info 0
		.amdhsa_system_vgpr_workitem_id 1
		.amdhsa_next_free_vgpr 116
		.amdhsa_next_free_sgpr 46
		.amdhsa_named_barrier_count 0
		.amdhsa_reserve_vcc 1
		.amdhsa_float_round_mode_32 0
		.amdhsa_float_round_mode_16_64 0
		.amdhsa_float_denorm_mode_32 3
		.amdhsa_float_denorm_mode_16_64 3
		.amdhsa_fp16_overflow 0
		.amdhsa_memory_ordered 1
		.amdhsa_forward_progress 1
		.amdhsa_inst_pref_size 22
		.amdhsa_round_robin_scheduling 0
		.amdhsa_exception_fp_ieee_invalid_op 0
		.amdhsa_exception_fp_denorm_src 0
		.amdhsa_exception_fp_ieee_div_zero 0
		.amdhsa_exception_fp_ieee_overflow 0
		.amdhsa_exception_fp_ieee_underflow 0
		.amdhsa_exception_fp_ieee_inexact 0
		.amdhsa_exception_int_div_zero 0
	.end_amdhsa_kernel
	.section	.text._ZN12_GLOBAL__N_127rocblas_gemm_batched_kernelI19rocblas_complex_numIfELi16ELi16ELi32ELi32ELi8ELi32ELi8ELi8ELi32ELc78ELc84EKS2_S3_S2_EEvlllT_PT11_llS6_llS4_PT12_llPT13_lli,"axG",@progbits,_ZN12_GLOBAL__N_127rocblas_gemm_batched_kernelI19rocblas_complex_numIfELi16ELi16ELi32ELi32ELi8ELi32ELi8ELi8ELi32ELc78ELc84EKS2_S3_S2_EEvlllT_PT11_llS6_llS4_PT12_llPT13_lli,comdat
.Lfunc_end512:
	.size	_ZN12_GLOBAL__N_127rocblas_gemm_batched_kernelI19rocblas_complex_numIfELi16ELi16ELi32ELi32ELi8ELi32ELi8ELi8ELi32ELc78ELc84EKS2_S3_S2_EEvlllT_PT11_llS6_llS4_PT12_llPT13_lli, .Lfunc_end512-_ZN12_GLOBAL__N_127rocblas_gemm_batched_kernelI19rocblas_complex_numIfELi16ELi16ELi32ELi32ELi8ELi32ELi8ELi8ELi32ELc78ELc84EKS2_S3_S2_EEvlllT_PT11_llS6_llS4_PT12_llPT13_lli
                                        ; -- End function
	.set _ZN12_GLOBAL__N_127rocblas_gemm_batched_kernelI19rocblas_complex_numIfELi16ELi16ELi32ELi32ELi8ELi32ELi8ELi8ELi32ELc78ELc84EKS2_S3_S2_EEvlllT_PT11_llS6_llS4_PT12_llPT13_lli.num_vgpr, 116
	.set _ZN12_GLOBAL__N_127rocblas_gemm_batched_kernelI19rocblas_complex_numIfELi16ELi16ELi32ELi32ELi8ELi32ELi8ELi8ELi32ELc78ELc84EKS2_S3_S2_EEvlllT_PT11_llS6_llS4_PT12_llPT13_lli.num_agpr, 0
	.set _ZN12_GLOBAL__N_127rocblas_gemm_batched_kernelI19rocblas_complex_numIfELi16ELi16ELi32ELi32ELi8ELi32ELi8ELi8ELi32ELc78ELc84EKS2_S3_S2_EEvlllT_PT11_llS6_llS4_PT12_llPT13_lli.numbered_sgpr, 46
	.set _ZN12_GLOBAL__N_127rocblas_gemm_batched_kernelI19rocblas_complex_numIfELi16ELi16ELi32ELi32ELi8ELi32ELi8ELi8ELi32ELc78ELc84EKS2_S3_S2_EEvlllT_PT11_llS6_llS4_PT12_llPT13_lli.num_named_barrier, 0
	.set _ZN12_GLOBAL__N_127rocblas_gemm_batched_kernelI19rocblas_complex_numIfELi16ELi16ELi32ELi32ELi8ELi32ELi8ELi8ELi32ELc78ELc84EKS2_S3_S2_EEvlllT_PT11_llS6_llS4_PT12_llPT13_lli.private_seg_size, 0
	.set _ZN12_GLOBAL__N_127rocblas_gemm_batched_kernelI19rocblas_complex_numIfELi16ELi16ELi32ELi32ELi8ELi32ELi8ELi8ELi32ELc78ELc84EKS2_S3_S2_EEvlllT_PT11_llS6_llS4_PT12_llPT13_lli.uses_vcc, 1
	.set _ZN12_GLOBAL__N_127rocblas_gemm_batched_kernelI19rocblas_complex_numIfELi16ELi16ELi32ELi32ELi8ELi32ELi8ELi8ELi32ELc78ELc84EKS2_S3_S2_EEvlllT_PT11_llS6_llS4_PT12_llPT13_lli.uses_flat_scratch, 0
	.set _ZN12_GLOBAL__N_127rocblas_gemm_batched_kernelI19rocblas_complex_numIfELi16ELi16ELi32ELi32ELi8ELi32ELi8ELi8ELi32ELc78ELc84EKS2_S3_S2_EEvlllT_PT11_llS6_llS4_PT12_llPT13_lli.has_dyn_sized_stack, 0
	.set _ZN12_GLOBAL__N_127rocblas_gemm_batched_kernelI19rocblas_complex_numIfELi16ELi16ELi32ELi32ELi8ELi32ELi8ELi8ELi32ELc78ELc84EKS2_S3_S2_EEvlllT_PT11_llS6_llS4_PT12_llPT13_lli.has_recursion, 0
	.set _ZN12_GLOBAL__N_127rocblas_gemm_batched_kernelI19rocblas_complex_numIfELi16ELi16ELi32ELi32ELi8ELi32ELi8ELi8ELi32ELc78ELc84EKS2_S3_S2_EEvlllT_PT11_llS6_llS4_PT12_llPT13_lli.has_indirect_call, 0
	.section	.AMDGPU.csdata,"",@progbits
; Kernel info:
; codeLenInByte = 2812
; TotalNumSgprs: 48
; NumVgprs: 116
; ScratchSize: 0
; MemoryBound: 0
; FloatMode: 240
; IeeeMode: 1
; LDSByteSize: 4096 bytes/workgroup (compile time only)
; SGPRBlocks: 0
; VGPRBlocks: 7
; NumSGPRsForWavesPerEU: 48
; NumVGPRsForWavesPerEU: 116
; NamedBarCnt: 0
; Occupancy: 8
; WaveLimiterHint : 1
; COMPUTE_PGM_RSRC2:SCRATCH_EN: 0
; COMPUTE_PGM_RSRC2:USER_SGPR: 2
; COMPUTE_PGM_RSRC2:TRAP_HANDLER: 0
; COMPUTE_PGM_RSRC2:TGID_X_EN: 1
; COMPUTE_PGM_RSRC2:TGID_Y_EN: 1
; COMPUTE_PGM_RSRC2:TGID_Z_EN: 1
; COMPUTE_PGM_RSRC2:TIDIG_COMP_CNT: 1
	.section	.text._ZN12_GLOBAL__N_127rocblas_gemm_batched_kernelI19rocblas_complex_numIfELi16ELi16ELi32ELi32ELi8ELi32ELi8ELi8ELi32ELc84ELc84EKS2_S3_S2_EEvlllT_PT11_llS6_llS4_PT12_llPT13_lli,"axG",@progbits,_ZN12_GLOBAL__N_127rocblas_gemm_batched_kernelI19rocblas_complex_numIfELi16ELi16ELi32ELi32ELi8ELi32ELi8ELi8ELi32ELc84ELc84EKS2_S3_S2_EEvlllT_PT11_llS6_llS4_PT12_llPT13_lli,comdat
	.globl	_ZN12_GLOBAL__N_127rocblas_gemm_batched_kernelI19rocblas_complex_numIfELi16ELi16ELi32ELi32ELi8ELi32ELi8ELi8ELi32ELc84ELc84EKS2_S3_S2_EEvlllT_PT11_llS6_llS4_PT12_llPT13_lli ; -- Begin function _ZN12_GLOBAL__N_127rocblas_gemm_batched_kernelI19rocblas_complex_numIfELi16ELi16ELi32ELi32ELi8ELi32ELi8ELi8ELi32ELc84ELc84EKS2_S3_S2_EEvlllT_PT11_llS6_llS4_PT12_llPT13_lli
	.p2align	8
	.type	_ZN12_GLOBAL__N_127rocblas_gemm_batched_kernelI19rocblas_complex_numIfELi16ELi16ELi32ELi32ELi8ELi32ELi8ELi8ELi32ELc84ELc84EKS2_S3_S2_EEvlllT_PT11_llS6_llS4_PT12_llPT13_lli,@function
_ZN12_GLOBAL__N_127rocblas_gemm_batched_kernelI19rocblas_complex_numIfELi16ELi16ELi32ELi32ELi8ELi32ELi8ELi8ELi32ELc84ELc84EKS2_S3_S2_EEvlllT_PT11_llS6_llS4_PT12_llPT13_lli: ; @_ZN12_GLOBAL__N_127rocblas_gemm_batched_kernelI19rocblas_complex_numIfELi16ELi16ELi32ELi32ELi8ELi32ELi8ELi8ELi32ELc84ELc84EKS2_S3_S2_EEvlllT_PT11_llS6_llS4_PT12_llPT13_lli
; %bb.0:
	s_load_b32 s33, s[0:1], 0x88
	s_bfe_u32 s2, ttmp6, 0x40014
	s_lshr_b32 s3, ttmp7, 16
	s_add_co_i32 s2, s2, 1
	s_bfe_u32 s4, ttmp6, 0x40008
	s_mul_i32 s2, s3, s2
	s_getreg_b32 s24, hwreg(HW_REG_IB_STS2, 6, 4)
	s_add_co_i32 s4, s4, s2
	s_cmp_eq_u32 s24, 0
	s_cselect_b32 s2, s3, s4
	s_mov_b32 s3, 0
	s_wait_kmcnt 0x0
	s_cmp_ge_i32 s2, s33
	s_cbranch_scc1 .LBB513_10
; %bb.1:
	v_bfe_u32 v4, v0, 10, 10
	v_and_b32_e32 v2, 0x3ff, v0
	s_bfe_u32 s25, ttmp6, 0x4000c
	s_bfe_u32 s27, ttmp6, 0x40010
	s_clause 0x1
	s_load_b256 s[12:19], s[0:1], 0x20
	s_load_b128 s[20:23], s[0:1], 0x78
	s_add_co_i32 s25, s25, 1
	s_and_b32 s36, ttmp7, 0xffff
	s_add_co_i32 s27, s27, 1
	s_and_b32 s26, ttmp6, 15
	s_mul_i32 s25, ttmp9, s25
	s_mul_i32 s27, s36, s27
	s_bfe_u32 s37, ttmp6, 0x40004
	v_lshl_add_u32 v3, v4, 4, v2
	v_mov_b32_e32 v5, 0
	s_add_co_i32 s26, s26, s25
	s_add_co_i32 s37, s37, s27
	s_load_b256 s[4:11], s[0:1], 0x58
	s_cmp_eq_u32 s24, 0
	v_and_b32_e32 v12, 31, v3
	s_cselect_b32 s25, s36, s37
	s_cselect_b32 s24, ttmp9, s26
	v_dual_mov_b32 v7, v5 :: v_dual_lshrrev_b32 v6, 3, v3
	s_lshl_b32 s26, s25, 5
	s_ashr_i32 s25, s24, 31
	s_mov_b32 s27, s3
	s_lshl_b64 s[36:37], s[24:25], 5
	v_add_nc_u64_e32 v[8:9], s[26:27], v[6:7]
	v_dual_mov_b32 v1, s37 :: v_dual_bitop2_b32 v7, 7, v0 bitop3:0x40
	v_dual_lshrrev_b32 v14, 5, v3 :: v_dual_bitop2_b32 v0, s36, v12 bitop3:0x54
	s_clause 0x1
	s_load_b128 s[28:31], s[0:1], 0x40
	s_load_b64 s[34:35], s[0:1], 0x50
	v_add_nc_u64_e32 v[10:11], s[26:27], v[4:5]
	s_load_b128 s[24:27], s[0:1], 0x10
	s_wait_kmcnt 0x0
	v_mul_u64_e32 v[20:21], s[14:15], v[0:1]
	v_dual_lshlrev_b32 v0, 3, v7 :: v_dual_lshlrev_b32 v1, 3, v12
	v_lshl_add_u32 v19, v4, 6, 0x800
	v_lshlrev_b32_e32 v4, 3, v14
	v_mul_u64_e32 v[22:23], s[6:7], v[10:11]
	s_delay_alu instid0(VALU_DEP_4) | instskip(SKIP_3) | instid1(VALU_DEP_4)
	v_lshl_or_b32 v6, v6, 6, v0
	v_lshl_or_b32 v13, v14, 8, v1
	v_mul_u64_e32 v[0:1], s[20:21], v[10:11]
	v_dual_mov_b32 v3, v5 :: v_dual_lshlrev_b32 v17, 3, v2
	v_add_nc_u32_e32 v15, 0x800, v6
	s_delay_alu instid0(VALU_DEP_2)
	v_add_nc_u64_e32 v[2:3], s[36:37], v[2:3]
	v_mad_nc_u64_u32 v[8:9], s28, v7, v[8:9]
	s_or_b32 s0, s34, s35
	s_mov_b32 s37, s35
	s_bitset0_b32 s0, 31
	s_mov_b32 s14, s27
	s_cmp_eq_u32 s0, 0
	v_cmp_gt_i64_e64 s0, s[24:25], 0
	s_cselect_b32 s1, -1, 0
	s_mov_b32 s15, s26
	s_lshl_b64 s[20:21], s[20:21], 4
	s_lshl_b64 s[6:7], s[6:7], 4
	v_mad_u32 v9, s29, v7, v9
	s_mov_b32 s36, s27
	v_cndmask_b32_e64 v10, 0, 1, s0
	s_mov_b32 s38, s26
	s_mov_b32 s39, s34
	v_lshl_add_u64 v[6:7], v[20:21], 3, v[4:5]
	s_mov_b32 s40, s34
	v_cmp_ne_u32_e64 s0, 1, v10
	s_mov_b32 s41, s34
	s_mov_b32 s42, s35
	v_add_nc_u64_e32 v[6:7], s[12:13], v[6:7]
	v_lshl_add_u64 v[4:5], v[22:23], 3, s[4:5]
	v_lshl_add_u64 v[8:9], v[8:9], 3, s[18:19]
	s_mov_b32 s43, s35
	s_lshl_b64 s[4:5], s[16:17], 3
	s_lshl_b64 s[12:13], s[30:31], 3
	;; [unrolled: 1-line block ×3, first 2 shown]
	s_branch .LBB513_3
.LBB513_2:                              ;   in Loop: Header=BB513_3 Depth=1
	s_add_co_i32 s2, s2, 0x10000
	global_store_b32 v[24:25], v21, off offset:4
	s_cmp_lt_i32 s2, s33
	s_cbranch_scc0 .LBB513_10
.LBB513_3:                              ; =>This Loop Header: Depth=1
                                        ;     Child Loop BB513_5 Depth 2
	v_dual_mov_b32 v11, 0 :: v_dual_mov_b32 v10, 0
	v_dual_mov_b32 v20, 0 :: v_dual_mov_b32 v22, 0
	v_dual_mov_b32 v16, 0 :: v_dual_mov_b32 v18, 0
	s_wait_xcnt 0x1
	v_dual_mov_b32 v14, 0 :: v_dual_mov_b32 v12, 0
	s_and_b32 vcc_lo, exec_lo, s0
	s_cbranch_vccnz .LBB513_6
; %bb.4:                                ;   in Loop: Header=BB513_3 Depth=1
	s_wait_xcnt 0x0
	v_mad_nc_u64_u32 v[24:25], s4, s2, v[6:7]
	v_mad_nc_u64_u32 v[26:27], s12, s2, v[8:9]
	v_dual_mov_b32 v12, 0 :: v_dual_mov_b32 v14, 0
	v_dual_mov_b32 v18, 0 :: v_dual_mov_b32 v16, 0
	;; [unrolled: 1-line block ×3, first 2 shown]
	s_delay_alu instid0(VALU_DEP_3)
	v_dual_mov_b32 v10, 0 :: v_dual_mov_b32 v11, v12
	s_mov_b64 s[18:19], 0
	v_mad_u32 v25, s5, s2, v25
	v_mad_u32 v27, s13, s2, v27
.LBB513_5:                              ;   Parent Loop BB513_3 Depth=1
                                        ; =>  This Inner Loop Header: Depth=2
	global_load_b64 v[28:29], v[24:25], off
	global_load_b64 v[30:31], v[26:27], off
	s_add_nc_u64 s[18:19], s[18:19], 8
	s_wait_xcnt 0x1
	v_add_nc_u64_e32 v[24:25], 64, v[24:25]
	v_cmp_lt_i64_e64 s28, s[18:19], s[24:25]
	s_wait_xcnt 0x0
	v_add_nc_u64_e32 v[26:27], s[16:17], v[26:27]
	s_wait_loadcnt 0x1
	ds_store_b64 v13, v[28:29]
	s_wait_loadcnt 0x0
	ds_store_b64 v15, v[30:31]
	s_wait_dscnt 0x0
	s_barrier_signal -1
	s_barrier_wait -1
	ds_load_b128 v[28:31], v19
	ds_load_2addr_b64 v[32:35], v17 offset1:16
	ds_load_2addr_b64 v[36:39], v17 offset0:32 offset1:48
	ds_load_b128 v[40:43], v19 offset:16
	ds_load_b128 v[44:47], v19 offset:1024
	;; [unrolled: 1-line block ×3, first 2 shown]
	ds_load_2addr_b64 v[52:55], v17 offset0:64 offset1:80
	ds_load_2addr_b64 v[56:59], v17 offset0:96 offset1:112
	ds_load_2addr_b64 v[60:63], v17 offset0:128 offset1:144
	ds_load_2addr_b64 v[64:67], v17 offset0:160 offset1:176
	ds_load_b128 v[68:71], v19 offset:32
	ds_load_b128 v[72:75], v19 offset:48
	ds_load_2addr_b64 v[76:79], v17 offset0:192 offset1:208
	ds_load_2addr_b64 v[80:83], v17 offset0:224 offset1:240
	ds_load_b128 v[84:87], v19 offset:1056
	ds_load_b128 v[88:91], v19 offset:1072
	s_and_b32 vcc_lo, exec_lo, s28
	s_wait_dscnt 0x0
	s_barrier_signal -1
	s_barrier_wait -1
	v_dual_mul_f32 v21, v29, v33 :: v_dual_mul_f32 v23, v28, v33
	v_dual_mul_f32 v96, v29, v35 :: v_dual_mul_f32 v97, v28, v35
	;; [unrolled: 1-line block ×3, first 2 shown]
	v_dual_mov_b32 v94, v47 :: v_dual_mov_b32 v95, v46
	v_dual_mul_f32 v98, v31, v37 :: v_dual_mul_f32 v99, v30, v37
	v_dual_mul_f32 v100, v31, v39 :: v_dual_mul_f32 v101, v30, v39
	v_pk_mul_f32 v[92:93], v[44:45], v[34:35] op_sel:[1,1] op_sel_hi:[0,1]
	v_dual_fma_f32 v21, v28, v32, -v21 :: v_dual_fmac_f32 v23, v29, v32
	v_dual_fma_f32 v102, v44, v32, -v102 :: v_dual_fmac_f32 v103, v45, v32
	v_pk_mul_f32 v[32:33], v[94:95], v[38:39] op_sel:[0,1]
	v_dual_fma_f32 v96, v28, v34, -v96 :: v_dual_fmac_f32 v97, v29, v34
	v_dual_fma_f32 v98, v30, v36, -v98 :: v_dual_fmac_f32 v99, v31, v36
	;; [unrolled: 1-line block ×3, first 2 shown]
	v_pk_fma_f32 v[28:29], v[44:45], v[34:35], v[92:93] neg_lo:[0,0,1] neg_hi:[0,0,1]
	v_pk_fma_f32 v[30:31], v[44:45], v[34:35], v[92:93] op_sel_hi:[1,0,1]
	v_pk_fma_f32 v[34:35], v[46:47], v[38:39], v[32:33] neg_lo:[0,0,1] neg_hi:[0,0,1]
	v_pk_fma_f32 v[32:33], v[46:47], v[38:39], v[32:33] op_sel_hi:[1,0,1]
	v_dual_mov_b32 v38, v51 :: v_dual_mov_b32 v39, v50
	v_dual_mul_f32 v104, v47, v37 :: v_dual_mul_f32 v105, v46, v37
	v_dual_mul_f32 v106, v41, v53 :: v_dual_mul_f32 v107, v40, v53
	;; [unrolled: 1-line block ×5, first 2 shown]
	v_pk_mul_f32 v[38:39], v[38:39], v[58:59] op_sel:[0,1]
	v_dual_mul_f32 v29, v49, v53 :: v_dual_mul_f32 v30, v48, v53
	v_dual_fma_f32 v92, v46, v36, -v104 :: v_dual_fmac_f32 v105, v47, v36
	v_pk_mul_f32 v[36:37], v[48:49], v[54:55] op_sel:[1,1] op_sel_hi:[0,1]
	v_dual_fma_f32 v95, v40, v52, -v106 :: v_dual_fmac_f32 v107, v41, v52
	v_dual_fma_f32 v104, v40, v54, -v108 :: v_dual_fmac_f32 v109, v41, v54
	;; [unrolled: 1-line block ×4, first 2 shown]
	v_pk_fma_f32 v[42:43], v[50:51], v[58:59], v[38:39] neg_lo:[0,0,1] neg_hi:[0,0,1]
	v_pk_fma_f32 v[38:39], v[50:51], v[58:59], v[38:39] op_sel_hi:[1,0,1]
	v_dual_mul_f32 v35, v69, v61 :: v_dual_mul_f32 v94, v68, v61
	v_dual_mul_f32 v53, v69, v63 :: v_dual_mul_f32 v110, v68, v63
	v_dual_fma_f32 v112, v48, v52, -v29 :: v_dual_fmac_f32 v30, v49, v52
	v_dual_mul_f32 v29, v71, v65 :: v_dual_mul_f32 v38, v71, v67
	v_mul_f32_e32 v114, v70, v67
	v_pk_fma_f32 v[40:41], v[48:49], v[54:55], v[36:37] neg_lo:[0,0,1] neg_hi:[0,0,1]
	v_pk_fma_f32 v[36:37], v[48:49], v[54:55], v[36:37] op_sel_hi:[1,0,1]
	v_dual_mov_b32 v46, v87 :: v_dual_mov_b32 v47, v86
	v_mul_f32_e32 v36, v70, v65
	v_dual_mul_f32 v41, v85, v61 :: v_dual_mul_f32 v61, v84, v61
	v_dual_fma_f32 v115, v68, v60, -v35 :: v_dual_fmac_f32 v94, v69, v60
	v_dual_fma_f32 v68, v68, v62, -v53 :: v_dual_fmac_f32 v110, v69, v62
	s_delay_alu instid0(VALU_DEP_4)
	v_dual_fma_f32 v69, v70, v64, -v29 :: v_dual_fmac_f32 v36, v71, v64
	v_dual_fma_f32 v38, v70, v66, -v38 :: v_dual_mul_f32 v29, v87, v65
	v_dual_mul_f32 v32, v51, v57 :: v_dual_mul_f32 v93, v50, v57
	v_pk_mul_f32 v[46:47], v[46:47], v[66:67] op_sel:[0,1]
	v_dual_fmac_f32 v114, v71, v66 :: v_dual_mul_f32 v65, v86, v65
	v_dual_fma_f32 v70, v84, v60, -v41 :: v_dual_mul_f32 v35, v73, v77
	v_fmac_f32_e32 v61, v85, v60
	v_dual_fma_f32 v60, v86, v64, -v29 :: v_dual_mul_f32 v29, v73, v79
	v_dual_fma_f32 v32, v50, v56, -v32 :: v_dual_fmac_f32 v93, v51, v56
	v_pk_mul_f32 v[44:45], v[84:85], v[62:63] op_sel:[1,1] op_sel_hi:[0,1]
	v_pk_fma_f32 v[50:51], v[86:87], v[66:67], v[46:47] neg_lo:[0,0,1] neg_hi:[0,0,1]
	v_pk_fma_f32 v[46:47], v[86:87], v[66:67], v[46:47] op_sel_hi:[1,0,1]
	v_pk_mul_f32 v[52:53], v[88:89], v[78:79] op_sel:[1,1] op_sel_hi:[0,1]
	v_dual_fmac_f32 v65, v87, v64 :: v_dual_mul_f32 v46, v72, v79
	v_dual_mul_f32 v41, v75, v81 :: v_dual_mul_f32 v43, v75, v83
	v_dual_fma_f32 v67, v72, v78, -v29 :: v_dual_mul_f32 v29, v91, v81
	v_pk_fma_f32 v[48:49], v[84:85], v[62:63], v[44:45] neg_lo:[0,0,1] neg_hi:[0,0,1]
	v_pk_fma_f32 v[44:45], v[84:85], v[62:63], v[44:45] op_sel_hi:[1,0,1]
	v_pk_fma_f32 v[54:55], v[88:89], v[78:79], v[52:53] neg_lo:[0,0,1] neg_hi:[0,0,1]
	v_pk_fma_f32 v[52:53], v[88:89], v[78:79], v[52:53] op_sel_hi:[1,0,1]
	v_mul_f32_e32 v44, v72, v77
	v_dual_mul_f32 v62, v74, v81 :: v_dual_mul_f32 v63, v74, v83
	v_dual_mul_f32 v49, v89, v77 :: v_dual_mul_f32 v64, v88, v77
	s_delay_alu instid0(VALU_DEP_3) | instskip(NEXT) | instid1(VALU_DEP_3)
	v_dual_fma_f32 v66, v72, v76, -v35 :: v_dual_fmac_f32 v44, v73, v76
	v_dual_fma_f32 v71, v74, v80, -v41 :: v_dual_fmac_f32 v62, v75, v80
	v_fma_f32 v72, v74, v82, -v43
	v_dual_mul_f32 v52, v90, v81 :: v_dual_fma_f32 v74, v90, v80, -v29
	v_dual_add_f32 v14, v14, v102 :: v_dual_mov_b32 v29, v31
	v_dual_add_f32 v20, v20, v21 :: v_dual_add_f32 v21, v22, v23
	v_dual_add_f32 v16, v16, v96 :: v_dual_add_f32 v18, v18, v97
	v_dual_add_f32 v12, v12, v103 :: v_dual_mov_b32 v41, v37
	s_delay_alu instid0(VALU_DEP_4) | instskip(SKIP_4) | instid1(VALU_DEP_4)
	v_pk_add_f32 v[10:11], v[10:11], v[28:29]
	v_dual_mov_b32 v35, v33 :: v_dual_mov_b32 v43, v39
	v_dual_add_f32 v20, v20, v98 :: v_dual_add_f32 v21, v21, v99
	v_dual_add_f32 v16, v16, v100 :: v_dual_add_f32 v18, v18, v101
	;; [unrolled: 1-line block ×3, first 2 shown]
	v_pk_add_f32 v[10:11], v[10:11], v[34:35]
	v_dual_mov_b32 v56, v91 :: v_dual_mov_b32 v57, v90
	s_delay_alu instid0(VALU_DEP_4)
	v_dual_add_f32 v20, v20, v95 :: v_dual_add_f32 v18, v18, v109
	v_dual_add_f32 v21, v21, v107 :: v_dual_add_f32 v16, v16, v104
	;; [unrolled: 1-line block ×3, first 2 shown]
	v_pk_add_f32 v[10:11], v[10:11], v[40:41]
	v_dual_fmac_f32 v46, v73, v78 :: v_dual_fma_f32 v73, v88, v76, -v49
	v_pk_mul_f32 v[56:57], v[56:57], v[82:83] op_sel:[0,1]
	v_dual_mov_b32 v49, v45 :: v_dual_mov_b32 v55, v53
	v_dual_add_f32 v20, v20, v106 :: v_dual_add_f32 v21, v21, v111
	v_dual_add_f32 v16, v16, v108 :: v_dual_add_f32 v18, v18, v113
	;; [unrolled: 1-line block ×3, first 2 shown]
	v_pk_add_f32 v[10:11], v[10:11], v[42:43]
	v_pk_fma_f32 v[58:59], v[90:91], v[82:83], v[56:57] neg_lo:[0,0,1] neg_hi:[0,0,1]
	v_pk_fma_f32 v[56:57], v[90:91], v[82:83], v[56:57] op_sel_hi:[1,0,1]
	v_dual_mov_b32 v51, v47 :: v_dual_add_f32 v20, v20, v115
	v_dual_add_f32 v21, v21, v94 :: v_dual_add_f32 v16, v16, v68
	v_add_f32_e32 v18, v18, v110
	v_dual_add_f32 v14, v14, v70 :: v_dual_add_f32 v12, v12, v61
	v_pk_add_f32 v[10:11], v[10:11], v[48:49]
	v_dual_fmac_f32 v63, v75, v82 :: v_dual_fmac_f32 v64, v89, v76
	v_dual_mov_b32 v59, v57 :: v_dual_add_f32 v20, v20, v69
	v_dual_add_f32 v21, v21, v36 :: v_dual_add_f32 v16, v16, v38
	v_add_f32_e32 v14, v14, v60
	v_dual_add_f32 v18, v18, v114 :: v_dual_add_f32 v12, v12, v65
	v_pk_add_f32 v[10:11], v[10:11], v[50:51]
	v_dual_fmac_f32 v52, v91, v80 :: v_dual_add_f32 v20, v20, v66
	v_dual_add_f32 v21, v21, v44 :: v_dual_add_f32 v16, v16, v67
	s_delay_alu instid0(VALU_DEP_4) | instskip(SKIP_2) | instid1(VALU_DEP_4)
	v_add_f32_e32 v18, v18, v46
	v_dual_add_f32 v14, v14, v73 :: v_dual_add_f32 v12, v12, v64
	v_pk_add_f32 v[10:11], v[10:11], v[54:55]
	v_dual_add_f32 v20, v20, v71 :: v_dual_add_f32 v22, v21, v62
	s_delay_alu instid0(VALU_DEP_4) | instskip(NEXT) | instid1(VALU_DEP_4)
	v_dual_add_f32 v16, v16, v72 :: v_dual_add_f32 v18, v18, v63
	v_dual_add_f32 v14, v14, v74 :: v_dual_add_f32 v12, v12, v52
	s_delay_alu instid0(VALU_DEP_4)
	v_pk_add_f32 v[10:11], v[10:11], v[58:59]
	s_cbranch_vccnz .LBB513_5
.LBB513_6:                              ;   in Loop: Header=BB513_3 Depth=1
	s_mul_u64 s[18:19], s[22:23], s[2:3]
	s_and_not1_b32 vcc_lo, exec_lo, s1
	s_lshl_b64 s[18:19], s[18:19], 3
	s_mov_b32 s28, -1
	s_add_nc_u64 s[18:19], s[10:11], s[18:19]
                                        ; implicit-def: $vgpr21
                                        ; implicit-def: $vgpr24_vgpr25
	s_cbranch_vccz .LBB513_8
; %bb.7:                                ;   in Loop: Header=BB513_3 Depth=1
	s_and_not1_b32 vcc_lo, exec_lo, s28
	s_cbranch_vccnz .LBB513_2
	s_branch .LBB513_9
.LBB513_8:                              ;   in Loop: Header=BB513_3 Depth=1
	s_wait_xcnt 0x0
	v_mov_b64_e32 v[24:25], s[14:15]
	v_lshl_add_u64 v[26:27], v[0:1], 3, s[18:19]
	v_mov_b64_e32 v[30:31], s[26:27]
	v_lshlrev_b64_e32 v[28:29], 3, v[2:3]
	s_delay_alu instid0(VALU_DEP_3)
	v_lshl_add_u64 v[36:37], s[20:21], 3, v[26:27]
	v_pk_mul_f32 v[32:33], v[22:23], v[24:25] op_sel_hi:[0,1]
	v_pk_mul_f32 v[34:35], v[18:19], v[24:25] op_sel_hi:[0,1]
	;; [unrolled: 1-line block ×3, first 2 shown]
	v_add_nc_u64_e32 v[26:27], v[26:27], v[28:29]
	v_add_nc_u64_e32 v[28:29], v[36:37], v[28:29]
	v_pk_fma_f32 v[40:41], v[20:21], v[30:31], v[32:33] neg_lo:[0,0,1] neg_hi:[0,0,1]
	v_pk_fma_f32 v[32:33], v[20:21], v[30:31], v[32:33] op_sel_hi:[0,1,1]
	v_pk_fma_f32 v[42:43], v[16:17], v[30:31], v[34:35] neg_lo:[0,0,1] neg_hi:[0,0,1]
	v_pk_fma_f32 v[34:35], v[16:17], v[30:31], v[34:35] op_sel_hi:[0,1,1]
	v_pk_fma_f32 v[36:37], v[14:15], v[30:31], v[38:39] op_sel_hi:[0,1,1]
	s_delay_alu instid0(VALU_DEP_4)
	v_dual_mul_f32 v21, s26, v10 :: v_dual_mov_b32 v41, v33
	v_pk_mul_f32 v[32:33], v[10:11], v[24:25]
	v_add_nc_u64_e32 v[24:25], 0x80, v[28:29]
	v_pk_fma_f32 v[30:31], v[14:15], v[30:31], v[38:39] neg_lo:[0,0,1] neg_hi:[0,0,1]
	v_dual_mov_b32 v43, v35 :: v_dual_mov_b32 v31, v37
	v_fma_f32 v23, -v11, s14, v21
	v_add_f32_e32 v21, v32, v33
	s_clause 0x3
	global_store_b64 v[26:27], v[40:41], off
	global_store_b64 v[26:27], v[42:43], off offset:128
	global_store_b64 v[28:29], v[30:31], off
	global_store_b32 v[28:29], v23, off offset:128
	s_cbranch_execnz .LBB513_2
.LBB513_9:                              ;   in Loop: Header=BB513_3 Depth=1
	s_mul_u64 s[28:29], s[8:9], s[2:3]
	s_wait_xcnt 0x0
	v_lshlrev_b64_e32 v[24:25], 3, v[2:3]
	s_wait_xcnt 0x2
	v_lshl_add_u64 v[26:27], s[28:29], 3, v[4:5]
	v_mov_b64_e32 v[32:33], s[14:15]
	v_mov_b64_e32 v[34:35], s[42:43]
	;; [unrolled: 1-line block ×4, first 2 shown]
	v_lshl_add_u64 v[46:47], v[0:1], 3, s[18:19]
	s_wait_xcnt 0x0
	v_add_nc_u64_e32 v[28:29], v[26:27], v[24:25]
	v_lshl_add_u64 v[26:27], s[6:7], 3, v[26:27]
	v_pk_mul_f32 v[22:23], v[22:23], v[32:33] op_sel_hi:[0,1]
	s_delay_alu instid0(VALU_DEP_2)
	v_add_nc_u64_e32 v[26:27], v[26:27], v[24:25]
	global_load_b64 v[30:31], v[28:29], off
	v_pk_fma_f32 v[42:43], v[20:21], v[36:37], v[22:23] op_sel_hi:[0,1,1]
	v_pk_fma_f32 v[20:21], v[20:21], v[36:37], v[22:23] neg_lo:[0,0,1] neg_hi:[0,0,1]
	s_wait_loadcnt 0x0
	v_pk_mul_f32 v[40:41], v[30:31], v[34:35]
	s_delay_alu instid0(VALU_DEP_1) | instskip(SKIP_3) | instid1(VALU_DEP_4)
	v_pk_fma_f32 v[44:45], v[30:31], v[38:39], v[40:41] op_sel:[0,0,1] op_sel_hi:[1,1,0]
	v_pk_fma_f32 v[22:23], v[30:31], v[38:39], v[40:41] op_sel:[0,0,1] op_sel_hi:[1,1,0] neg_lo:[0,0,1] neg_hi:[0,0,1]
	v_mov_b32_e32 v21, v43
	v_add_nc_u64_e32 v[30:31], v[46:47], v[24:25]
	v_mov_b32_e32 v23, v45
	s_delay_alu instid0(VALU_DEP_1)
	v_pk_add_f32 v[20:21], v[20:21], v[22:23]
	v_pk_mul_f32 v[22:23], v[18:19], v[32:33] op_sel_hi:[0,1]
	global_store_b64 v[30:31], v[20:21], off
	global_load_b64 v[20:21], v[28:29], off offset:128
	v_pk_fma_f32 v[40:41], v[16:17], v[36:37], v[22:23] op_sel_hi:[0,1,1]
	v_pk_fma_f32 v[22:23], v[16:17], v[36:37], v[22:23] neg_lo:[0,0,1] neg_hi:[0,0,1]
	s_wait_loadcnt 0x0
	s_wait_xcnt 0x0
	v_pk_mul_f32 v[28:29], v[20:21], v[34:35]
	s_delay_alu instid0(VALU_DEP_1) | instskip(SKIP_1) | instid1(VALU_DEP_2)
	v_pk_fma_f32 v[42:43], v[20:21], v[38:39], v[28:29] op_sel:[0,0,1] op_sel_hi:[1,1,0]
	v_pk_fma_f32 v[20:21], v[20:21], v[38:39], v[28:29] op_sel:[0,0,1] op_sel_hi:[1,1,0] neg_lo:[0,0,1] neg_hi:[0,0,1]
	v_dual_mov_b32 v23, v41 :: v_dual_mov_b32 v21, v43
	s_delay_alu instid0(VALU_DEP_1)
	v_pk_add_f32 v[20:21], v[22:23], v[20:21]
	v_pk_mul_f32 v[22:23], v[12:13], v[32:33] op_sel_hi:[0,1]
	global_store_b64 v[30:31], v[20:21], off offset:128
	global_load_b64 v[20:21], v[26:27], off
	v_pk_fma_f32 v[30:31], v[14:15], v[36:37], v[22:23] op_sel_hi:[0,1,1]
	v_pk_fma_f32 v[22:23], v[14:15], v[36:37], v[22:23] neg_lo:[0,0,1] neg_hi:[0,0,1]
	v_mul_f32_e32 v14, s26, v10
	s_delay_alu instid0(VALU_DEP_1) | instskip(SKIP_3) | instid1(VALU_DEP_2)
	v_fma_f32 v14, -v11, s14, v14
	s_wait_loadcnt 0x0
	v_pk_mul_f32 v[28:29], v[20:21], v[34:35]
	v_lshl_add_u64 v[34:35], s[20:21], 3, v[46:47]
	v_pk_fma_f32 v[32:33], v[20:21], v[38:39], v[28:29] op_sel:[0,0,1] op_sel_hi:[1,1,0]
	v_pk_fma_f32 v[20:21], v[20:21], v[38:39], v[28:29] op_sel:[0,0,1] op_sel_hi:[1,1,0] neg_lo:[0,0,1] neg_hi:[0,0,1]
	v_mov_b32_e32 v23, v31
	s_delay_alu instid0(VALU_DEP_4) | instskip(NEXT) | instid1(VALU_DEP_4)
	v_add_nc_u64_e32 v[28:29], v[34:35], v[24:25]
	v_dual_mov_b32 v24, v10 :: v_dual_mov_b32 v21, v33
	s_delay_alu instid0(VALU_DEP_1)
	v_pk_add_f32 v[20:21], v[22:23], v[20:21]
	v_mov_b64_e32 v[22:23], s[38:39]
	global_store_b64 v[28:29], v[20:21], off
	global_load_b64 v[20:21], v[26:27], off offset:128
	s_wait_loadcnt 0x0
	v_dual_mul_f32 v12, s35, v21 :: v_dual_mov_b32 v25, v20
	s_delay_alu instid0(VALU_DEP_1) | instskip(NEXT) | instid1(VALU_DEP_1)
	v_fma_f32 v12, v20, s34, -v12
	v_dual_mov_b32 v20, v11 :: v_dual_add_f32 v12, v14, v12
	s_delay_alu instid0(VALU_DEP_1) | instskip(SKIP_4) | instid1(VALU_DEP_2)
	v_pk_mul_f32 v[20:21], v[20:21], v[22:23]
	v_mov_b64_e32 v[22:23], s[36:37]
	global_store_b32 v[28:29], v12, off offset:128
	v_pk_fma_f32 v[10:11], v[24:25], v[22:23], v[20:21]
	v_add_nc_u64_e32 v[24:25], 0x80, v[28:29]
	v_add_f32_e32 v21, v10, v11
	s_branch .LBB513_2
.LBB513_10:
	s_sendmsg sendmsg(MSG_DEALLOC_VGPRS)
	s_endpgm
	.section	.rodata,"a",@progbits
	.p2align	6, 0x0
	.amdhsa_kernel _ZN12_GLOBAL__N_127rocblas_gemm_batched_kernelI19rocblas_complex_numIfELi16ELi16ELi32ELi32ELi8ELi32ELi8ELi8ELi32ELc84ELc84EKS2_S3_S2_EEvlllT_PT11_llS6_llS4_PT12_llPT13_lli
		.amdhsa_group_segment_fixed_size 4096
		.amdhsa_private_segment_fixed_size 0
		.amdhsa_kernarg_size 140
		.amdhsa_user_sgpr_count 2
		.amdhsa_user_sgpr_dispatch_ptr 0
		.amdhsa_user_sgpr_queue_ptr 0
		.amdhsa_user_sgpr_kernarg_segment_ptr 1
		.amdhsa_user_sgpr_dispatch_id 0
		.amdhsa_user_sgpr_kernarg_preload_length 0
		.amdhsa_user_sgpr_kernarg_preload_offset 0
		.amdhsa_user_sgpr_private_segment_size 0
		.amdhsa_wavefront_size32 1
		.amdhsa_uses_dynamic_stack 0
		.amdhsa_enable_private_segment 0
		.amdhsa_system_sgpr_workgroup_id_x 1
		.amdhsa_system_sgpr_workgroup_id_y 1
		.amdhsa_system_sgpr_workgroup_id_z 1
		.amdhsa_system_sgpr_workgroup_info 0
		.amdhsa_system_vgpr_workitem_id 1
		.amdhsa_next_free_vgpr 116
		.amdhsa_next_free_sgpr 44
		.amdhsa_named_barrier_count 0
		.amdhsa_reserve_vcc 1
		.amdhsa_float_round_mode_32 0
		.amdhsa_float_round_mode_16_64 0
		.amdhsa_float_denorm_mode_32 3
		.amdhsa_float_denorm_mode_16_64 3
		.amdhsa_fp16_overflow 0
		.amdhsa_memory_ordered 1
		.amdhsa_forward_progress 1
		.amdhsa_inst_pref_size 23
		.amdhsa_round_robin_scheduling 0
		.amdhsa_exception_fp_ieee_invalid_op 0
		.amdhsa_exception_fp_denorm_src 0
		.amdhsa_exception_fp_ieee_div_zero 0
		.amdhsa_exception_fp_ieee_overflow 0
		.amdhsa_exception_fp_ieee_underflow 0
		.amdhsa_exception_fp_ieee_inexact 0
		.amdhsa_exception_int_div_zero 0
	.end_amdhsa_kernel
	.section	.text._ZN12_GLOBAL__N_127rocblas_gemm_batched_kernelI19rocblas_complex_numIfELi16ELi16ELi32ELi32ELi8ELi32ELi8ELi8ELi32ELc84ELc84EKS2_S3_S2_EEvlllT_PT11_llS6_llS4_PT12_llPT13_lli,"axG",@progbits,_ZN12_GLOBAL__N_127rocblas_gemm_batched_kernelI19rocblas_complex_numIfELi16ELi16ELi32ELi32ELi8ELi32ELi8ELi8ELi32ELc84ELc84EKS2_S3_S2_EEvlllT_PT11_llS6_llS4_PT12_llPT13_lli,comdat
.Lfunc_end513:
	.size	_ZN12_GLOBAL__N_127rocblas_gemm_batched_kernelI19rocblas_complex_numIfELi16ELi16ELi32ELi32ELi8ELi32ELi8ELi8ELi32ELc84ELc84EKS2_S3_S2_EEvlllT_PT11_llS6_llS4_PT12_llPT13_lli, .Lfunc_end513-_ZN12_GLOBAL__N_127rocblas_gemm_batched_kernelI19rocblas_complex_numIfELi16ELi16ELi32ELi32ELi8ELi32ELi8ELi8ELi32ELc84ELc84EKS2_S3_S2_EEvlllT_PT11_llS6_llS4_PT12_llPT13_lli
                                        ; -- End function
	.set _ZN12_GLOBAL__N_127rocblas_gemm_batched_kernelI19rocblas_complex_numIfELi16ELi16ELi32ELi32ELi8ELi32ELi8ELi8ELi32ELc84ELc84EKS2_S3_S2_EEvlllT_PT11_llS6_llS4_PT12_llPT13_lli.num_vgpr, 116
	.set _ZN12_GLOBAL__N_127rocblas_gemm_batched_kernelI19rocblas_complex_numIfELi16ELi16ELi32ELi32ELi8ELi32ELi8ELi8ELi32ELc84ELc84EKS2_S3_S2_EEvlllT_PT11_llS6_llS4_PT12_llPT13_lli.num_agpr, 0
	.set _ZN12_GLOBAL__N_127rocblas_gemm_batched_kernelI19rocblas_complex_numIfELi16ELi16ELi32ELi32ELi8ELi32ELi8ELi8ELi32ELc84ELc84EKS2_S3_S2_EEvlllT_PT11_llS6_llS4_PT12_llPT13_lli.numbered_sgpr, 44
	.set _ZN12_GLOBAL__N_127rocblas_gemm_batched_kernelI19rocblas_complex_numIfELi16ELi16ELi32ELi32ELi8ELi32ELi8ELi8ELi32ELc84ELc84EKS2_S3_S2_EEvlllT_PT11_llS6_llS4_PT12_llPT13_lli.num_named_barrier, 0
	.set _ZN12_GLOBAL__N_127rocblas_gemm_batched_kernelI19rocblas_complex_numIfELi16ELi16ELi32ELi32ELi8ELi32ELi8ELi8ELi32ELc84ELc84EKS2_S3_S2_EEvlllT_PT11_llS6_llS4_PT12_llPT13_lli.private_seg_size, 0
	.set _ZN12_GLOBAL__N_127rocblas_gemm_batched_kernelI19rocblas_complex_numIfELi16ELi16ELi32ELi32ELi8ELi32ELi8ELi8ELi32ELc84ELc84EKS2_S3_S2_EEvlllT_PT11_llS6_llS4_PT12_llPT13_lli.uses_vcc, 1
	.set _ZN12_GLOBAL__N_127rocblas_gemm_batched_kernelI19rocblas_complex_numIfELi16ELi16ELi32ELi32ELi8ELi32ELi8ELi8ELi32ELc84ELc84EKS2_S3_S2_EEvlllT_PT11_llS6_llS4_PT12_llPT13_lli.uses_flat_scratch, 0
	.set _ZN12_GLOBAL__N_127rocblas_gemm_batched_kernelI19rocblas_complex_numIfELi16ELi16ELi32ELi32ELi8ELi32ELi8ELi8ELi32ELc84ELc84EKS2_S3_S2_EEvlllT_PT11_llS6_llS4_PT12_llPT13_lli.has_dyn_sized_stack, 0
	.set _ZN12_GLOBAL__N_127rocblas_gemm_batched_kernelI19rocblas_complex_numIfELi16ELi16ELi32ELi32ELi8ELi32ELi8ELi8ELi32ELc84ELc84EKS2_S3_S2_EEvlllT_PT11_llS6_llS4_PT12_llPT13_lli.has_recursion, 0
	.set _ZN12_GLOBAL__N_127rocblas_gemm_batched_kernelI19rocblas_complex_numIfELi16ELi16ELi32ELi32ELi8ELi32ELi8ELi8ELi32ELc84ELc84EKS2_S3_S2_EEvlllT_PT11_llS6_llS4_PT12_llPT13_lli.has_indirect_call, 0
	.section	.AMDGPU.csdata,"",@progbits
; Kernel info:
; codeLenInByte = 2820
; TotalNumSgprs: 46
; NumVgprs: 116
; ScratchSize: 0
; MemoryBound: 0
; FloatMode: 240
; IeeeMode: 1
; LDSByteSize: 4096 bytes/workgroup (compile time only)
; SGPRBlocks: 0
; VGPRBlocks: 7
; NumSGPRsForWavesPerEU: 46
; NumVGPRsForWavesPerEU: 116
; NamedBarCnt: 0
; Occupancy: 8
; WaveLimiterHint : 1
; COMPUTE_PGM_RSRC2:SCRATCH_EN: 0
; COMPUTE_PGM_RSRC2:USER_SGPR: 2
; COMPUTE_PGM_RSRC2:TRAP_HANDLER: 0
; COMPUTE_PGM_RSRC2:TGID_X_EN: 1
; COMPUTE_PGM_RSRC2:TGID_Y_EN: 1
; COMPUTE_PGM_RSRC2:TGID_Z_EN: 1
; COMPUTE_PGM_RSRC2:TIDIG_COMP_CNT: 1
	.section	.text._ZN12_GLOBAL__N_127rocblas_gemm_batched_kernelI19rocblas_complex_numIfELi16ELi16ELi32ELi32ELi8ELi32ELi8ELi8ELi32ELc67ELc67EKS2_S3_S2_EEvlllT_PT11_llS6_llS4_PT12_llPT13_lli,"axG",@progbits,_ZN12_GLOBAL__N_127rocblas_gemm_batched_kernelI19rocblas_complex_numIfELi16ELi16ELi32ELi32ELi8ELi32ELi8ELi8ELi32ELc67ELc67EKS2_S3_S2_EEvlllT_PT11_llS6_llS4_PT12_llPT13_lli,comdat
	.globl	_ZN12_GLOBAL__N_127rocblas_gemm_batched_kernelI19rocblas_complex_numIfELi16ELi16ELi32ELi32ELi8ELi32ELi8ELi8ELi32ELc67ELc67EKS2_S3_S2_EEvlllT_PT11_llS6_llS4_PT12_llPT13_lli ; -- Begin function _ZN12_GLOBAL__N_127rocblas_gemm_batched_kernelI19rocblas_complex_numIfELi16ELi16ELi32ELi32ELi8ELi32ELi8ELi8ELi32ELc67ELc67EKS2_S3_S2_EEvlllT_PT11_llS6_llS4_PT12_llPT13_lli
	.p2align	8
	.type	_ZN12_GLOBAL__N_127rocblas_gemm_batched_kernelI19rocblas_complex_numIfELi16ELi16ELi32ELi32ELi8ELi32ELi8ELi8ELi32ELc67ELc67EKS2_S3_S2_EEvlllT_PT11_llS6_llS4_PT12_llPT13_lli,@function
_ZN12_GLOBAL__N_127rocblas_gemm_batched_kernelI19rocblas_complex_numIfELi16ELi16ELi32ELi32ELi8ELi32ELi8ELi8ELi32ELc67ELc67EKS2_S3_S2_EEvlllT_PT11_llS6_llS4_PT12_llPT13_lli: ; @_ZN12_GLOBAL__N_127rocblas_gemm_batched_kernelI19rocblas_complex_numIfELi16ELi16ELi32ELi32ELi8ELi32ELi8ELi8ELi32ELc67ELc67EKS2_S3_S2_EEvlllT_PT11_llS6_llS4_PT12_llPT13_lli
; %bb.0:
	s_load_b32 s33, s[0:1], 0x88
	s_bfe_u32 s2, ttmp6, 0x40014
	s_lshr_b32 s3, ttmp7, 16
	s_add_co_i32 s2, s2, 1
	s_bfe_u32 s4, ttmp6, 0x40008
	s_mul_i32 s2, s3, s2
	s_getreg_b32 s24, hwreg(HW_REG_IB_STS2, 6, 4)
	s_add_co_i32 s4, s4, s2
	s_cmp_eq_u32 s24, 0
	s_cselect_b32 s2, s3, s4
	s_mov_b32 s3, 0
	s_wait_kmcnt 0x0
	s_cmp_ge_i32 s2, s33
	s_cbranch_scc1 .LBB514_10
; %bb.1:
	v_bfe_u32 v4, v0, 10, 10
	v_and_b32_e32 v2, 0x3ff, v0
	s_bfe_u32 s25, ttmp6, 0x4000c
	s_bfe_u32 s27, ttmp6, 0x40010
	s_clause 0x1
	s_load_b256 s[12:19], s[0:1], 0x20
	s_load_b128 s[20:23], s[0:1], 0x78
	s_add_co_i32 s25, s25, 1
	s_and_b32 s36, ttmp7, 0xffff
	s_add_co_i32 s27, s27, 1
	s_and_b32 s26, ttmp6, 15
	s_mul_i32 s25, ttmp9, s25
	s_mul_i32 s27, s36, s27
	s_bfe_u32 s37, ttmp6, 0x40004
	v_lshl_add_u32 v3, v4, 4, v2
	v_mov_b32_e32 v5, 0
	s_add_co_i32 s26, s26, s25
	s_add_co_i32 s37, s37, s27
	s_load_b256 s[4:11], s[0:1], 0x58
	s_cmp_eq_u32 s24, 0
	v_and_b32_e32 v12, 31, v3
	s_cselect_b32 s25, s36, s37
	s_cselect_b32 s24, ttmp9, s26
	v_dual_mov_b32 v7, v5 :: v_dual_lshrrev_b32 v6, 3, v3
	s_clause 0x1
	s_load_b128 s[28:31], s[0:1], 0x40
	s_load_b64 s[34:35], s[0:1], 0x50
	s_lshl_b32 s36, s25, 5
	s_ashr_i32 s25, s24, 31
	s_mov_b32 s37, s3
	s_lshl_b64 s[38:39], s[24:25], 5
	v_add_nc_u64_e32 v[8:9], s[36:37], v[6:7]
	v_dual_mov_b32 v1, s39 :: v_dual_bitop2_b32 v7, 7, v0 bitop3:0x40
	v_dual_lshrrev_b32 v14, 5, v3 :: v_dual_bitop2_b32 v0, s38, v12 bitop3:0x54
	v_add_nc_u64_e32 v[10:11], s[36:37], v[4:5]
	s_load_b128 s[24:27], s[0:1], 0x10
	v_lshl_add_u32 v19, v4, 6, 0x800
	s_wait_kmcnt 0x0
	v_mul_u64_e32 v[20:21], s[14:15], v[0:1]
	v_dual_lshlrev_b32 v0, 3, v7 :: v_dual_lshlrev_b32 v1, 3, v12
	v_lshlrev_b32_e32 v4, 3, v14
	v_mul_u64_e32 v[22:23], s[6:7], v[10:11]
	v_dual_mov_b32 v3, v5 :: v_dual_lshlrev_b32 v17, 3, v2
	s_delay_alu instid0(VALU_DEP_4)
	v_lshl_or_b32 v0, v6, 6, v0
	v_mad_nc_u64_u32 v[8:9], s28, v7, v[8:9]
	v_lshl_or_b32 v13, v14, 8, v1
	s_or_b32 s0, s34, s35
	v_add_nc_u64_e32 v[2:3], s[38:39], v[2:3]
	v_add_nc_u32_e32 v15, 0x800, v0
	v_mul_u64_e32 v[0:1], s[20:21], v[10:11]
	s_bitset0_b32 s0, 31
	s_mov_b32 s37, s35
	s_cmp_eq_u32 s0, 0
	s_mov_b32 s39, s34
	v_cmp_gt_i64_e64 s0, s[24:25], 0
	v_mad_u32 v9, s29, v7, v9
	s_cselect_b32 s1, -1, 0
	s_mov_b32 s14, s27
	s_mov_b32 s15, s26
	s_lshl_b64 s[20:21], s[20:21], 4
	s_lshl_b64 s[6:7], s[6:7], 4
	v_cndmask_b32_e64 v10, 0, 1, s0
	s_mov_b32 s36, s27
	s_mov_b32 s38, s26
	;; [unrolled: 1-line block ×4, first 2 shown]
	v_lshl_add_u64 v[6:7], v[8:9], 3, s[18:19]
	v_cmp_ne_u32_e64 s0, 1, v10
	v_lshl_add_u64 v[4:5], v[20:21], 3, v[4:5]
	s_mov_b32 s42, s35
	s_mov_b32 s43, s35
	v_add_nc_u64_e32 v[6:7], 4, v[6:7]
	v_lshl_add_u64 v[8:9], v[22:23], 3, s[4:5]
	v_add_nc_u64_e32 v[4:5], s[12:13], v[4:5]
	s_lshl_b64 s[4:5], s[16:17], 3
	s_lshl_b64 s[12:13], s[30:31], 3
	;; [unrolled: 1-line block ×3, first 2 shown]
	s_branch .LBB514_3
.LBB514_2:                              ;   in Loop: Header=BB514_3 Depth=1
	s_add_co_i32 s2, s2, 0x10000
	global_store_b32 v[24:25], v21, off offset:4
	s_cmp_lt_i32 s2, s33
	s_cbranch_scc0 .LBB514_10
.LBB514_3:                              ; =>This Loop Header: Depth=1
                                        ;     Child Loop BB514_5 Depth 2
	v_dual_mov_b32 v11, 0 :: v_dual_mov_b32 v10, 0
	v_dual_mov_b32 v20, 0 :: v_dual_mov_b32 v22, 0
	;; [unrolled: 1-line block ×3, first 2 shown]
	s_wait_xcnt 0x1
	v_dual_mov_b32 v14, 0 :: v_dual_mov_b32 v12, 0
	s_and_b32 vcc_lo, exec_lo, s0
	s_cbranch_vccnz .LBB514_6
; %bb.4:                                ;   in Loop: Header=BB514_3 Depth=1
	s_wait_xcnt 0x0
	v_mad_nc_u64_u32 v[24:25], s4, s2, v[4:5]
	v_mad_nc_u64_u32 v[26:27], s12, s2, v[6:7]
	v_dual_mov_b32 v12, 0 :: v_dual_mov_b32 v14, 0
	v_dual_mov_b32 v18, 0 :: v_dual_mov_b32 v16, 0
	;; [unrolled: 1-line block ×3, first 2 shown]
	s_delay_alu instid0(VALU_DEP_3)
	v_dual_mov_b32 v10, 0 :: v_dual_mov_b32 v11, v12
	s_mov_b64 s[18:19], 0
	v_mad_u32 v25, s5, s2, v25
	v_mad_u32 v27, s13, s2, v27
.LBB514_5:                              ;   Parent Loop BB514_3 Depth=1
                                        ; =>  This Inner Loop Header: Depth=2
	global_load_b64 v[28:29], v[24:25], off
	global_load_b64 v[30:31], v[26:27], off offset:-4
	s_add_nc_u64 s[18:19], s[18:19], 8
	s_wait_xcnt 0x1
	v_add_nc_u64_e32 v[24:25], 64, v[24:25]
	v_cmp_lt_i64_e64 s28, s[18:19], s[24:25]
	s_wait_xcnt 0x0
	v_add_nc_u64_e32 v[26:27], s[16:17], v[26:27]
	s_and_b32 vcc_lo, exec_lo, s28
	s_wait_loadcnt 0x1
	v_xor_b32_e32 v29, 0x80000000, v29
	s_wait_loadcnt 0x0
	v_xor_b32_e32 v31, 0x80000000, v31
	ds_store_b64 v13, v[28:29]
	ds_store_b64 v15, v[30:31]
	s_wait_dscnt 0x0
	s_barrier_signal -1
	s_barrier_wait -1
	ds_load_b128 v[28:31], v19
	ds_load_2addr_b64 v[32:35], v17 offset1:16
	ds_load_2addr_b64 v[36:39], v17 offset0:32 offset1:48
	ds_load_b128 v[40:43], v19 offset:16
	ds_load_b128 v[44:47], v19 offset:1024
	;; [unrolled: 1-line block ×3, first 2 shown]
	ds_load_2addr_b64 v[52:55], v17 offset0:64 offset1:80
	ds_load_2addr_b64 v[56:59], v17 offset0:96 offset1:112
	;; [unrolled: 1-line block ×4, first 2 shown]
	ds_load_b128 v[68:71], v19 offset:32
	ds_load_b128 v[72:75], v19 offset:48
	ds_load_2addr_b64 v[76:79], v17 offset0:192 offset1:208
	ds_load_2addr_b64 v[80:83], v17 offset0:224 offset1:240
	ds_load_b128 v[84:87], v19 offset:1056
	ds_load_b128 v[88:91], v19 offset:1072
	s_wait_dscnt 0x0
	s_barrier_signal -1
	s_barrier_wait -1
	v_dual_mul_f32 v21, v29, v33 :: v_dual_mul_f32 v23, v28, v33
	v_dual_mul_f32 v96, v29, v35 :: v_dual_mul_f32 v97, v28, v35
	;; [unrolled: 1-line block ×3, first 2 shown]
	v_dual_mov_b32 v94, v47 :: v_dual_mov_b32 v95, v46
	v_dual_mul_f32 v98, v31, v37 :: v_dual_mul_f32 v99, v30, v37
	v_dual_mul_f32 v100, v31, v39 :: v_dual_mul_f32 v101, v30, v39
	v_pk_mul_f32 v[92:93], v[44:45], v[34:35] op_sel:[1,1] op_sel_hi:[0,1]
	v_dual_fma_f32 v21, v28, v32, -v21 :: v_dual_fmac_f32 v23, v29, v32
	v_dual_fma_f32 v102, v44, v32, -v102 :: v_dual_fmac_f32 v103, v45, v32
	v_pk_mul_f32 v[32:33], v[94:95], v[38:39] op_sel:[0,1]
	v_dual_fma_f32 v96, v28, v34, -v96 :: v_dual_fmac_f32 v97, v29, v34
	v_dual_fma_f32 v98, v30, v36, -v98 :: v_dual_fmac_f32 v99, v31, v36
	;; [unrolled: 1-line block ×3, first 2 shown]
	v_pk_fma_f32 v[28:29], v[44:45], v[34:35], v[92:93] neg_lo:[0,0,1] neg_hi:[0,0,1]
	v_pk_fma_f32 v[30:31], v[44:45], v[34:35], v[92:93] op_sel_hi:[1,0,1]
	v_pk_fma_f32 v[34:35], v[46:47], v[38:39], v[32:33] neg_lo:[0,0,1] neg_hi:[0,0,1]
	v_pk_fma_f32 v[32:33], v[46:47], v[38:39], v[32:33] op_sel_hi:[1,0,1]
	v_dual_mov_b32 v38, v51 :: v_dual_mov_b32 v39, v50
	v_dual_mul_f32 v104, v47, v37 :: v_dual_mul_f32 v105, v46, v37
	v_dual_mul_f32 v106, v41, v53 :: v_dual_mul_f32 v107, v40, v53
	;; [unrolled: 1-line block ×5, first 2 shown]
	v_pk_mul_f32 v[38:39], v[38:39], v[58:59] op_sel:[0,1]
	v_dual_mul_f32 v29, v49, v53 :: v_dual_mul_f32 v30, v48, v53
	v_dual_fma_f32 v92, v46, v36, -v104 :: v_dual_fmac_f32 v105, v47, v36
	v_pk_mul_f32 v[36:37], v[48:49], v[54:55] op_sel:[1,1] op_sel_hi:[0,1]
	v_dual_fma_f32 v95, v40, v52, -v106 :: v_dual_fmac_f32 v107, v41, v52
	v_dual_fma_f32 v104, v40, v54, -v108 :: v_dual_fmac_f32 v109, v41, v54
	;; [unrolled: 1-line block ×4, first 2 shown]
	v_pk_fma_f32 v[42:43], v[50:51], v[58:59], v[38:39] neg_lo:[0,0,1] neg_hi:[0,0,1]
	v_pk_fma_f32 v[38:39], v[50:51], v[58:59], v[38:39] op_sel_hi:[1,0,1]
	v_dual_mul_f32 v35, v69, v61 :: v_dual_mul_f32 v94, v68, v61
	v_dual_mul_f32 v53, v69, v63 :: v_dual_mul_f32 v110, v68, v63
	v_dual_fma_f32 v112, v48, v52, -v29 :: v_dual_fmac_f32 v30, v49, v52
	v_dual_mul_f32 v29, v71, v65 :: v_dual_mul_f32 v38, v71, v67
	v_mul_f32_e32 v114, v70, v67
	v_pk_fma_f32 v[40:41], v[48:49], v[54:55], v[36:37] neg_lo:[0,0,1] neg_hi:[0,0,1]
	v_pk_fma_f32 v[36:37], v[48:49], v[54:55], v[36:37] op_sel_hi:[1,0,1]
	v_dual_mov_b32 v46, v87 :: v_dual_mov_b32 v47, v86
	v_mul_f32_e32 v36, v70, v65
	v_dual_mul_f32 v41, v85, v61 :: v_dual_mul_f32 v61, v84, v61
	v_dual_fma_f32 v115, v68, v60, -v35 :: v_dual_fmac_f32 v94, v69, v60
	v_dual_fma_f32 v68, v68, v62, -v53 :: v_dual_fmac_f32 v110, v69, v62
	s_delay_alu instid0(VALU_DEP_4)
	v_dual_fma_f32 v69, v70, v64, -v29 :: v_dual_fmac_f32 v36, v71, v64
	v_dual_fma_f32 v38, v70, v66, -v38 :: v_dual_mul_f32 v29, v87, v65
	v_dual_mul_f32 v32, v51, v57 :: v_dual_mul_f32 v93, v50, v57
	v_pk_mul_f32 v[46:47], v[46:47], v[66:67] op_sel:[0,1]
	v_dual_fmac_f32 v114, v71, v66 :: v_dual_mul_f32 v65, v86, v65
	v_dual_fma_f32 v70, v84, v60, -v41 :: v_dual_mul_f32 v35, v73, v77
	v_fmac_f32_e32 v61, v85, v60
	v_dual_fma_f32 v60, v86, v64, -v29 :: v_dual_mul_f32 v29, v73, v79
	v_dual_fma_f32 v32, v50, v56, -v32 :: v_dual_fmac_f32 v93, v51, v56
	v_pk_mul_f32 v[44:45], v[84:85], v[62:63] op_sel:[1,1] op_sel_hi:[0,1]
	v_pk_fma_f32 v[50:51], v[86:87], v[66:67], v[46:47] neg_lo:[0,0,1] neg_hi:[0,0,1]
	v_pk_fma_f32 v[46:47], v[86:87], v[66:67], v[46:47] op_sel_hi:[1,0,1]
	v_pk_mul_f32 v[52:53], v[88:89], v[78:79] op_sel:[1,1] op_sel_hi:[0,1]
	v_dual_fmac_f32 v65, v87, v64 :: v_dual_mul_f32 v46, v72, v79
	v_dual_mul_f32 v41, v75, v81 :: v_dual_mul_f32 v43, v75, v83
	v_dual_fma_f32 v67, v72, v78, -v29 :: v_dual_mul_f32 v29, v91, v81
	v_pk_fma_f32 v[48:49], v[84:85], v[62:63], v[44:45] neg_lo:[0,0,1] neg_hi:[0,0,1]
	v_pk_fma_f32 v[44:45], v[84:85], v[62:63], v[44:45] op_sel_hi:[1,0,1]
	v_pk_fma_f32 v[54:55], v[88:89], v[78:79], v[52:53] neg_lo:[0,0,1] neg_hi:[0,0,1]
	v_pk_fma_f32 v[52:53], v[88:89], v[78:79], v[52:53] op_sel_hi:[1,0,1]
	v_mul_f32_e32 v44, v72, v77
	v_dual_mul_f32 v62, v74, v81 :: v_dual_mul_f32 v63, v74, v83
	v_dual_mul_f32 v49, v89, v77 :: v_dual_mul_f32 v64, v88, v77
	s_delay_alu instid0(VALU_DEP_3) | instskip(NEXT) | instid1(VALU_DEP_3)
	v_dual_fma_f32 v66, v72, v76, -v35 :: v_dual_fmac_f32 v44, v73, v76
	v_dual_fma_f32 v71, v74, v80, -v41 :: v_dual_fmac_f32 v62, v75, v80
	v_fma_f32 v72, v74, v82, -v43
	v_dual_mul_f32 v52, v90, v81 :: v_dual_fma_f32 v74, v90, v80, -v29
	v_dual_add_f32 v14, v14, v102 :: v_dual_mov_b32 v29, v31
	v_dual_add_f32 v20, v20, v21 :: v_dual_add_f32 v21, v22, v23
	v_dual_add_f32 v16, v16, v96 :: v_dual_add_f32 v18, v18, v97
	v_dual_add_f32 v12, v12, v103 :: v_dual_mov_b32 v41, v37
	s_delay_alu instid0(VALU_DEP_4) | instskip(SKIP_4) | instid1(VALU_DEP_4)
	v_pk_add_f32 v[10:11], v[10:11], v[28:29]
	v_dual_mov_b32 v35, v33 :: v_dual_mov_b32 v43, v39
	v_dual_add_f32 v20, v20, v98 :: v_dual_add_f32 v21, v21, v99
	v_dual_add_f32 v16, v16, v100 :: v_dual_add_f32 v18, v18, v101
	;; [unrolled: 1-line block ×3, first 2 shown]
	v_pk_add_f32 v[10:11], v[10:11], v[34:35]
	v_dual_mov_b32 v56, v91 :: v_dual_mov_b32 v57, v90
	s_delay_alu instid0(VALU_DEP_4)
	v_dual_add_f32 v20, v20, v95 :: v_dual_add_f32 v18, v18, v109
	v_dual_add_f32 v21, v21, v107 :: v_dual_add_f32 v16, v16, v104
	;; [unrolled: 1-line block ×3, first 2 shown]
	v_pk_add_f32 v[10:11], v[10:11], v[40:41]
	v_dual_fmac_f32 v46, v73, v78 :: v_dual_fma_f32 v73, v88, v76, -v49
	v_pk_mul_f32 v[56:57], v[56:57], v[82:83] op_sel:[0,1]
	v_dual_mov_b32 v49, v45 :: v_dual_mov_b32 v55, v53
	v_dual_add_f32 v20, v20, v106 :: v_dual_add_f32 v21, v21, v111
	v_dual_add_f32 v16, v16, v108 :: v_dual_add_f32 v18, v18, v113
	;; [unrolled: 1-line block ×3, first 2 shown]
	v_pk_add_f32 v[10:11], v[10:11], v[42:43]
	v_pk_fma_f32 v[58:59], v[90:91], v[82:83], v[56:57] neg_lo:[0,0,1] neg_hi:[0,0,1]
	v_pk_fma_f32 v[56:57], v[90:91], v[82:83], v[56:57] op_sel_hi:[1,0,1]
	v_dual_mov_b32 v51, v47 :: v_dual_add_f32 v20, v20, v115
	v_dual_add_f32 v21, v21, v94 :: v_dual_add_f32 v16, v16, v68
	v_add_f32_e32 v18, v18, v110
	v_dual_add_f32 v14, v14, v70 :: v_dual_add_f32 v12, v12, v61
	v_pk_add_f32 v[10:11], v[10:11], v[48:49]
	v_dual_fmac_f32 v63, v75, v82 :: v_dual_fmac_f32 v64, v89, v76
	v_dual_mov_b32 v59, v57 :: v_dual_add_f32 v20, v20, v69
	v_dual_add_f32 v21, v21, v36 :: v_dual_add_f32 v16, v16, v38
	v_add_f32_e32 v14, v14, v60
	v_dual_add_f32 v18, v18, v114 :: v_dual_add_f32 v12, v12, v65
	v_pk_add_f32 v[10:11], v[10:11], v[50:51]
	v_dual_fmac_f32 v52, v91, v80 :: v_dual_add_f32 v20, v20, v66
	v_dual_add_f32 v21, v21, v44 :: v_dual_add_f32 v16, v16, v67
	s_delay_alu instid0(VALU_DEP_4) | instskip(SKIP_2) | instid1(VALU_DEP_4)
	v_add_f32_e32 v18, v18, v46
	v_dual_add_f32 v14, v14, v73 :: v_dual_add_f32 v12, v12, v64
	v_pk_add_f32 v[10:11], v[10:11], v[54:55]
	v_dual_add_f32 v20, v20, v71 :: v_dual_add_f32 v22, v21, v62
	s_delay_alu instid0(VALU_DEP_4) | instskip(NEXT) | instid1(VALU_DEP_4)
	v_dual_add_f32 v16, v16, v72 :: v_dual_add_f32 v18, v18, v63
	v_dual_add_f32 v14, v14, v74 :: v_dual_add_f32 v12, v12, v52
	s_delay_alu instid0(VALU_DEP_4)
	v_pk_add_f32 v[10:11], v[10:11], v[58:59]
	s_cbranch_vccnz .LBB514_5
.LBB514_6:                              ;   in Loop: Header=BB514_3 Depth=1
	s_mul_u64 s[18:19], s[22:23], s[2:3]
	s_and_not1_b32 vcc_lo, exec_lo, s1
	s_lshl_b64 s[18:19], s[18:19], 3
	s_mov_b32 s28, -1
	s_add_nc_u64 s[18:19], s[10:11], s[18:19]
                                        ; implicit-def: $vgpr21
                                        ; implicit-def: $vgpr24_vgpr25
	s_cbranch_vccz .LBB514_8
; %bb.7:                                ;   in Loop: Header=BB514_3 Depth=1
	s_and_not1_b32 vcc_lo, exec_lo, s28
	s_cbranch_vccnz .LBB514_2
	s_branch .LBB514_9
.LBB514_8:                              ;   in Loop: Header=BB514_3 Depth=1
	s_wait_xcnt 0x0
	v_mov_b64_e32 v[24:25], s[14:15]
	v_lshl_add_u64 v[26:27], v[0:1], 3, s[18:19]
	v_mov_b64_e32 v[30:31], s[26:27]
	v_lshlrev_b64_e32 v[28:29], 3, v[2:3]
	s_delay_alu instid0(VALU_DEP_3)
	v_lshl_add_u64 v[36:37], s[20:21], 3, v[26:27]
	v_pk_mul_f32 v[32:33], v[22:23], v[24:25] op_sel_hi:[0,1]
	v_pk_mul_f32 v[34:35], v[18:19], v[24:25] op_sel_hi:[0,1]
	;; [unrolled: 1-line block ×3, first 2 shown]
	v_add_nc_u64_e32 v[26:27], v[26:27], v[28:29]
	v_add_nc_u64_e32 v[28:29], v[36:37], v[28:29]
	v_pk_fma_f32 v[40:41], v[20:21], v[30:31], v[32:33] neg_lo:[0,0,1] neg_hi:[0,0,1]
	v_pk_fma_f32 v[32:33], v[20:21], v[30:31], v[32:33] op_sel_hi:[0,1,1]
	v_pk_fma_f32 v[42:43], v[16:17], v[30:31], v[34:35] neg_lo:[0,0,1] neg_hi:[0,0,1]
	v_pk_fma_f32 v[34:35], v[16:17], v[30:31], v[34:35] op_sel_hi:[0,1,1]
	v_pk_fma_f32 v[36:37], v[14:15], v[30:31], v[38:39] op_sel_hi:[0,1,1]
	s_delay_alu instid0(VALU_DEP_4)
	v_dual_mul_f32 v21, s26, v10 :: v_dual_mov_b32 v41, v33
	v_pk_mul_f32 v[32:33], v[10:11], v[24:25]
	v_add_nc_u64_e32 v[24:25], 0x80, v[28:29]
	v_pk_fma_f32 v[30:31], v[14:15], v[30:31], v[38:39] neg_lo:[0,0,1] neg_hi:[0,0,1]
	v_dual_mov_b32 v43, v35 :: v_dual_mov_b32 v31, v37
	v_fma_f32 v23, -v11, s14, v21
	v_add_f32_e32 v21, v32, v33
	s_clause 0x3
	global_store_b64 v[26:27], v[40:41], off
	global_store_b64 v[26:27], v[42:43], off offset:128
	global_store_b64 v[28:29], v[30:31], off
	global_store_b32 v[28:29], v23, off offset:128
	s_cbranch_execnz .LBB514_2
.LBB514_9:                              ;   in Loop: Header=BB514_3 Depth=1
	s_mul_u64 s[28:29], s[8:9], s[2:3]
	s_wait_xcnt 0x0
	v_lshlrev_b64_e32 v[24:25], 3, v[2:3]
	s_wait_xcnt 0x2
	v_lshl_add_u64 v[26:27], s[28:29], 3, v[8:9]
	v_mov_b64_e32 v[32:33], s[14:15]
	v_mov_b64_e32 v[34:35], s[42:43]
	;; [unrolled: 1-line block ×4, first 2 shown]
	v_lshl_add_u64 v[46:47], v[0:1], 3, s[18:19]
	s_wait_xcnt 0x0
	v_add_nc_u64_e32 v[28:29], v[26:27], v[24:25]
	v_lshl_add_u64 v[26:27], s[6:7], 3, v[26:27]
	v_pk_mul_f32 v[22:23], v[22:23], v[32:33] op_sel_hi:[0,1]
	s_delay_alu instid0(VALU_DEP_2)
	v_add_nc_u64_e32 v[26:27], v[26:27], v[24:25]
	global_load_b64 v[30:31], v[28:29], off
	v_pk_fma_f32 v[42:43], v[20:21], v[36:37], v[22:23] op_sel_hi:[0,1,1]
	v_pk_fma_f32 v[20:21], v[20:21], v[36:37], v[22:23] neg_lo:[0,0,1] neg_hi:[0,0,1]
	s_wait_loadcnt 0x0
	v_pk_mul_f32 v[40:41], v[30:31], v[34:35]
	s_delay_alu instid0(VALU_DEP_1) | instskip(SKIP_3) | instid1(VALU_DEP_4)
	v_pk_fma_f32 v[44:45], v[30:31], v[38:39], v[40:41] op_sel:[0,0,1] op_sel_hi:[1,1,0]
	v_pk_fma_f32 v[22:23], v[30:31], v[38:39], v[40:41] op_sel:[0,0,1] op_sel_hi:[1,1,0] neg_lo:[0,0,1] neg_hi:[0,0,1]
	v_mov_b32_e32 v21, v43
	v_add_nc_u64_e32 v[30:31], v[46:47], v[24:25]
	v_mov_b32_e32 v23, v45
	s_delay_alu instid0(VALU_DEP_1)
	v_pk_add_f32 v[20:21], v[20:21], v[22:23]
	v_pk_mul_f32 v[22:23], v[18:19], v[32:33] op_sel_hi:[0,1]
	global_store_b64 v[30:31], v[20:21], off
	global_load_b64 v[20:21], v[28:29], off offset:128
	v_pk_fma_f32 v[40:41], v[16:17], v[36:37], v[22:23] op_sel_hi:[0,1,1]
	v_pk_fma_f32 v[22:23], v[16:17], v[36:37], v[22:23] neg_lo:[0,0,1] neg_hi:[0,0,1]
	s_wait_loadcnt 0x0
	s_wait_xcnt 0x0
	v_pk_mul_f32 v[28:29], v[20:21], v[34:35]
	s_delay_alu instid0(VALU_DEP_1) | instskip(SKIP_1) | instid1(VALU_DEP_2)
	v_pk_fma_f32 v[42:43], v[20:21], v[38:39], v[28:29] op_sel:[0,0,1] op_sel_hi:[1,1,0]
	v_pk_fma_f32 v[20:21], v[20:21], v[38:39], v[28:29] op_sel:[0,0,1] op_sel_hi:[1,1,0] neg_lo:[0,0,1] neg_hi:[0,0,1]
	v_dual_mov_b32 v23, v41 :: v_dual_mov_b32 v21, v43
	s_delay_alu instid0(VALU_DEP_1)
	v_pk_add_f32 v[20:21], v[22:23], v[20:21]
	v_pk_mul_f32 v[22:23], v[12:13], v[32:33] op_sel_hi:[0,1]
	global_store_b64 v[30:31], v[20:21], off offset:128
	global_load_b64 v[20:21], v[26:27], off
	v_pk_fma_f32 v[30:31], v[14:15], v[36:37], v[22:23] op_sel_hi:[0,1,1]
	v_pk_fma_f32 v[22:23], v[14:15], v[36:37], v[22:23] neg_lo:[0,0,1] neg_hi:[0,0,1]
	v_mul_f32_e32 v14, s26, v10
	s_delay_alu instid0(VALU_DEP_1) | instskip(SKIP_3) | instid1(VALU_DEP_2)
	v_fma_f32 v14, -v11, s14, v14
	s_wait_loadcnt 0x0
	v_pk_mul_f32 v[28:29], v[20:21], v[34:35]
	v_lshl_add_u64 v[34:35], s[20:21], 3, v[46:47]
	v_pk_fma_f32 v[32:33], v[20:21], v[38:39], v[28:29] op_sel:[0,0,1] op_sel_hi:[1,1,0]
	v_pk_fma_f32 v[20:21], v[20:21], v[38:39], v[28:29] op_sel:[0,0,1] op_sel_hi:[1,1,0] neg_lo:[0,0,1] neg_hi:[0,0,1]
	v_mov_b32_e32 v23, v31
	s_delay_alu instid0(VALU_DEP_4) | instskip(NEXT) | instid1(VALU_DEP_4)
	v_add_nc_u64_e32 v[28:29], v[34:35], v[24:25]
	v_dual_mov_b32 v24, v10 :: v_dual_mov_b32 v21, v33
	s_delay_alu instid0(VALU_DEP_1)
	v_pk_add_f32 v[20:21], v[22:23], v[20:21]
	v_mov_b64_e32 v[22:23], s[38:39]
	global_store_b64 v[28:29], v[20:21], off
	global_load_b64 v[20:21], v[26:27], off offset:128
	s_wait_loadcnt 0x0
	v_dual_mul_f32 v12, s35, v21 :: v_dual_mov_b32 v25, v20
	s_delay_alu instid0(VALU_DEP_1) | instskip(NEXT) | instid1(VALU_DEP_1)
	v_fma_f32 v12, v20, s34, -v12
	v_dual_mov_b32 v20, v11 :: v_dual_add_f32 v12, v14, v12
	s_delay_alu instid0(VALU_DEP_1) | instskip(SKIP_4) | instid1(VALU_DEP_2)
	v_pk_mul_f32 v[20:21], v[20:21], v[22:23]
	v_mov_b64_e32 v[22:23], s[36:37]
	global_store_b32 v[28:29], v12, off offset:128
	v_pk_fma_f32 v[10:11], v[24:25], v[22:23], v[20:21]
	v_add_nc_u64_e32 v[24:25], 0x80, v[28:29]
	v_add_f32_e32 v21, v10, v11
	s_branch .LBB514_2
.LBB514_10:
	s_sendmsg sendmsg(MSG_DEALLOC_VGPRS)
	s_endpgm
	.section	.rodata,"a",@progbits
	.p2align	6, 0x0
	.amdhsa_kernel _ZN12_GLOBAL__N_127rocblas_gemm_batched_kernelI19rocblas_complex_numIfELi16ELi16ELi32ELi32ELi8ELi32ELi8ELi8ELi32ELc67ELc67EKS2_S3_S2_EEvlllT_PT11_llS6_llS4_PT12_llPT13_lli
		.amdhsa_group_segment_fixed_size 4096
		.amdhsa_private_segment_fixed_size 0
		.amdhsa_kernarg_size 140
		.amdhsa_user_sgpr_count 2
		.amdhsa_user_sgpr_dispatch_ptr 0
		.amdhsa_user_sgpr_queue_ptr 0
		.amdhsa_user_sgpr_kernarg_segment_ptr 1
		.amdhsa_user_sgpr_dispatch_id 0
		.amdhsa_user_sgpr_kernarg_preload_length 0
		.amdhsa_user_sgpr_kernarg_preload_offset 0
		.amdhsa_user_sgpr_private_segment_size 0
		.amdhsa_wavefront_size32 1
		.amdhsa_uses_dynamic_stack 0
		.amdhsa_enable_private_segment 0
		.amdhsa_system_sgpr_workgroup_id_x 1
		.amdhsa_system_sgpr_workgroup_id_y 1
		.amdhsa_system_sgpr_workgroup_id_z 1
		.amdhsa_system_sgpr_workgroup_info 0
		.amdhsa_system_vgpr_workitem_id 1
		.amdhsa_next_free_vgpr 116
		.amdhsa_next_free_sgpr 44
		.amdhsa_named_barrier_count 0
		.amdhsa_reserve_vcc 1
		.amdhsa_float_round_mode_32 0
		.amdhsa_float_round_mode_16_64 0
		.amdhsa_float_denorm_mode_32 3
		.amdhsa_float_denorm_mode_16_64 3
		.amdhsa_fp16_overflow 0
		.amdhsa_memory_ordered 1
		.amdhsa_forward_progress 1
		.amdhsa_inst_pref_size 23
		.amdhsa_round_robin_scheduling 0
		.amdhsa_exception_fp_ieee_invalid_op 0
		.amdhsa_exception_fp_denorm_src 0
		.amdhsa_exception_fp_ieee_div_zero 0
		.amdhsa_exception_fp_ieee_overflow 0
		.amdhsa_exception_fp_ieee_underflow 0
		.amdhsa_exception_fp_ieee_inexact 0
		.amdhsa_exception_int_div_zero 0
	.end_amdhsa_kernel
	.section	.text._ZN12_GLOBAL__N_127rocblas_gemm_batched_kernelI19rocblas_complex_numIfELi16ELi16ELi32ELi32ELi8ELi32ELi8ELi8ELi32ELc67ELc67EKS2_S3_S2_EEvlllT_PT11_llS6_llS4_PT12_llPT13_lli,"axG",@progbits,_ZN12_GLOBAL__N_127rocblas_gemm_batched_kernelI19rocblas_complex_numIfELi16ELi16ELi32ELi32ELi8ELi32ELi8ELi8ELi32ELc67ELc67EKS2_S3_S2_EEvlllT_PT11_llS6_llS4_PT12_llPT13_lli,comdat
.Lfunc_end514:
	.size	_ZN12_GLOBAL__N_127rocblas_gemm_batched_kernelI19rocblas_complex_numIfELi16ELi16ELi32ELi32ELi8ELi32ELi8ELi8ELi32ELc67ELc67EKS2_S3_S2_EEvlllT_PT11_llS6_llS4_PT12_llPT13_lli, .Lfunc_end514-_ZN12_GLOBAL__N_127rocblas_gemm_batched_kernelI19rocblas_complex_numIfELi16ELi16ELi32ELi32ELi8ELi32ELi8ELi8ELi32ELc67ELc67EKS2_S3_S2_EEvlllT_PT11_llS6_llS4_PT12_llPT13_lli
                                        ; -- End function
	.set _ZN12_GLOBAL__N_127rocblas_gemm_batched_kernelI19rocblas_complex_numIfELi16ELi16ELi32ELi32ELi8ELi32ELi8ELi8ELi32ELc67ELc67EKS2_S3_S2_EEvlllT_PT11_llS6_llS4_PT12_llPT13_lli.num_vgpr, 116
	.set _ZN12_GLOBAL__N_127rocblas_gemm_batched_kernelI19rocblas_complex_numIfELi16ELi16ELi32ELi32ELi8ELi32ELi8ELi8ELi32ELc67ELc67EKS2_S3_S2_EEvlllT_PT11_llS6_llS4_PT12_llPT13_lli.num_agpr, 0
	.set _ZN12_GLOBAL__N_127rocblas_gemm_batched_kernelI19rocblas_complex_numIfELi16ELi16ELi32ELi32ELi8ELi32ELi8ELi8ELi32ELc67ELc67EKS2_S3_S2_EEvlllT_PT11_llS6_llS4_PT12_llPT13_lli.numbered_sgpr, 44
	.set _ZN12_GLOBAL__N_127rocblas_gemm_batched_kernelI19rocblas_complex_numIfELi16ELi16ELi32ELi32ELi8ELi32ELi8ELi8ELi32ELc67ELc67EKS2_S3_S2_EEvlllT_PT11_llS6_llS4_PT12_llPT13_lli.num_named_barrier, 0
	.set _ZN12_GLOBAL__N_127rocblas_gemm_batched_kernelI19rocblas_complex_numIfELi16ELi16ELi32ELi32ELi8ELi32ELi8ELi8ELi32ELc67ELc67EKS2_S3_S2_EEvlllT_PT11_llS6_llS4_PT12_llPT13_lli.private_seg_size, 0
	.set _ZN12_GLOBAL__N_127rocblas_gemm_batched_kernelI19rocblas_complex_numIfELi16ELi16ELi32ELi32ELi8ELi32ELi8ELi8ELi32ELc67ELc67EKS2_S3_S2_EEvlllT_PT11_llS6_llS4_PT12_llPT13_lli.uses_vcc, 1
	.set _ZN12_GLOBAL__N_127rocblas_gemm_batched_kernelI19rocblas_complex_numIfELi16ELi16ELi32ELi32ELi8ELi32ELi8ELi8ELi32ELc67ELc67EKS2_S3_S2_EEvlllT_PT11_llS6_llS4_PT12_llPT13_lli.uses_flat_scratch, 0
	.set _ZN12_GLOBAL__N_127rocblas_gemm_batched_kernelI19rocblas_complex_numIfELi16ELi16ELi32ELi32ELi8ELi32ELi8ELi8ELi32ELc67ELc67EKS2_S3_S2_EEvlllT_PT11_llS6_llS4_PT12_llPT13_lli.has_dyn_sized_stack, 0
	.set _ZN12_GLOBAL__N_127rocblas_gemm_batched_kernelI19rocblas_complex_numIfELi16ELi16ELi32ELi32ELi8ELi32ELi8ELi8ELi32ELc67ELc67EKS2_S3_S2_EEvlllT_PT11_llS6_llS4_PT12_llPT13_lli.has_recursion, 0
	.set _ZN12_GLOBAL__N_127rocblas_gemm_batched_kernelI19rocblas_complex_numIfELi16ELi16ELi32ELi32ELi8ELi32ELi8ELi8ELi32ELc67ELc67EKS2_S3_S2_EEvlllT_PT11_llS6_llS4_PT12_llPT13_lli.has_indirect_call, 0
	.section	.AMDGPU.csdata,"",@progbits
; Kernel info:
; codeLenInByte = 2836
; TotalNumSgprs: 46
; NumVgprs: 116
; ScratchSize: 0
; MemoryBound: 0
; FloatMode: 240
; IeeeMode: 1
; LDSByteSize: 4096 bytes/workgroup (compile time only)
; SGPRBlocks: 0
; VGPRBlocks: 7
; NumSGPRsForWavesPerEU: 46
; NumVGPRsForWavesPerEU: 116
; NamedBarCnt: 0
; Occupancy: 8
; WaveLimiterHint : 1
; COMPUTE_PGM_RSRC2:SCRATCH_EN: 0
; COMPUTE_PGM_RSRC2:USER_SGPR: 2
; COMPUTE_PGM_RSRC2:TRAP_HANDLER: 0
; COMPUTE_PGM_RSRC2:TGID_X_EN: 1
; COMPUTE_PGM_RSRC2:TGID_Y_EN: 1
; COMPUTE_PGM_RSRC2:TGID_Z_EN: 1
; COMPUTE_PGM_RSRC2:TIDIG_COMP_CNT: 1
	.section	.text._ZN12_GLOBAL__N_127rocblas_gemm_batched_kernelI19rocblas_complex_numIfELi16ELi16ELi32ELi32ELi8ELi32ELi8ELi8ELi32ELc67ELc78EKS2_S3_S2_EEvlllT_PT11_llS6_llS4_PT12_llPT13_lli,"axG",@progbits,_ZN12_GLOBAL__N_127rocblas_gemm_batched_kernelI19rocblas_complex_numIfELi16ELi16ELi32ELi32ELi8ELi32ELi8ELi8ELi32ELc67ELc78EKS2_S3_S2_EEvlllT_PT11_llS6_llS4_PT12_llPT13_lli,comdat
	.globl	_ZN12_GLOBAL__N_127rocblas_gemm_batched_kernelI19rocblas_complex_numIfELi16ELi16ELi32ELi32ELi8ELi32ELi8ELi8ELi32ELc67ELc78EKS2_S3_S2_EEvlllT_PT11_llS6_llS4_PT12_llPT13_lli ; -- Begin function _ZN12_GLOBAL__N_127rocblas_gemm_batched_kernelI19rocblas_complex_numIfELi16ELi16ELi32ELi32ELi8ELi32ELi8ELi8ELi32ELc67ELc78EKS2_S3_S2_EEvlllT_PT11_llS6_llS4_PT12_llPT13_lli
	.p2align	8
	.type	_ZN12_GLOBAL__N_127rocblas_gemm_batched_kernelI19rocblas_complex_numIfELi16ELi16ELi32ELi32ELi8ELi32ELi8ELi8ELi32ELc67ELc78EKS2_S3_S2_EEvlllT_PT11_llS6_llS4_PT12_llPT13_lli,@function
_ZN12_GLOBAL__N_127rocblas_gemm_batched_kernelI19rocblas_complex_numIfELi16ELi16ELi32ELi32ELi8ELi32ELi8ELi8ELi32ELc67ELc78EKS2_S3_S2_EEvlllT_PT11_llS6_llS4_PT12_llPT13_lli: ; @_ZN12_GLOBAL__N_127rocblas_gemm_batched_kernelI19rocblas_complex_numIfELi16ELi16ELi32ELi32ELi8ELi32ELi8ELi8ELi32ELc67ELc78EKS2_S3_S2_EEvlllT_PT11_llS6_llS4_PT12_llPT13_lli
; %bb.0:
	s_load_b32 s33, s[0:1], 0x88
	s_bfe_u32 s2, ttmp6, 0x40014
	s_lshr_b32 s3, ttmp7, 16
	s_add_co_i32 s2, s2, 1
	s_bfe_u32 s4, ttmp6, 0x40008
	s_mul_i32 s2, s3, s2
	s_getreg_b32 s20, hwreg(HW_REG_IB_STS2, 6, 4)
	s_add_co_i32 s4, s4, s2
	s_cmp_eq_u32 s20, 0
	s_cselect_b32 s2, s3, s4
	s_mov_b32 s3, 0
	s_wait_kmcnt 0x0
	s_cmp_ge_i32 s2, s33
	s_cbranch_scc1 .LBB515_10
; %bb.1:
	v_bfe_u32 v4, v0, 10, 10
	v_and_b32_e32 v2, 0x3ff, v0
	s_bfe_u32 s21, ttmp6, 0x4000c
	s_bfe_u32 s23, ttmp6, 0x40010
	s_clause 0x1
	s_load_b256 s[12:19], s[0:1], 0x20
	s_load_b256 s[4:11], s[0:1], 0x58
	s_add_co_i32 s21, s21, 1
	s_and_b32 s24, ttmp7, 0xffff
	s_add_co_i32 s23, s23, 1
	s_and_b32 s22, ttmp6, 15
	s_mul_i32 s21, ttmp9, s21
	s_mul_i32 s23, s24, s23
	s_bfe_u32 s25, ttmp6, 0x40004
	v_lshl_add_u32 v3, v4, 4, v2
	s_add_co_i32 s22, s22, s21
	s_add_co_i32 s25, s25, s23
	s_cmp_eq_u32 s20, 0
	s_clause 0x1
	s_load_b128 s[28:31], s[0:1], 0x40
	s_load_b64 s[34:35], s[0:1], 0x50
	s_cselect_b32 s20, ttmp9, s22
	v_dual_mov_b32 v5, 0 :: v_dual_bitop2_b32 v12, 31, v3 bitop3:0x40
	s_cselect_b32 s22, s24, s25
	s_ashr_i32 s21, s20, 31
	s_delay_alu instid0(VALU_DEP_1)
	v_dual_mov_b32 v7, v5 :: v_dual_lshrrev_b32 v6, 3, v3
	s_lshl_b64 s[36:37], s[20:21], 5
	s_lshl_b32 s38, s22, 5
	v_dual_mov_b32 v9, s37 :: v_dual_bitop2_b32 v8, s36, v12 bitop3:0x54
	s_mov_b32 s39, s3
	s_clause 0x1
	s_load_b128 s[20:23], s[0:1], 0x78
	s_load_b128 s[24:27], s[0:1], 0x10
	v_add_nc_u64_e32 v[10:11], s[38:39], v[6:7]
	s_wait_kmcnt 0x0
	v_mul_u64_e32 v[8:9], s[14:15], v[8:9]
	v_dual_lshlrev_b32 v0, 3, v0 :: v_dual_lshrrev_b32 v7, 5, v3
	v_dual_lshlrev_b32 v12, 3, v12 :: v_dual_lshlrev_b32 v17, 3, v2
	s_delay_alu instid0(VALU_DEP_2)
	v_dual_mov_b32 v3, v5 :: v_dual_bitop2_b32 v20, 56, v0 bitop3:0x40
	v_add_nc_u64_e32 v[0:1], s[38:39], v[4:5]
	v_mul_u64_e32 v[10:11], s[28:29], v[10:11]
	v_lshl_add_u32 v19, v4, 6, 0x800
	v_dual_mov_b32 v21, v5 :: v_dual_lshlrev_b32 v4, 3, v7
	v_lshl_or_b32 v6, v6, 6, v20
	s_or_b32 s0, s34, s35
	v_mul_u64_e32 v[22:23], s[6:7], v[0:1]
	v_lshl_or_b32 v13, v7, 8, v12
	s_bitset0_b32 s0, 31
	v_mul_u64_e32 v[0:1], s[20:21], v[0:1]
	v_add_nc_u32_e32 v15, 0x800, v6
	s_cmp_eq_u32 s0, 0
	v_cmp_gt_i64_e64 s0, s[24:25], 0
	v_add_nc_u64_e32 v[2:3], s[36:37], v[2:3]
	s_cselect_b32 s1, -1, 0
	s_mov_b32 s14, s27
	s_mov_b32 s15, s26
	s_lshl_b64 s[20:21], s[20:21], 4
	s_lshl_b64 s[6:7], s[6:7], 4
	s_mov_b32 s28, s27
	s_mov_b32 s29, s35
	;; [unrolled: 1-line block ×5, first 2 shown]
	v_lshl_add_u64 v[6:7], v[8:9], 3, v[4:5]
	s_mov_b32 s39, s35
	s_delay_alu instid0(VALU_DEP_1) | instskip(SKIP_4) | instid1(VALU_DEP_3)
	v_add_nc_u64_e32 v[4:5], s[12:13], v[6:7]
	s_mov_b32 s12, s34
	s_mov_b32 s13, s34
	v_lshl_add_u64 v[6:7], v[10:11], 3, v[20:21]
	v_cndmask_b32_e64 v10, 0, 1, s0
	v_add_nc_u64_e32 v[4:5], 4, v[4:5]
	s_delay_alu instid0(VALU_DEP_3) | instskip(SKIP_1) | instid1(VALU_DEP_4)
	v_add_nc_u64_e32 v[6:7], s[18:19], v[6:7]
	v_lshl_add_u64 v[8:9], v[22:23], 3, s[4:5]
	v_cmp_ne_u32_e64 s0, 1, v10
	s_lshl_b64 s[4:5], s[16:17], 3
	s_lshl_b64 s[16:17], s[30:31], 3
	s_branch .LBB515_3
.LBB515_2:                              ;   in Loop: Header=BB515_3 Depth=1
	s_add_co_i32 s2, s2, 0x10000
	global_store_b32 v[24:25], v21, off offset:4
	s_cmp_lt_i32 s2, s33
	s_cbranch_scc0 .LBB515_10
.LBB515_3:                              ; =>This Loop Header: Depth=1
                                        ;     Child Loop BB515_5 Depth 2
	v_dual_mov_b32 v11, 0 :: v_dual_mov_b32 v10, 0
	v_dual_mov_b32 v20, 0 :: v_dual_mov_b32 v22, 0
	;; [unrolled: 1-line block ×3, first 2 shown]
	s_wait_xcnt 0x1
	v_dual_mov_b32 v14, 0 :: v_dual_mov_b32 v12, 0
	s_and_b32 vcc_lo, exec_lo, s0
	s_cbranch_vccnz .LBB515_6
; %bb.4:                                ;   in Loop: Header=BB515_3 Depth=1
	s_wait_xcnt 0x0
	v_mad_nc_u64_u32 v[24:25], s4, s2, v[4:5]
	v_mad_nc_u64_u32 v[26:27], s16, s2, v[6:7]
	v_dual_mov_b32 v12, 0 :: v_dual_mov_b32 v14, 0
	v_dual_mov_b32 v18, 0 :: v_dual_mov_b32 v16, 0
	;; [unrolled: 1-line block ×3, first 2 shown]
	s_delay_alu instid0(VALU_DEP_3)
	v_dual_mov_b32 v10, 0 :: v_dual_mov_b32 v11, v12
	s_mov_b64 s[18:19], 0
	v_mad_u32 v25, s5, s2, v25
	v_mad_u32 v27, s17, s2, v27
.LBB515_5:                              ;   Parent Loop BB515_3 Depth=1
                                        ; =>  This Inner Loop Header: Depth=2
	global_load_b64 v[28:29], v[24:25], off offset:-4
	global_load_b64 v[30:31], v[26:27], off
	s_add_nc_u64 s[18:19], s[18:19], 8
	s_wait_xcnt 0x1
	v_add_nc_u64_e32 v[24:25], 64, v[24:25]
	v_cmp_lt_i64_e64 s30, s[18:19], s[24:25]
	s_wait_xcnt 0x0
	v_add_nc_u64_e32 v[26:27], 64, v[26:27]
	s_and_b32 vcc_lo, exec_lo, s30
	s_wait_loadcnt 0x1
	v_xor_b32_e32 v29, 0x80000000, v29
	s_wait_loadcnt 0x0
	ds_store_b64 v15, v[30:31]
	ds_store_b64 v13, v[28:29]
	s_wait_dscnt 0x0
	s_barrier_signal -1
	s_barrier_wait -1
	ds_load_b128 v[28:31], v19
	ds_load_2addr_b64 v[32:35], v17 offset1:16
	ds_load_2addr_b64 v[36:39], v17 offset0:32 offset1:48
	ds_load_b128 v[40:43], v19 offset:16
	ds_load_b128 v[44:47], v19 offset:1024
	;; [unrolled: 1-line block ×3, first 2 shown]
	ds_load_2addr_b64 v[52:55], v17 offset0:64 offset1:80
	ds_load_2addr_b64 v[56:59], v17 offset0:96 offset1:112
	;; [unrolled: 1-line block ×4, first 2 shown]
	ds_load_b128 v[68:71], v19 offset:32
	ds_load_b128 v[72:75], v19 offset:48
	ds_load_2addr_b64 v[76:79], v17 offset0:192 offset1:208
	ds_load_2addr_b64 v[80:83], v17 offset0:224 offset1:240
	ds_load_b128 v[84:87], v19 offset:1056
	ds_load_b128 v[88:91], v19 offset:1072
	s_wait_dscnt 0x0
	s_barrier_signal -1
	s_barrier_wait -1
	v_dual_mul_f32 v21, v29, v33 :: v_dual_mul_f32 v23, v28, v33
	v_dual_mul_f32 v96, v29, v35 :: v_dual_mul_f32 v97, v28, v35
	;; [unrolled: 1-line block ×3, first 2 shown]
	v_dual_mov_b32 v94, v47 :: v_dual_mov_b32 v95, v46
	v_dual_mul_f32 v98, v31, v37 :: v_dual_mul_f32 v99, v30, v37
	v_dual_mul_f32 v100, v31, v39 :: v_dual_mul_f32 v101, v30, v39
	v_pk_mul_f32 v[92:93], v[44:45], v[34:35] op_sel:[1,1] op_sel_hi:[0,1]
	v_dual_fma_f32 v21, v28, v32, -v21 :: v_dual_fmac_f32 v23, v29, v32
	v_dual_fma_f32 v102, v44, v32, -v102 :: v_dual_fmac_f32 v103, v45, v32
	v_pk_mul_f32 v[32:33], v[94:95], v[38:39] op_sel:[0,1]
	v_dual_fma_f32 v96, v28, v34, -v96 :: v_dual_fmac_f32 v97, v29, v34
	v_dual_fma_f32 v98, v30, v36, -v98 :: v_dual_fmac_f32 v99, v31, v36
	;; [unrolled: 1-line block ×3, first 2 shown]
	v_pk_fma_f32 v[28:29], v[44:45], v[34:35], v[92:93] neg_lo:[0,0,1] neg_hi:[0,0,1]
	v_pk_fma_f32 v[30:31], v[44:45], v[34:35], v[92:93] op_sel_hi:[1,0,1]
	v_pk_fma_f32 v[34:35], v[46:47], v[38:39], v[32:33] neg_lo:[0,0,1] neg_hi:[0,0,1]
	v_pk_fma_f32 v[32:33], v[46:47], v[38:39], v[32:33] op_sel_hi:[1,0,1]
	v_dual_mov_b32 v38, v51 :: v_dual_mov_b32 v39, v50
	v_dual_mul_f32 v104, v47, v37 :: v_dual_mul_f32 v105, v46, v37
	v_dual_mul_f32 v106, v41, v53 :: v_dual_mul_f32 v107, v40, v53
	;; [unrolled: 1-line block ×5, first 2 shown]
	v_pk_mul_f32 v[38:39], v[38:39], v[58:59] op_sel:[0,1]
	v_dual_mul_f32 v29, v49, v53 :: v_dual_mul_f32 v30, v48, v53
	v_dual_fma_f32 v92, v46, v36, -v104 :: v_dual_fmac_f32 v105, v47, v36
	v_pk_mul_f32 v[36:37], v[48:49], v[54:55] op_sel:[1,1] op_sel_hi:[0,1]
	v_dual_fma_f32 v95, v40, v52, -v106 :: v_dual_fmac_f32 v107, v41, v52
	v_dual_fma_f32 v104, v40, v54, -v108 :: v_dual_fmac_f32 v109, v41, v54
	;; [unrolled: 1-line block ×4, first 2 shown]
	v_pk_fma_f32 v[42:43], v[50:51], v[58:59], v[38:39] neg_lo:[0,0,1] neg_hi:[0,0,1]
	v_pk_fma_f32 v[38:39], v[50:51], v[58:59], v[38:39] op_sel_hi:[1,0,1]
	v_dual_mul_f32 v35, v69, v61 :: v_dual_mul_f32 v94, v68, v61
	v_dual_mul_f32 v53, v69, v63 :: v_dual_mul_f32 v110, v68, v63
	v_dual_fma_f32 v112, v48, v52, -v29 :: v_dual_fmac_f32 v30, v49, v52
	v_dual_mul_f32 v29, v71, v65 :: v_dual_mul_f32 v38, v71, v67
	v_mul_f32_e32 v114, v70, v67
	v_pk_fma_f32 v[40:41], v[48:49], v[54:55], v[36:37] neg_lo:[0,0,1] neg_hi:[0,0,1]
	v_pk_fma_f32 v[36:37], v[48:49], v[54:55], v[36:37] op_sel_hi:[1,0,1]
	v_dual_mov_b32 v46, v87 :: v_dual_mov_b32 v47, v86
	v_mul_f32_e32 v36, v70, v65
	v_dual_mul_f32 v41, v85, v61 :: v_dual_mul_f32 v61, v84, v61
	v_dual_fma_f32 v115, v68, v60, -v35 :: v_dual_fmac_f32 v94, v69, v60
	v_dual_fma_f32 v68, v68, v62, -v53 :: v_dual_fmac_f32 v110, v69, v62
	s_delay_alu instid0(VALU_DEP_4)
	v_dual_fma_f32 v69, v70, v64, -v29 :: v_dual_fmac_f32 v36, v71, v64
	v_dual_fma_f32 v38, v70, v66, -v38 :: v_dual_mul_f32 v29, v87, v65
	v_dual_mul_f32 v32, v51, v57 :: v_dual_mul_f32 v93, v50, v57
	v_pk_mul_f32 v[46:47], v[46:47], v[66:67] op_sel:[0,1]
	v_dual_fmac_f32 v114, v71, v66 :: v_dual_mul_f32 v65, v86, v65
	v_dual_fma_f32 v70, v84, v60, -v41 :: v_dual_mul_f32 v35, v73, v77
	v_fmac_f32_e32 v61, v85, v60
	v_dual_fma_f32 v60, v86, v64, -v29 :: v_dual_mul_f32 v29, v73, v79
	v_dual_fma_f32 v32, v50, v56, -v32 :: v_dual_fmac_f32 v93, v51, v56
	v_pk_mul_f32 v[44:45], v[84:85], v[62:63] op_sel:[1,1] op_sel_hi:[0,1]
	v_pk_fma_f32 v[50:51], v[86:87], v[66:67], v[46:47] neg_lo:[0,0,1] neg_hi:[0,0,1]
	v_pk_fma_f32 v[46:47], v[86:87], v[66:67], v[46:47] op_sel_hi:[1,0,1]
	v_pk_mul_f32 v[52:53], v[88:89], v[78:79] op_sel:[1,1] op_sel_hi:[0,1]
	v_dual_fmac_f32 v65, v87, v64 :: v_dual_mul_f32 v46, v72, v79
	v_dual_mul_f32 v41, v75, v81 :: v_dual_mul_f32 v43, v75, v83
	v_dual_fma_f32 v67, v72, v78, -v29 :: v_dual_mul_f32 v29, v91, v81
	v_pk_fma_f32 v[48:49], v[84:85], v[62:63], v[44:45] neg_lo:[0,0,1] neg_hi:[0,0,1]
	v_pk_fma_f32 v[44:45], v[84:85], v[62:63], v[44:45] op_sel_hi:[1,0,1]
	v_pk_fma_f32 v[54:55], v[88:89], v[78:79], v[52:53] neg_lo:[0,0,1] neg_hi:[0,0,1]
	v_pk_fma_f32 v[52:53], v[88:89], v[78:79], v[52:53] op_sel_hi:[1,0,1]
	v_mul_f32_e32 v44, v72, v77
	v_dual_mul_f32 v62, v74, v81 :: v_dual_mul_f32 v63, v74, v83
	v_dual_mul_f32 v49, v89, v77 :: v_dual_mul_f32 v64, v88, v77
	s_delay_alu instid0(VALU_DEP_3) | instskip(NEXT) | instid1(VALU_DEP_3)
	v_dual_fma_f32 v66, v72, v76, -v35 :: v_dual_fmac_f32 v44, v73, v76
	v_dual_fma_f32 v71, v74, v80, -v41 :: v_dual_fmac_f32 v62, v75, v80
	v_fma_f32 v72, v74, v82, -v43
	v_dual_mul_f32 v52, v90, v81 :: v_dual_fma_f32 v74, v90, v80, -v29
	v_dual_add_f32 v14, v14, v102 :: v_dual_mov_b32 v29, v31
	v_dual_add_f32 v20, v20, v21 :: v_dual_add_f32 v21, v22, v23
	v_dual_add_f32 v16, v16, v96 :: v_dual_add_f32 v18, v18, v97
	v_dual_add_f32 v12, v12, v103 :: v_dual_mov_b32 v41, v37
	s_delay_alu instid0(VALU_DEP_4) | instskip(SKIP_4) | instid1(VALU_DEP_4)
	v_pk_add_f32 v[10:11], v[10:11], v[28:29]
	v_dual_mov_b32 v35, v33 :: v_dual_mov_b32 v43, v39
	v_dual_add_f32 v20, v20, v98 :: v_dual_add_f32 v21, v21, v99
	v_dual_add_f32 v16, v16, v100 :: v_dual_add_f32 v18, v18, v101
	;; [unrolled: 1-line block ×3, first 2 shown]
	v_pk_add_f32 v[10:11], v[10:11], v[34:35]
	v_dual_mov_b32 v56, v91 :: v_dual_mov_b32 v57, v90
	s_delay_alu instid0(VALU_DEP_4)
	v_dual_add_f32 v20, v20, v95 :: v_dual_add_f32 v18, v18, v109
	v_dual_add_f32 v21, v21, v107 :: v_dual_add_f32 v16, v16, v104
	;; [unrolled: 1-line block ×3, first 2 shown]
	v_pk_add_f32 v[10:11], v[10:11], v[40:41]
	v_dual_fmac_f32 v46, v73, v78 :: v_dual_fma_f32 v73, v88, v76, -v49
	v_pk_mul_f32 v[56:57], v[56:57], v[82:83] op_sel:[0,1]
	v_dual_mov_b32 v49, v45 :: v_dual_mov_b32 v55, v53
	v_dual_add_f32 v20, v20, v106 :: v_dual_add_f32 v21, v21, v111
	v_dual_add_f32 v16, v16, v108 :: v_dual_add_f32 v18, v18, v113
	;; [unrolled: 1-line block ×3, first 2 shown]
	v_pk_add_f32 v[10:11], v[10:11], v[42:43]
	v_pk_fma_f32 v[58:59], v[90:91], v[82:83], v[56:57] neg_lo:[0,0,1] neg_hi:[0,0,1]
	v_pk_fma_f32 v[56:57], v[90:91], v[82:83], v[56:57] op_sel_hi:[1,0,1]
	v_dual_mov_b32 v51, v47 :: v_dual_add_f32 v20, v20, v115
	v_dual_add_f32 v21, v21, v94 :: v_dual_add_f32 v16, v16, v68
	v_add_f32_e32 v18, v18, v110
	v_dual_add_f32 v14, v14, v70 :: v_dual_add_f32 v12, v12, v61
	v_pk_add_f32 v[10:11], v[10:11], v[48:49]
	v_dual_fmac_f32 v63, v75, v82 :: v_dual_fmac_f32 v64, v89, v76
	v_dual_mov_b32 v59, v57 :: v_dual_add_f32 v20, v20, v69
	v_dual_add_f32 v21, v21, v36 :: v_dual_add_f32 v16, v16, v38
	v_add_f32_e32 v14, v14, v60
	v_dual_add_f32 v18, v18, v114 :: v_dual_add_f32 v12, v12, v65
	v_pk_add_f32 v[10:11], v[10:11], v[50:51]
	v_dual_fmac_f32 v52, v91, v80 :: v_dual_add_f32 v20, v20, v66
	v_dual_add_f32 v21, v21, v44 :: v_dual_add_f32 v16, v16, v67
	s_delay_alu instid0(VALU_DEP_4) | instskip(SKIP_2) | instid1(VALU_DEP_4)
	v_add_f32_e32 v18, v18, v46
	v_dual_add_f32 v14, v14, v73 :: v_dual_add_f32 v12, v12, v64
	v_pk_add_f32 v[10:11], v[10:11], v[54:55]
	v_dual_add_f32 v20, v20, v71 :: v_dual_add_f32 v22, v21, v62
	s_delay_alu instid0(VALU_DEP_4) | instskip(NEXT) | instid1(VALU_DEP_4)
	v_dual_add_f32 v16, v16, v72 :: v_dual_add_f32 v18, v18, v63
	v_dual_add_f32 v14, v14, v74 :: v_dual_add_f32 v12, v12, v52
	s_delay_alu instid0(VALU_DEP_4)
	v_pk_add_f32 v[10:11], v[10:11], v[58:59]
	s_cbranch_vccnz .LBB515_5
.LBB515_6:                              ;   in Loop: Header=BB515_3 Depth=1
	s_mul_u64 s[18:19], s[22:23], s[2:3]
	s_and_not1_b32 vcc_lo, exec_lo, s1
	s_lshl_b64 s[18:19], s[18:19], 3
	s_mov_b32 s30, -1
	s_add_nc_u64 s[18:19], s[10:11], s[18:19]
                                        ; implicit-def: $vgpr21
                                        ; implicit-def: $vgpr24_vgpr25
	s_cbranch_vccz .LBB515_8
; %bb.7:                                ;   in Loop: Header=BB515_3 Depth=1
	s_and_not1_b32 vcc_lo, exec_lo, s30
	s_cbranch_vccnz .LBB515_2
	s_branch .LBB515_9
.LBB515_8:                              ;   in Loop: Header=BB515_3 Depth=1
	s_wait_xcnt 0x0
	v_mov_b64_e32 v[24:25], s[14:15]
	v_lshl_add_u64 v[26:27], v[0:1], 3, s[18:19]
	v_mov_b64_e32 v[30:31], s[26:27]
	v_lshlrev_b64_e32 v[28:29], 3, v[2:3]
	s_delay_alu instid0(VALU_DEP_3)
	v_lshl_add_u64 v[36:37], s[20:21], 3, v[26:27]
	v_pk_mul_f32 v[32:33], v[22:23], v[24:25] op_sel_hi:[0,1]
	v_pk_mul_f32 v[34:35], v[18:19], v[24:25] op_sel_hi:[0,1]
	;; [unrolled: 1-line block ×3, first 2 shown]
	v_add_nc_u64_e32 v[26:27], v[26:27], v[28:29]
	v_add_nc_u64_e32 v[28:29], v[36:37], v[28:29]
	v_pk_fma_f32 v[40:41], v[20:21], v[30:31], v[32:33] neg_lo:[0,0,1] neg_hi:[0,0,1]
	v_pk_fma_f32 v[32:33], v[20:21], v[30:31], v[32:33] op_sel_hi:[0,1,1]
	v_pk_fma_f32 v[42:43], v[16:17], v[30:31], v[34:35] neg_lo:[0,0,1] neg_hi:[0,0,1]
	v_pk_fma_f32 v[34:35], v[16:17], v[30:31], v[34:35] op_sel_hi:[0,1,1]
	v_pk_fma_f32 v[36:37], v[14:15], v[30:31], v[38:39] op_sel_hi:[0,1,1]
	s_delay_alu instid0(VALU_DEP_4)
	v_dual_mul_f32 v21, s26, v10 :: v_dual_mov_b32 v41, v33
	v_pk_mul_f32 v[32:33], v[10:11], v[24:25]
	v_add_nc_u64_e32 v[24:25], 0x80, v[28:29]
	v_pk_fma_f32 v[30:31], v[14:15], v[30:31], v[38:39] neg_lo:[0,0,1] neg_hi:[0,0,1]
	v_dual_mov_b32 v43, v35 :: v_dual_mov_b32 v31, v37
	v_fma_f32 v23, -v11, s14, v21
	v_add_f32_e32 v21, v32, v33
	s_clause 0x3
	global_store_b64 v[26:27], v[40:41], off
	global_store_b64 v[26:27], v[42:43], off offset:128
	global_store_b64 v[28:29], v[30:31], off
	global_store_b32 v[28:29], v23, off offset:128
	s_cbranch_execnz .LBB515_2
.LBB515_9:                              ;   in Loop: Header=BB515_3 Depth=1
	s_mul_u64 s[30:31], s[8:9], s[2:3]
	s_wait_xcnt 0x0
	v_lshlrev_b64_e32 v[24:25], 3, v[2:3]
	s_wait_xcnt 0x2
	v_lshl_add_u64 v[26:27], s[30:31], 3, v[8:9]
	v_mov_b64_e32 v[32:33], s[14:15]
	v_mov_b64_e32 v[34:35], s[38:39]
	;; [unrolled: 1-line block ×4, first 2 shown]
	v_lshl_add_u64 v[46:47], v[0:1], 3, s[18:19]
	s_wait_xcnt 0x0
	v_add_nc_u64_e32 v[28:29], v[26:27], v[24:25]
	v_lshl_add_u64 v[26:27], s[6:7], 3, v[26:27]
	v_pk_mul_f32 v[22:23], v[22:23], v[32:33] op_sel_hi:[0,1]
	s_delay_alu instid0(VALU_DEP_2)
	v_add_nc_u64_e32 v[26:27], v[26:27], v[24:25]
	global_load_b64 v[30:31], v[28:29], off
	v_pk_fma_f32 v[42:43], v[20:21], v[36:37], v[22:23] op_sel_hi:[0,1,1]
	v_pk_fma_f32 v[20:21], v[20:21], v[36:37], v[22:23] neg_lo:[0,0,1] neg_hi:[0,0,1]
	s_wait_loadcnt 0x0
	v_pk_mul_f32 v[40:41], v[30:31], v[34:35]
	s_delay_alu instid0(VALU_DEP_1) | instskip(SKIP_3) | instid1(VALU_DEP_4)
	v_pk_fma_f32 v[44:45], v[30:31], v[38:39], v[40:41] op_sel:[0,0,1] op_sel_hi:[1,1,0]
	v_pk_fma_f32 v[22:23], v[30:31], v[38:39], v[40:41] op_sel:[0,0,1] op_sel_hi:[1,1,0] neg_lo:[0,0,1] neg_hi:[0,0,1]
	v_mov_b32_e32 v21, v43
	v_add_nc_u64_e32 v[30:31], v[46:47], v[24:25]
	v_mov_b32_e32 v23, v45
	s_delay_alu instid0(VALU_DEP_1)
	v_pk_add_f32 v[20:21], v[20:21], v[22:23]
	v_pk_mul_f32 v[22:23], v[18:19], v[32:33] op_sel_hi:[0,1]
	global_store_b64 v[30:31], v[20:21], off
	global_load_b64 v[20:21], v[28:29], off offset:128
	v_pk_fma_f32 v[40:41], v[16:17], v[36:37], v[22:23] op_sel_hi:[0,1,1]
	v_pk_fma_f32 v[22:23], v[16:17], v[36:37], v[22:23] neg_lo:[0,0,1] neg_hi:[0,0,1]
	s_wait_loadcnt 0x0
	s_wait_xcnt 0x0
	v_pk_mul_f32 v[28:29], v[20:21], v[34:35]
	s_delay_alu instid0(VALU_DEP_1) | instskip(SKIP_1) | instid1(VALU_DEP_2)
	v_pk_fma_f32 v[42:43], v[20:21], v[38:39], v[28:29] op_sel:[0,0,1] op_sel_hi:[1,1,0]
	v_pk_fma_f32 v[20:21], v[20:21], v[38:39], v[28:29] op_sel:[0,0,1] op_sel_hi:[1,1,0] neg_lo:[0,0,1] neg_hi:[0,0,1]
	v_dual_mov_b32 v23, v41 :: v_dual_mov_b32 v21, v43
	s_delay_alu instid0(VALU_DEP_1)
	v_pk_add_f32 v[20:21], v[22:23], v[20:21]
	v_pk_mul_f32 v[22:23], v[12:13], v[32:33] op_sel_hi:[0,1]
	global_store_b64 v[30:31], v[20:21], off offset:128
	global_load_b64 v[20:21], v[26:27], off
	v_pk_fma_f32 v[30:31], v[14:15], v[36:37], v[22:23] op_sel_hi:[0,1,1]
	v_pk_fma_f32 v[22:23], v[14:15], v[36:37], v[22:23] neg_lo:[0,0,1] neg_hi:[0,0,1]
	v_mul_f32_e32 v14, s26, v10
	s_delay_alu instid0(VALU_DEP_1) | instskip(SKIP_3) | instid1(VALU_DEP_2)
	v_fma_f32 v14, -v11, s14, v14
	s_wait_loadcnt 0x0
	v_pk_mul_f32 v[28:29], v[20:21], v[34:35]
	v_lshl_add_u64 v[34:35], s[20:21], 3, v[46:47]
	v_pk_fma_f32 v[32:33], v[20:21], v[38:39], v[28:29] op_sel:[0,0,1] op_sel_hi:[1,1,0]
	v_pk_fma_f32 v[20:21], v[20:21], v[38:39], v[28:29] op_sel:[0,0,1] op_sel_hi:[1,1,0] neg_lo:[0,0,1] neg_hi:[0,0,1]
	v_mov_b32_e32 v23, v31
	s_delay_alu instid0(VALU_DEP_4) | instskip(NEXT) | instid1(VALU_DEP_4)
	v_add_nc_u64_e32 v[28:29], v[34:35], v[24:25]
	v_dual_mov_b32 v24, v10 :: v_dual_mov_b32 v21, v33
	s_delay_alu instid0(VALU_DEP_1)
	v_pk_add_f32 v[20:21], v[22:23], v[20:21]
	v_mov_b64_e32 v[22:23], s[36:37]
	global_store_b64 v[28:29], v[20:21], off
	global_load_b64 v[20:21], v[26:27], off offset:128
	s_wait_loadcnt 0x0
	v_dual_mul_f32 v12, s35, v21 :: v_dual_mov_b32 v25, v20
	s_delay_alu instid0(VALU_DEP_1) | instskip(NEXT) | instid1(VALU_DEP_1)
	v_fma_f32 v12, v20, s34, -v12
	v_dual_mov_b32 v20, v11 :: v_dual_add_f32 v12, v14, v12
	s_delay_alu instid0(VALU_DEP_1) | instskip(SKIP_4) | instid1(VALU_DEP_2)
	v_pk_mul_f32 v[20:21], v[20:21], v[22:23]
	v_mov_b64_e32 v[22:23], s[28:29]
	global_store_b32 v[28:29], v12, off offset:128
	v_pk_fma_f32 v[10:11], v[24:25], v[22:23], v[20:21]
	v_add_nc_u64_e32 v[24:25], 0x80, v[28:29]
	v_add_f32_e32 v21, v10, v11
	s_branch .LBB515_2
.LBB515_10:
	s_sendmsg sendmsg(MSG_DEALLOC_VGPRS)
	s_endpgm
	.section	.rodata,"a",@progbits
	.p2align	6, 0x0
	.amdhsa_kernel _ZN12_GLOBAL__N_127rocblas_gemm_batched_kernelI19rocblas_complex_numIfELi16ELi16ELi32ELi32ELi8ELi32ELi8ELi8ELi32ELc67ELc78EKS2_S3_S2_EEvlllT_PT11_llS6_llS4_PT12_llPT13_lli
		.amdhsa_group_segment_fixed_size 4096
		.amdhsa_private_segment_fixed_size 0
		.amdhsa_kernarg_size 140
		.amdhsa_user_sgpr_count 2
		.amdhsa_user_sgpr_dispatch_ptr 0
		.amdhsa_user_sgpr_queue_ptr 0
		.amdhsa_user_sgpr_kernarg_segment_ptr 1
		.amdhsa_user_sgpr_dispatch_id 0
		.amdhsa_user_sgpr_kernarg_preload_length 0
		.amdhsa_user_sgpr_kernarg_preload_offset 0
		.amdhsa_user_sgpr_private_segment_size 0
		.amdhsa_wavefront_size32 1
		.amdhsa_uses_dynamic_stack 0
		.amdhsa_enable_private_segment 0
		.amdhsa_system_sgpr_workgroup_id_x 1
		.amdhsa_system_sgpr_workgroup_id_y 1
		.amdhsa_system_sgpr_workgroup_id_z 1
		.amdhsa_system_sgpr_workgroup_info 0
		.amdhsa_system_vgpr_workitem_id 1
		.amdhsa_next_free_vgpr 116
		.amdhsa_next_free_sgpr 40
		.amdhsa_named_barrier_count 0
		.amdhsa_reserve_vcc 1
		.amdhsa_float_round_mode_32 0
		.amdhsa_float_round_mode_16_64 0
		.amdhsa_float_denorm_mode_32 3
		.amdhsa_float_denorm_mode_16_64 3
		.amdhsa_fp16_overflow 0
		.amdhsa_memory_ordered 1
		.amdhsa_forward_progress 1
		.amdhsa_inst_pref_size 23
		.amdhsa_round_robin_scheduling 0
		.amdhsa_exception_fp_ieee_invalid_op 0
		.amdhsa_exception_fp_denorm_src 0
		.amdhsa_exception_fp_ieee_div_zero 0
		.amdhsa_exception_fp_ieee_overflow 0
		.amdhsa_exception_fp_ieee_underflow 0
		.amdhsa_exception_fp_ieee_inexact 0
		.amdhsa_exception_int_div_zero 0
	.end_amdhsa_kernel
	.section	.text._ZN12_GLOBAL__N_127rocblas_gemm_batched_kernelI19rocblas_complex_numIfELi16ELi16ELi32ELi32ELi8ELi32ELi8ELi8ELi32ELc67ELc78EKS2_S3_S2_EEvlllT_PT11_llS6_llS4_PT12_llPT13_lli,"axG",@progbits,_ZN12_GLOBAL__N_127rocblas_gemm_batched_kernelI19rocblas_complex_numIfELi16ELi16ELi32ELi32ELi8ELi32ELi8ELi8ELi32ELc67ELc78EKS2_S3_S2_EEvlllT_PT11_llS6_llS4_PT12_llPT13_lli,comdat
.Lfunc_end515:
	.size	_ZN12_GLOBAL__N_127rocblas_gemm_batched_kernelI19rocblas_complex_numIfELi16ELi16ELi32ELi32ELi8ELi32ELi8ELi8ELi32ELc67ELc78EKS2_S3_S2_EEvlllT_PT11_llS6_llS4_PT12_llPT13_lli, .Lfunc_end515-_ZN12_GLOBAL__N_127rocblas_gemm_batched_kernelI19rocblas_complex_numIfELi16ELi16ELi32ELi32ELi8ELi32ELi8ELi8ELi32ELc67ELc78EKS2_S3_S2_EEvlllT_PT11_llS6_llS4_PT12_llPT13_lli
                                        ; -- End function
	.set _ZN12_GLOBAL__N_127rocblas_gemm_batched_kernelI19rocblas_complex_numIfELi16ELi16ELi32ELi32ELi8ELi32ELi8ELi8ELi32ELc67ELc78EKS2_S3_S2_EEvlllT_PT11_llS6_llS4_PT12_llPT13_lli.num_vgpr, 116
	.set _ZN12_GLOBAL__N_127rocblas_gemm_batched_kernelI19rocblas_complex_numIfELi16ELi16ELi32ELi32ELi8ELi32ELi8ELi8ELi32ELc67ELc78EKS2_S3_S2_EEvlllT_PT11_llS6_llS4_PT12_llPT13_lli.num_agpr, 0
	.set _ZN12_GLOBAL__N_127rocblas_gemm_batched_kernelI19rocblas_complex_numIfELi16ELi16ELi32ELi32ELi8ELi32ELi8ELi8ELi32ELc67ELc78EKS2_S3_S2_EEvlllT_PT11_llS6_llS4_PT12_llPT13_lli.numbered_sgpr, 40
	.set _ZN12_GLOBAL__N_127rocblas_gemm_batched_kernelI19rocblas_complex_numIfELi16ELi16ELi32ELi32ELi8ELi32ELi8ELi8ELi32ELc67ELc78EKS2_S3_S2_EEvlllT_PT11_llS6_llS4_PT12_llPT13_lli.num_named_barrier, 0
	.set _ZN12_GLOBAL__N_127rocblas_gemm_batched_kernelI19rocblas_complex_numIfELi16ELi16ELi32ELi32ELi8ELi32ELi8ELi8ELi32ELc67ELc78EKS2_S3_S2_EEvlllT_PT11_llS6_llS4_PT12_llPT13_lli.private_seg_size, 0
	.set _ZN12_GLOBAL__N_127rocblas_gemm_batched_kernelI19rocblas_complex_numIfELi16ELi16ELi32ELi32ELi8ELi32ELi8ELi8ELi32ELc67ELc78EKS2_S3_S2_EEvlllT_PT11_llS6_llS4_PT12_llPT13_lli.uses_vcc, 1
	.set _ZN12_GLOBAL__N_127rocblas_gemm_batched_kernelI19rocblas_complex_numIfELi16ELi16ELi32ELi32ELi8ELi32ELi8ELi8ELi32ELc67ELc78EKS2_S3_S2_EEvlllT_PT11_llS6_llS4_PT12_llPT13_lli.uses_flat_scratch, 0
	.set _ZN12_GLOBAL__N_127rocblas_gemm_batched_kernelI19rocblas_complex_numIfELi16ELi16ELi32ELi32ELi8ELi32ELi8ELi8ELi32ELc67ELc78EKS2_S3_S2_EEvlllT_PT11_llS6_llS4_PT12_llPT13_lli.has_dyn_sized_stack, 0
	.set _ZN12_GLOBAL__N_127rocblas_gemm_batched_kernelI19rocblas_complex_numIfELi16ELi16ELi32ELi32ELi8ELi32ELi8ELi8ELi32ELc67ELc78EKS2_S3_S2_EEvlllT_PT11_llS6_llS4_PT12_llPT13_lli.has_recursion, 0
	.set _ZN12_GLOBAL__N_127rocblas_gemm_batched_kernelI19rocblas_complex_numIfELi16ELi16ELi32ELi32ELi8ELi32ELi8ELi8ELi32ELc67ELc78EKS2_S3_S2_EEvlllT_PT11_llS6_llS4_PT12_llPT13_lli.has_indirect_call, 0
	.section	.AMDGPU.csdata,"",@progbits
; Kernel info:
; codeLenInByte = 2840
; TotalNumSgprs: 42
; NumVgprs: 116
; ScratchSize: 0
; MemoryBound: 0
; FloatMode: 240
; IeeeMode: 1
; LDSByteSize: 4096 bytes/workgroup (compile time only)
; SGPRBlocks: 0
; VGPRBlocks: 7
; NumSGPRsForWavesPerEU: 42
; NumVGPRsForWavesPerEU: 116
; NamedBarCnt: 0
; Occupancy: 8
; WaveLimiterHint : 1
; COMPUTE_PGM_RSRC2:SCRATCH_EN: 0
; COMPUTE_PGM_RSRC2:USER_SGPR: 2
; COMPUTE_PGM_RSRC2:TRAP_HANDLER: 0
; COMPUTE_PGM_RSRC2:TGID_X_EN: 1
; COMPUTE_PGM_RSRC2:TGID_Y_EN: 1
; COMPUTE_PGM_RSRC2:TGID_Z_EN: 1
; COMPUTE_PGM_RSRC2:TIDIG_COMP_CNT: 1
	.section	.text._ZN12_GLOBAL__N_127rocblas_gemm_batched_kernelI19rocblas_complex_numIfELi16ELi16ELi32ELi32ELi8ELi32ELi8ELi8ELi32ELc67ELc84EKS2_S3_S2_EEvlllT_PT11_llS6_llS4_PT12_llPT13_lli,"axG",@progbits,_ZN12_GLOBAL__N_127rocblas_gemm_batched_kernelI19rocblas_complex_numIfELi16ELi16ELi32ELi32ELi8ELi32ELi8ELi8ELi32ELc67ELc84EKS2_S3_S2_EEvlllT_PT11_llS6_llS4_PT12_llPT13_lli,comdat
	.globl	_ZN12_GLOBAL__N_127rocblas_gemm_batched_kernelI19rocblas_complex_numIfELi16ELi16ELi32ELi32ELi8ELi32ELi8ELi8ELi32ELc67ELc84EKS2_S3_S2_EEvlllT_PT11_llS6_llS4_PT12_llPT13_lli ; -- Begin function _ZN12_GLOBAL__N_127rocblas_gemm_batched_kernelI19rocblas_complex_numIfELi16ELi16ELi32ELi32ELi8ELi32ELi8ELi8ELi32ELc67ELc84EKS2_S3_S2_EEvlllT_PT11_llS6_llS4_PT12_llPT13_lli
	.p2align	8
	.type	_ZN12_GLOBAL__N_127rocblas_gemm_batched_kernelI19rocblas_complex_numIfELi16ELi16ELi32ELi32ELi8ELi32ELi8ELi8ELi32ELc67ELc84EKS2_S3_S2_EEvlllT_PT11_llS6_llS4_PT12_llPT13_lli,@function
_ZN12_GLOBAL__N_127rocblas_gemm_batched_kernelI19rocblas_complex_numIfELi16ELi16ELi32ELi32ELi8ELi32ELi8ELi8ELi32ELc67ELc84EKS2_S3_S2_EEvlllT_PT11_llS6_llS4_PT12_llPT13_lli: ; @_ZN12_GLOBAL__N_127rocblas_gemm_batched_kernelI19rocblas_complex_numIfELi16ELi16ELi32ELi32ELi8ELi32ELi8ELi8ELi32ELc67ELc84EKS2_S3_S2_EEvlllT_PT11_llS6_llS4_PT12_llPT13_lli
; %bb.0:
	s_load_b32 s33, s[0:1], 0x88
	s_bfe_u32 s2, ttmp6, 0x40014
	s_lshr_b32 s3, ttmp7, 16
	s_add_co_i32 s2, s2, 1
	s_bfe_u32 s4, ttmp6, 0x40008
	s_mul_i32 s2, s3, s2
	s_getreg_b32 s20, hwreg(HW_REG_IB_STS2, 6, 4)
	s_add_co_i32 s4, s4, s2
	s_cmp_eq_u32 s20, 0
	s_cselect_b32 s2, s3, s4
	s_mov_b32 s3, 0
	s_wait_kmcnt 0x0
	s_cmp_ge_i32 s2, s33
	s_cbranch_scc1 .LBB516_10
; %bb.1:
	v_bfe_u32 v4, v0, 10, 10
	v_and_b32_e32 v2, 0x3ff, v0
	s_bfe_u32 s21, ttmp6, 0x4000c
	s_bfe_u32 s23, ttmp6, 0x40010
	s_clause 0x2
	s_load_b256 s[12:19], s[0:1], 0x20
	s_load_b128 s[28:31], s[0:1], 0x40
	s_load_b256 s[4:11], s[0:1], 0x58
	s_add_co_i32 s21, s21, 1
	s_and_b32 s24, ttmp7, 0xffff
	s_add_co_i32 s23, s23, 1
	s_and_b32 s22, ttmp6, 15
	s_mul_i32 s21, ttmp9, s21
	s_mul_i32 s23, s24, s23
	s_bfe_u32 s25, ttmp6, 0x40004
	v_lshl_add_u32 v3, v4, 4, v2
	s_add_co_i32 s22, s22, s21
	s_add_co_i32 s25, s25, s23
	s_cmp_eq_u32 s20, 0
	s_delay_alu instid0(VALU_DEP_1)
	v_dual_mov_b32 v5, 0 :: v_dual_bitop2_b32 v12, 31, v3 bitop3:0x40
	s_cselect_b32 s20, ttmp9, s22
	s_cselect_b32 s22, s24, s25
	s_ashr_i32 s21, s20, 31
	s_lshl_b32 s24, s22, 5
	s_lshl_b64 s[36:37], s[20:21], 5
	s_load_b128 s[20:23], s[0:1], 0x78
	v_dual_mov_b32 v9, s37 :: v_dual_bitop2_b32 v8, s36, v12 bitop3:0x54
	v_dual_mov_b32 v7, v5 :: v_dual_lshrrev_b32 v6, 3, v3
	s_mov_b32 s25, s3
	s_load_b64 s[34:35], s[0:1], 0x50
	s_wait_kmcnt 0x0
	v_mul_u64_e32 v[8:9], s[14:15], v[8:9]
	v_lshrrev_b32_e32 v14, 5, v3
	v_add_nc_u64_e32 v[10:11], s[24:25], v[6:7]
	v_and_b32_e32 v7, 7, v0
	v_add_nc_u64_e32 v[0:1], s[24:25], v[4:5]
	s_load_b128 s[24:27], s[0:1], 0x10
	v_lshl_add_u32 v19, v4, 6, 0x800
	s_delay_alu instid0(VALU_DEP_3)
	v_dual_lshlrev_b32 v4, 3, v14 :: v_dual_lshlrev_b32 v13, 3, v7
	v_lshlrev_b32_e32 v12, 3, v12
	v_mad_nc_u64_u32 v[10:11], s28, v7, v[10:11]
	v_mul_u64_e32 v[20:21], s[6:7], v[0:1]
	v_dual_mov_b32 v3, v5 :: v_dual_lshlrev_b32 v17, 3, v2
	v_mul_u64_e32 v[0:1], s[20:21], v[0:1]
	v_lshl_or_b32 v6, v6, 6, v13
	v_lshl_or_b32 v13, v14, 8, v12
	s_delay_alu instid0(VALU_DEP_4)
	v_add_nc_u64_e32 v[2:3], s[36:37], v[2:3]
	s_wait_xcnt 0x0
	s_or_b32 s0, s34, s35
	v_add_nc_u32_e32 v15, 0x800, v6
	s_bitset0_b32 s0, 31
	v_mad_u32 v11, s29, v7, v11
	s_cmp_eq_u32 s0, 0
	s_mov_b32 s37, s35
	s_wait_kmcnt 0x0
	v_cmp_gt_i64_e64 s0, s[24:25], 0
	s_cselect_b32 s1, -1, 0
	s_mov_b32 s14, s27
	s_mov_b32 s15, s26
	s_lshl_b64 s[20:21], s[20:21], 4
	s_lshl_b64 s[6:7], s[6:7], 4
	s_mov_b32 s36, s27
	v_lshl_add_u64 v[4:5], v[8:9], 3, v[4:5]
	v_cndmask_b32_e64 v12, 0, 1, s0
	v_lshl_add_u64 v[8:9], v[10:11], 3, s[18:19]
	s_mov_b32 s38, s26
	s_mov_b32 s39, s34
	v_add_nc_u64_e32 v[6:7], s[12:13], v[4:5]
	v_cmp_ne_u32_e64 s0, 1, v12
	s_mov_b32 s40, s34
	s_mov_b32 s41, s34
	;; [unrolled: 1-line block ×4, first 2 shown]
	v_lshl_add_u64 v[4:5], v[20:21], 3, s[4:5]
	v_add_nc_u64_e32 v[6:7], 4, v[6:7]
	s_lshl_b64 s[4:5], s[16:17], 3
	s_lshl_b64 s[16:17], s[30:31], 3
	;; [unrolled: 1-line block ×3, first 2 shown]
	s_branch .LBB516_3
.LBB516_2:                              ;   in Loop: Header=BB516_3 Depth=1
	s_add_co_i32 s2, s2, 0x10000
	global_store_b32 v[24:25], v21, off offset:4
	s_cmp_lt_i32 s2, s33
	s_cbranch_scc0 .LBB516_10
.LBB516_3:                              ; =>This Loop Header: Depth=1
                                        ;     Child Loop BB516_5 Depth 2
	v_dual_mov_b32 v11, 0 :: v_dual_mov_b32 v10, 0
	v_dual_mov_b32 v20, 0 :: v_dual_mov_b32 v22, 0
	;; [unrolled: 1-line block ×3, first 2 shown]
	s_wait_xcnt 0x1
	v_dual_mov_b32 v14, 0 :: v_dual_mov_b32 v12, 0
	s_and_b32 vcc_lo, exec_lo, s0
	s_cbranch_vccnz .LBB516_6
; %bb.4:                                ;   in Loop: Header=BB516_3 Depth=1
	s_wait_xcnt 0x0
	v_mad_nc_u64_u32 v[24:25], s4, s2, v[6:7]
	v_mad_nc_u64_u32 v[26:27], s16, s2, v[8:9]
	v_dual_mov_b32 v12, 0 :: v_dual_mov_b32 v14, 0
	v_dual_mov_b32 v18, 0 :: v_dual_mov_b32 v16, 0
	;; [unrolled: 1-line block ×3, first 2 shown]
	s_delay_alu instid0(VALU_DEP_3)
	v_dual_mov_b32 v10, 0 :: v_dual_mov_b32 v11, v12
	s_mov_b64 s[28:29], 0
	v_mad_u32 v25, s5, s2, v25
	v_mad_u32 v27, s17, s2, v27
.LBB516_5:                              ;   Parent Loop BB516_3 Depth=1
                                        ; =>  This Inner Loop Header: Depth=2
	global_load_b64 v[28:29], v[24:25], off offset:-4
	global_load_b64 v[30:31], v[26:27], off
	s_add_nc_u64 s[28:29], s[28:29], 8
	s_wait_xcnt 0x1
	v_add_nc_u64_e32 v[24:25], 64, v[24:25]
	v_cmp_lt_i64_e64 s30, s[28:29], s[24:25]
	s_wait_xcnt 0x0
	v_add_nc_u64_e32 v[26:27], s[18:19], v[26:27]
	s_and_b32 vcc_lo, exec_lo, s30
	s_wait_loadcnt 0x1
	v_xor_b32_e32 v29, 0x80000000, v29
	s_wait_loadcnt 0x0
	ds_store_b64 v15, v[30:31]
	ds_store_b64 v13, v[28:29]
	s_wait_dscnt 0x0
	s_barrier_signal -1
	s_barrier_wait -1
	ds_load_b128 v[28:31], v19
	ds_load_2addr_b64 v[32:35], v17 offset1:16
	ds_load_2addr_b64 v[36:39], v17 offset0:32 offset1:48
	ds_load_b128 v[40:43], v19 offset:16
	ds_load_b128 v[44:47], v19 offset:1024
	;; [unrolled: 1-line block ×3, first 2 shown]
	ds_load_2addr_b64 v[52:55], v17 offset0:64 offset1:80
	ds_load_2addr_b64 v[56:59], v17 offset0:96 offset1:112
	;; [unrolled: 1-line block ×4, first 2 shown]
	ds_load_b128 v[68:71], v19 offset:32
	ds_load_b128 v[72:75], v19 offset:48
	ds_load_2addr_b64 v[76:79], v17 offset0:192 offset1:208
	ds_load_2addr_b64 v[80:83], v17 offset0:224 offset1:240
	ds_load_b128 v[84:87], v19 offset:1056
	ds_load_b128 v[88:91], v19 offset:1072
	s_wait_dscnt 0x0
	s_barrier_signal -1
	s_barrier_wait -1
	v_dual_mul_f32 v21, v29, v33 :: v_dual_mul_f32 v23, v28, v33
	v_dual_mul_f32 v96, v29, v35 :: v_dual_mul_f32 v97, v28, v35
	;; [unrolled: 1-line block ×3, first 2 shown]
	v_dual_mov_b32 v94, v47 :: v_dual_mov_b32 v95, v46
	v_dual_mul_f32 v98, v31, v37 :: v_dual_mul_f32 v99, v30, v37
	v_dual_mul_f32 v100, v31, v39 :: v_dual_mul_f32 v101, v30, v39
	v_pk_mul_f32 v[92:93], v[44:45], v[34:35] op_sel:[1,1] op_sel_hi:[0,1]
	v_dual_fma_f32 v21, v28, v32, -v21 :: v_dual_fmac_f32 v23, v29, v32
	v_dual_fma_f32 v102, v44, v32, -v102 :: v_dual_fmac_f32 v103, v45, v32
	v_pk_mul_f32 v[32:33], v[94:95], v[38:39] op_sel:[0,1]
	v_dual_fma_f32 v96, v28, v34, -v96 :: v_dual_fmac_f32 v97, v29, v34
	v_dual_fma_f32 v98, v30, v36, -v98 :: v_dual_fmac_f32 v99, v31, v36
	;; [unrolled: 1-line block ×3, first 2 shown]
	v_pk_fma_f32 v[28:29], v[44:45], v[34:35], v[92:93] neg_lo:[0,0,1] neg_hi:[0,0,1]
	v_pk_fma_f32 v[30:31], v[44:45], v[34:35], v[92:93] op_sel_hi:[1,0,1]
	v_pk_fma_f32 v[34:35], v[46:47], v[38:39], v[32:33] neg_lo:[0,0,1] neg_hi:[0,0,1]
	v_pk_fma_f32 v[32:33], v[46:47], v[38:39], v[32:33] op_sel_hi:[1,0,1]
	v_dual_mov_b32 v38, v51 :: v_dual_mov_b32 v39, v50
	v_dual_mul_f32 v104, v47, v37 :: v_dual_mul_f32 v105, v46, v37
	v_dual_mul_f32 v106, v41, v53 :: v_dual_mul_f32 v107, v40, v53
	;; [unrolled: 1-line block ×5, first 2 shown]
	v_pk_mul_f32 v[38:39], v[38:39], v[58:59] op_sel:[0,1]
	v_dual_mul_f32 v29, v49, v53 :: v_dual_mul_f32 v30, v48, v53
	v_dual_fma_f32 v92, v46, v36, -v104 :: v_dual_fmac_f32 v105, v47, v36
	v_pk_mul_f32 v[36:37], v[48:49], v[54:55] op_sel:[1,1] op_sel_hi:[0,1]
	v_dual_fma_f32 v95, v40, v52, -v106 :: v_dual_fmac_f32 v107, v41, v52
	v_dual_fma_f32 v104, v40, v54, -v108 :: v_dual_fmac_f32 v109, v41, v54
	;; [unrolled: 1-line block ×4, first 2 shown]
	v_pk_fma_f32 v[42:43], v[50:51], v[58:59], v[38:39] neg_lo:[0,0,1] neg_hi:[0,0,1]
	v_pk_fma_f32 v[38:39], v[50:51], v[58:59], v[38:39] op_sel_hi:[1,0,1]
	v_dual_mul_f32 v35, v69, v61 :: v_dual_mul_f32 v94, v68, v61
	v_dual_mul_f32 v53, v69, v63 :: v_dual_mul_f32 v110, v68, v63
	v_dual_fma_f32 v112, v48, v52, -v29 :: v_dual_fmac_f32 v30, v49, v52
	v_dual_mul_f32 v29, v71, v65 :: v_dual_mul_f32 v38, v71, v67
	v_mul_f32_e32 v114, v70, v67
	v_pk_fma_f32 v[40:41], v[48:49], v[54:55], v[36:37] neg_lo:[0,0,1] neg_hi:[0,0,1]
	v_pk_fma_f32 v[36:37], v[48:49], v[54:55], v[36:37] op_sel_hi:[1,0,1]
	v_dual_mov_b32 v46, v87 :: v_dual_mov_b32 v47, v86
	v_mul_f32_e32 v36, v70, v65
	v_dual_mul_f32 v41, v85, v61 :: v_dual_mul_f32 v61, v84, v61
	v_dual_fma_f32 v115, v68, v60, -v35 :: v_dual_fmac_f32 v94, v69, v60
	v_dual_fma_f32 v68, v68, v62, -v53 :: v_dual_fmac_f32 v110, v69, v62
	s_delay_alu instid0(VALU_DEP_4)
	v_dual_fma_f32 v69, v70, v64, -v29 :: v_dual_fmac_f32 v36, v71, v64
	v_dual_fma_f32 v38, v70, v66, -v38 :: v_dual_mul_f32 v29, v87, v65
	v_dual_mul_f32 v32, v51, v57 :: v_dual_mul_f32 v93, v50, v57
	v_pk_mul_f32 v[46:47], v[46:47], v[66:67] op_sel:[0,1]
	v_dual_fmac_f32 v114, v71, v66 :: v_dual_mul_f32 v65, v86, v65
	v_dual_fma_f32 v70, v84, v60, -v41 :: v_dual_mul_f32 v35, v73, v77
	v_fmac_f32_e32 v61, v85, v60
	v_dual_fma_f32 v60, v86, v64, -v29 :: v_dual_mul_f32 v29, v73, v79
	v_dual_fma_f32 v32, v50, v56, -v32 :: v_dual_fmac_f32 v93, v51, v56
	v_pk_mul_f32 v[44:45], v[84:85], v[62:63] op_sel:[1,1] op_sel_hi:[0,1]
	v_pk_fma_f32 v[50:51], v[86:87], v[66:67], v[46:47] neg_lo:[0,0,1] neg_hi:[0,0,1]
	v_pk_fma_f32 v[46:47], v[86:87], v[66:67], v[46:47] op_sel_hi:[1,0,1]
	v_pk_mul_f32 v[52:53], v[88:89], v[78:79] op_sel:[1,1] op_sel_hi:[0,1]
	v_dual_fmac_f32 v65, v87, v64 :: v_dual_mul_f32 v46, v72, v79
	v_dual_mul_f32 v41, v75, v81 :: v_dual_mul_f32 v43, v75, v83
	v_dual_fma_f32 v67, v72, v78, -v29 :: v_dual_mul_f32 v29, v91, v81
	v_pk_fma_f32 v[48:49], v[84:85], v[62:63], v[44:45] neg_lo:[0,0,1] neg_hi:[0,0,1]
	v_pk_fma_f32 v[44:45], v[84:85], v[62:63], v[44:45] op_sel_hi:[1,0,1]
	v_pk_fma_f32 v[54:55], v[88:89], v[78:79], v[52:53] neg_lo:[0,0,1] neg_hi:[0,0,1]
	v_pk_fma_f32 v[52:53], v[88:89], v[78:79], v[52:53] op_sel_hi:[1,0,1]
	v_mul_f32_e32 v44, v72, v77
	v_dual_mul_f32 v62, v74, v81 :: v_dual_mul_f32 v63, v74, v83
	v_dual_mul_f32 v49, v89, v77 :: v_dual_mul_f32 v64, v88, v77
	s_delay_alu instid0(VALU_DEP_3) | instskip(NEXT) | instid1(VALU_DEP_3)
	v_dual_fma_f32 v66, v72, v76, -v35 :: v_dual_fmac_f32 v44, v73, v76
	v_dual_fma_f32 v71, v74, v80, -v41 :: v_dual_fmac_f32 v62, v75, v80
	v_fma_f32 v72, v74, v82, -v43
	v_dual_mul_f32 v52, v90, v81 :: v_dual_fma_f32 v74, v90, v80, -v29
	v_dual_add_f32 v14, v14, v102 :: v_dual_mov_b32 v29, v31
	v_dual_add_f32 v20, v20, v21 :: v_dual_add_f32 v21, v22, v23
	v_dual_add_f32 v16, v16, v96 :: v_dual_add_f32 v18, v18, v97
	v_dual_add_f32 v12, v12, v103 :: v_dual_mov_b32 v41, v37
	s_delay_alu instid0(VALU_DEP_4) | instskip(SKIP_4) | instid1(VALU_DEP_4)
	v_pk_add_f32 v[10:11], v[10:11], v[28:29]
	v_dual_mov_b32 v35, v33 :: v_dual_mov_b32 v43, v39
	v_dual_add_f32 v20, v20, v98 :: v_dual_add_f32 v21, v21, v99
	v_dual_add_f32 v16, v16, v100 :: v_dual_add_f32 v18, v18, v101
	;; [unrolled: 1-line block ×3, first 2 shown]
	v_pk_add_f32 v[10:11], v[10:11], v[34:35]
	v_dual_mov_b32 v56, v91 :: v_dual_mov_b32 v57, v90
	s_delay_alu instid0(VALU_DEP_4)
	v_dual_add_f32 v20, v20, v95 :: v_dual_add_f32 v18, v18, v109
	v_dual_add_f32 v21, v21, v107 :: v_dual_add_f32 v16, v16, v104
	;; [unrolled: 1-line block ×3, first 2 shown]
	v_pk_add_f32 v[10:11], v[10:11], v[40:41]
	v_dual_fmac_f32 v46, v73, v78 :: v_dual_fma_f32 v73, v88, v76, -v49
	v_pk_mul_f32 v[56:57], v[56:57], v[82:83] op_sel:[0,1]
	v_dual_mov_b32 v49, v45 :: v_dual_mov_b32 v55, v53
	v_dual_add_f32 v20, v20, v106 :: v_dual_add_f32 v21, v21, v111
	v_dual_add_f32 v16, v16, v108 :: v_dual_add_f32 v18, v18, v113
	;; [unrolled: 1-line block ×3, first 2 shown]
	v_pk_add_f32 v[10:11], v[10:11], v[42:43]
	v_pk_fma_f32 v[58:59], v[90:91], v[82:83], v[56:57] neg_lo:[0,0,1] neg_hi:[0,0,1]
	v_pk_fma_f32 v[56:57], v[90:91], v[82:83], v[56:57] op_sel_hi:[1,0,1]
	v_dual_mov_b32 v51, v47 :: v_dual_add_f32 v20, v20, v115
	v_dual_add_f32 v21, v21, v94 :: v_dual_add_f32 v16, v16, v68
	v_add_f32_e32 v18, v18, v110
	v_dual_add_f32 v14, v14, v70 :: v_dual_add_f32 v12, v12, v61
	v_pk_add_f32 v[10:11], v[10:11], v[48:49]
	v_dual_fmac_f32 v63, v75, v82 :: v_dual_fmac_f32 v64, v89, v76
	v_dual_mov_b32 v59, v57 :: v_dual_add_f32 v20, v20, v69
	v_dual_add_f32 v21, v21, v36 :: v_dual_add_f32 v16, v16, v38
	v_add_f32_e32 v14, v14, v60
	v_dual_add_f32 v18, v18, v114 :: v_dual_add_f32 v12, v12, v65
	v_pk_add_f32 v[10:11], v[10:11], v[50:51]
	v_dual_fmac_f32 v52, v91, v80 :: v_dual_add_f32 v20, v20, v66
	v_dual_add_f32 v21, v21, v44 :: v_dual_add_f32 v16, v16, v67
	s_delay_alu instid0(VALU_DEP_4) | instskip(SKIP_2) | instid1(VALU_DEP_4)
	v_add_f32_e32 v18, v18, v46
	v_dual_add_f32 v14, v14, v73 :: v_dual_add_f32 v12, v12, v64
	v_pk_add_f32 v[10:11], v[10:11], v[54:55]
	v_dual_add_f32 v20, v20, v71 :: v_dual_add_f32 v22, v21, v62
	s_delay_alu instid0(VALU_DEP_4) | instskip(NEXT) | instid1(VALU_DEP_4)
	v_dual_add_f32 v16, v16, v72 :: v_dual_add_f32 v18, v18, v63
	v_dual_add_f32 v14, v14, v74 :: v_dual_add_f32 v12, v12, v52
	s_delay_alu instid0(VALU_DEP_4)
	v_pk_add_f32 v[10:11], v[10:11], v[58:59]
	s_cbranch_vccnz .LBB516_5
.LBB516_6:                              ;   in Loop: Header=BB516_3 Depth=1
	s_mul_u64 s[28:29], s[22:23], s[2:3]
	s_and_not1_b32 vcc_lo, exec_lo, s1
	s_lshl_b64 s[28:29], s[28:29], 3
	s_mov_b32 s30, -1
	s_add_nc_u64 s[28:29], s[10:11], s[28:29]
                                        ; implicit-def: $vgpr21
                                        ; implicit-def: $vgpr24_vgpr25
	s_cbranch_vccz .LBB516_8
; %bb.7:                                ;   in Loop: Header=BB516_3 Depth=1
	s_and_not1_b32 vcc_lo, exec_lo, s30
	s_cbranch_vccnz .LBB516_2
	s_branch .LBB516_9
.LBB516_8:                              ;   in Loop: Header=BB516_3 Depth=1
	s_wait_xcnt 0x0
	v_mov_b64_e32 v[24:25], s[14:15]
	v_lshl_add_u64 v[26:27], v[0:1], 3, s[28:29]
	v_mov_b64_e32 v[30:31], s[26:27]
	v_lshlrev_b64_e32 v[28:29], 3, v[2:3]
	s_delay_alu instid0(VALU_DEP_3)
	v_lshl_add_u64 v[36:37], s[20:21], 3, v[26:27]
	v_pk_mul_f32 v[32:33], v[22:23], v[24:25] op_sel_hi:[0,1]
	v_pk_mul_f32 v[34:35], v[18:19], v[24:25] op_sel_hi:[0,1]
	;; [unrolled: 1-line block ×3, first 2 shown]
	v_add_nc_u64_e32 v[26:27], v[26:27], v[28:29]
	v_add_nc_u64_e32 v[28:29], v[36:37], v[28:29]
	v_pk_fma_f32 v[40:41], v[20:21], v[30:31], v[32:33] neg_lo:[0,0,1] neg_hi:[0,0,1]
	v_pk_fma_f32 v[32:33], v[20:21], v[30:31], v[32:33] op_sel_hi:[0,1,1]
	v_pk_fma_f32 v[42:43], v[16:17], v[30:31], v[34:35] neg_lo:[0,0,1] neg_hi:[0,0,1]
	v_pk_fma_f32 v[34:35], v[16:17], v[30:31], v[34:35] op_sel_hi:[0,1,1]
	v_pk_fma_f32 v[36:37], v[14:15], v[30:31], v[38:39] op_sel_hi:[0,1,1]
	s_delay_alu instid0(VALU_DEP_4)
	v_dual_mul_f32 v21, s26, v10 :: v_dual_mov_b32 v41, v33
	v_pk_mul_f32 v[32:33], v[10:11], v[24:25]
	v_add_nc_u64_e32 v[24:25], 0x80, v[28:29]
	v_pk_fma_f32 v[30:31], v[14:15], v[30:31], v[38:39] neg_lo:[0,0,1] neg_hi:[0,0,1]
	v_dual_mov_b32 v43, v35 :: v_dual_mov_b32 v31, v37
	v_fma_f32 v23, -v11, s14, v21
	v_add_f32_e32 v21, v32, v33
	s_clause 0x3
	global_store_b64 v[26:27], v[40:41], off
	global_store_b64 v[26:27], v[42:43], off offset:128
	global_store_b64 v[28:29], v[30:31], off
	global_store_b32 v[28:29], v23, off offset:128
	s_cbranch_execnz .LBB516_2
.LBB516_9:                              ;   in Loop: Header=BB516_3 Depth=1
	s_mul_u64 s[30:31], s[8:9], s[2:3]
	s_wait_xcnt 0x0
	v_lshlrev_b64_e32 v[24:25], 3, v[2:3]
	s_wait_xcnt 0x2
	v_lshl_add_u64 v[26:27], s[30:31], 3, v[4:5]
	v_mov_b64_e32 v[32:33], s[14:15]
	v_mov_b64_e32 v[34:35], s[12:13]
	;; [unrolled: 1-line block ×4, first 2 shown]
	v_lshl_add_u64 v[46:47], v[0:1], 3, s[28:29]
	s_wait_xcnt 0x0
	v_add_nc_u64_e32 v[28:29], v[26:27], v[24:25]
	v_lshl_add_u64 v[26:27], s[6:7], 3, v[26:27]
	v_pk_mul_f32 v[22:23], v[22:23], v[32:33] op_sel_hi:[0,1]
	s_delay_alu instid0(VALU_DEP_2)
	v_add_nc_u64_e32 v[26:27], v[26:27], v[24:25]
	global_load_b64 v[30:31], v[28:29], off
	v_pk_fma_f32 v[42:43], v[20:21], v[36:37], v[22:23] op_sel_hi:[0,1,1]
	v_pk_fma_f32 v[20:21], v[20:21], v[36:37], v[22:23] neg_lo:[0,0,1] neg_hi:[0,0,1]
	s_wait_loadcnt 0x0
	v_pk_mul_f32 v[40:41], v[30:31], v[34:35]
	s_delay_alu instid0(VALU_DEP_1) | instskip(SKIP_3) | instid1(VALU_DEP_4)
	v_pk_fma_f32 v[44:45], v[30:31], v[38:39], v[40:41] op_sel:[0,0,1] op_sel_hi:[1,1,0]
	v_pk_fma_f32 v[22:23], v[30:31], v[38:39], v[40:41] op_sel:[0,0,1] op_sel_hi:[1,1,0] neg_lo:[0,0,1] neg_hi:[0,0,1]
	v_mov_b32_e32 v21, v43
	v_add_nc_u64_e32 v[30:31], v[46:47], v[24:25]
	v_mov_b32_e32 v23, v45
	s_delay_alu instid0(VALU_DEP_1)
	v_pk_add_f32 v[20:21], v[20:21], v[22:23]
	v_pk_mul_f32 v[22:23], v[18:19], v[32:33] op_sel_hi:[0,1]
	global_store_b64 v[30:31], v[20:21], off
	global_load_b64 v[20:21], v[28:29], off offset:128
	v_pk_fma_f32 v[40:41], v[16:17], v[36:37], v[22:23] op_sel_hi:[0,1,1]
	v_pk_fma_f32 v[22:23], v[16:17], v[36:37], v[22:23] neg_lo:[0,0,1] neg_hi:[0,0,1]
	s_wait_loadcnt 0x0
	s_wait_xcnt 0x0
	v_pk_mul_f32 v[28:29], v[20:21], v[34:35]
	s_delay_alu instid0(VALU_DEP_1) | instskip(SKIP_1) | instid1(VALU_DEP_2)
	v_pk_fma_f32 v[42:43], v[20:21], v[38:39], v[28:29] op_sel:[0,0,1] op_sel_hi:[1,1,0]
	v_pk_fma_f32 v[20:21], v[20:21], v[38:39], v[28:29] op_sel:[0,0,1] op_sel_hi:[1,1,0] neg_lo:[0,0,1] neg_hi:[0,0,1]
	v_dual_mov_b32 v23, v41 :: v_dual_mov_b32 v21, v43
	s_delay_alu instid0(VALU_DEP_1)
	v_pk_add_f32 v[20:21], v[22:23], v[20:21]
	v_pk_mul_f32 v[22:23], v[12:13], v[32:33] op_sel_hi:[0,1]
	global_store_b64 v[30:31], v[20:21], off offset:128
	global_load_b64 v[20:21], v[26:27], off
	v_pk_fma_f32 v[30:31], v[14:15], v[36:37], v[22:23] op_sel_hi:[0,1,1]
	v_pk_fma_f32 v[22:23], v[14:15], v[36:37], v[22:23] neg_lo:[0,0,1] neg_hi:[0,0,1]
	v_mul_f32_e32 v14, s26, v10
	s_delay_alu instid0(VALU_DEP_1) | instskip(SKIP_3) | instid1(VALU_DEP_2)
	v_fma_f32 v14, -v11, s14, v14
	s_wait_loadcnt 0x0
	v_pk_mul_f32 v[28:29], v[20:21], v[34:35]
	v_lshl_add_u64 v[34:35], s[20:21], 3, v[46:47]
	v_pk_fma_f32 v[32:33], v[20:21], v[38:39], v[28:29] op_sel:[0,0,1] op_sel_hi:[1,1,0]
	v_pk_fma_f32 v[20:21], v[20:21], v[38:39], v[28:29] op_sel:[0,0,1] op_sel_hi:[1,1,0] neg_lo:[0,0,1] neg_hi:[0,0,1]
	v_mov_b32_e32 v23, v31
	s_delay_alu instid0(VALU_DEP_4) | instskip(NEXT) | instid1(VALU_DEP_4)
	v_add_nc_u64_e32 v[28:29], v[34:35], v[24:25]
	v_dual_mov_b32 v24, v10 :: v_dual_mov_b32 v21, v33
	s_delay_alu instid0(VALU_DEP_1)
	v_pk_add_f32 v[20:21], v[22:23], v[20:21]
	v_mov_b64_e32 v[22:23], s[38:39]
	global_store_b64 v[28:29], v[20:21], off
	global_load_b64 v[20:21], v[26:27], off offset:128
	s_wait_loadcnt 0x0
	v_dual_mul_f32 v12, s35, v21 :: v_dual_mov_b32 v25, v20
	s_delay_alu instid0(VALU_DEP_1) | instskip(NEXT) | instid1(VALU_DEP_1)
	v_fma_f32 v12, v20, s34, -v12
	v_dual_mov_b32 v20, v11 :: v_dual_add_f32 v12, v14, v12
	s_delay_alu instid0(VALU_DEP_1) | instskip(SKIP_4) | instid1(VALU_DEP_2)
	v_pk_mul_f32 v[20:21], v[20:21], v[22:23]
	v_mov_b64_e32 v[22:23], s[36:37]
	global_store_b32 v[28:29], v12, off offset:128
	v_pk_fma_f32 v[10:11], v[24:25], v[22:23], v[20:21]
	v_add_nc_u64_e32 v[24:25], 0x80, v[28:29]
	v_add_f32_e32 v21, v10, v11
	s_branch .LBB516_2
.LBB516_10:
	s_sendmsg sendmsg(MSG_DEALLOC_VGPRS)
	s_endpgm
	.section	.rodata,"a",@progbits
	.p2align	6, 0x0
	.amdhsa_kernel _ZN12_GLOBAL__N_127rocblas_gemm_batched_kernelI19rocblas_complex_numIfELi16ELi16ELi32ELi32ELi8ELi32ELi8ELi8ELi32ELc67ELc84EKS2_S3_S2_EEvlllT_PT11_llS6_llS4_PT12_llPT13_lli
		.amdhsa_group_segment_fixed_size 4096
		.amdhsa_private_segment_fixed_size 0
		.amdhsa_kernarg_size 140
		.amdhsa_user_sgpr_count 2
		.amdhsa_user_sgpr_dispatch_ptr 0
		.amdhsa_user_sgpr_queue_ptr 0
		.amdhsa_user_sgpr_kernarg_segment_ptr 1
		.amdhsa_user_sgpr_dispatch_id 0
		.amdhsa_user_sgpr_kernarg_preload_length 0
		.amdhsa_user_sgpr_kernarg_preload_offset 0
		.amdhsa_user_sgpr_private_segment_size 0
		.amdhsa_wavefront_size32 1
		.amdhsa_uses_dynamic_stack 0
		.amdhsa_enable_private_segment 0
		.amdhsa_system_sgpr_workgroup_id_x 1
		.amdhsa_system_sgpr_workgroup_id_y 1
		.amdhsa_system_sgpr_workgroup_id_z 1
		.amdhsa_system_sgpr_workgroup_info 0
		.amdhsa_system_vgpr_workitem_id 1
		.amdhsa_next_free_vgpr 116
		.amdhsa_next_free_sgpr 42
		.amdhsa_named_barrier_count 0
		.amdhsa_reserve_vcc 1
		.amdhsa_float_round_mode_32 0
		.amdhsa_float_round_mode_16_64 0
		.amdhsa_float_denorm_mode_32 3
		.amdhsa_float_denorm_mode_16_64 3
		.amdhsa_fp16_overflow 0
		.amdhsa_memory_ordered 1
		.amdhsa_forward_progress 1
		.amdhsa_inst_pref_size 23
		.amdhsa_round_robin_scheduling 0
		.amdhsa_exception_fp_ieee_invalid_op 0
		.amdhsa_exception_fp_denorm_src 0
		.amdhsa_exception_fp_ieee_div_zero 0
		.amdhsa_exception_fp_ieee_overflow 0
		.amdhsa_exception_fp_ieee_underflow 0
		.amdhsa_exception_fp_ieee_inexact 0
		.amdhsa_exception_int_div_zero 0
	.end_amdhsa_kernel
	.section	.text._ZN12_GLOBAL__N_127rocblas_gemm_batched_kernelI19rocblas_complex_numIfELi16ELi16ELi32ELi32ELi8ELi32ELi8ELi8ELi32ELc67ELc84EKS2_S3_S2_EEvlllT_PT11_llS6_llS4_PT12_llPT13_lli,"axG",@progbits,_ZN12_GLOBAL__N_127rocblas_gemm_batched_kernelI19rocblas_complex_numIfELi16ELi16ELi32ELi32ELi8ELi32ELi8ELi8ELi32ELc67ELc84EKS2_S3_S2_EEvlllT_PT11_llS6_llS4_PT12_llPT13_lli,comdat
.Lfunc_end516:
	.size	_ZN12_GLOBAL__N_127rocblas_gemm_batched_kernelI19rocblas_complex_numIfELi16ELi16ELi32ELi32ELi8ELi32ELi8ELi8ELi32ELc67ELc84EKS2_S3_S2_EEvlllT_PT11_llS6_llS4_PT12_llPT13_lli, .Lfunc_end516-_ZN12_GLOBAL__N_127rocblas_gemm_batched_kernelI19rocblas_complex_numIfELi16ELi16ELi32ELi32ELi8ELi32ELi8ELi8ELi32ELc67ELc84EKS2_S3_S2_EEvlllT_PT11_llS6_llS4_PT12_llPT13_lli
                                        ; -- End function
	.set _ZN12_GLOBAL__N_127rocblas_gemm_batched_kernelI19rocblas_complex_numIfELi16ELi16ELi32ELi32ELi8ELi32ELi8ELi8ELi32ELc67ELc84EKS2_S3_S2_EEvlllT_PT11_llS6_llS4_PT12_llPT13_lli.num_vgpr, 116
	.set _ZN12_GLOBAL__N_127rocblas_gemm_batched_kernelI19rocblas_complex_numIfELi16ELi16ELi32ELi32ELi8ELi32ELi8ELi8ELi32ELc67ELc84EKS2_S3_S2_EEvlllT_PT11_llS6_llS4_PT12_llPT13_lli.num_agpr, 0
	.set _ZN12_GLOBAL__N_127rocblas_gemm_batched_kernelI19rocblas_complex_numIfELi16ELi16ELi32ELi32ELi8ELi32ELi8ELi8ELi32ELc67ELc84EKS2_S3_S2_EEvlllT_PT11_llS6_llS4_PT12_llPT13_lli.numbered_sgpr, 42
	.set _ZN12_GLOBAL__N_127rocblas_gemm_batched_kernelI19rocblas_complex_numIfELi16ELi16ELi32ELi32ELi8ELi32ELi8ELi8ELi32ELc67ELc84EKS2_S3_S2_EEvlllT_PT11_llS6_llS4_PT12_llPT13_lli.num_named_barrier, 0
	.set _ZN12_GLOBAL__N_127rocblas_gemm_batched_kernelI19rocblas_complex_numIfELi16ELi16ELi32ELi32ELi8ELi32ELi8ELi8ELi32ELc67ELc84EKS2_S3_S2_EEvlllT_PT11_llS6_llS4_PT12_llPT13_lli.private_seg_size, 0
	.set _ZN12_GLOBAL__N_127rocblas_gemm_batched_kernelI19rocblas_complex_numIfELi16ELi16ELi32ELi32ELi8ELi32ELi8ELi8ELi32ELc67ELc84EKS2_S3_S2_EEvlllT_PT11_llS6_llS4_PT12_llPT13_lli.uses_vcc, 1
	.set _ZN12_GLOBAL__N_127rocblas_gemm_batched_kernelI19rocblas_complex_numIfELi16ELi16ELi32ELi32ELi8ELi32ELi8ELi8ELi32ELc67ELc84EKS2_S3_S2_EEvlllT_PT11_llS6_llS4_PT12_llPT13_lli.uses_flat_scratch, 0
	.set _ZN12_GLOBAL__N_127rocblas_gemm_batched_kernelI19rocblas_complex_numIfELi16ELi16ELi32ELi32ELi8ELi32ELi8ELi8ELi32ELc67ELc84EKS2_S3_S2_EEvlllT_PT11_llS6_llS4_PT12_llPT13_lli.has_dyn_sized_stack, 0
	.set _ZN12_GLOBAL__N_127rocblas_gemm_batched_kernelI19rocblas_complex_numIfELi16ELi16ELi32ELi32ELi8ELi32ELi8ELi8ELi32ELc67ELc84EKS2_S3_S2_EEvlllT_PT11_llS6_llS4_PT12_llPT13_lli.has_recursion, 0
	.set _ZN12_GLOBAL__N_127rocblas_gemm_batched_kernelI19rocblas_complex_numIfELi16ELi16ELi32ELi32ELi8ELi32ELi8ELi8ELi32ELc67ELc84EKS2_S3_S2_EEvlllT_PT11_llS6_llS4_PT12_llPT13_lli.has_indirect_call, 0
	.section	.AMDGPU.csdata,"",@progbits
; Kernel info:
; codeLenInByte = 2840
; TotalNumSgprs: 44
; NumVgprs: 116
; ScratchSize: 0
; MemoryBound: 0
; FloatMode: 240
; IeeeMode: 1
; LDSByteSize: 4096 bytes/workgroup (compile time only)
; SGPRBlocks: 0
; VGPRBlocks: 7
; NumSGPRsForWavesPerEU: 44
; NumVGPRsForWavesPerEU: 116
; NamedBarCnt: 0
; Occupancy: 8
; WaveLimiterHint : 1
; COMPUTE_PGM_RSRC2:SCRATCH_EN: 0
; COMPUTE_PGM_RSRC2:USER_SGPR: 2
; COMPUTE_PGM_RSRC2:TRAP_HANDLER: 0
; COMPUTE_PGM_RSRC2:TGID_X_EN: 1
; COMPUTE_PGM_RSRC2:TGID_Y_EN: 1
; COMPUTE_PGM_RSRC2:TGID_Z_EN: 1
; COMPUTE_PGM_RSRC2:TIDIG_COMP_CNT: 1
	.section	.text._ZN12_GLOBAL__N_127rocblas_gemm_batched_kernelI19rocblas_complex_numIfELi16ELi16ELi32ELi32ELi8ELi32ELi8ELi8ELi32ELc78ELc67EKS2_S3_S2_EEvlllT_PT11_llS6_llS4_PT12_llPT13_lli,"axG",@progbits,_ZN12_GLOBAL__N_127rocblas_gemm_batched_kernelI19rocblas_complex_numIfELi16ELi16ELi32ELi32ELi8ELi32ELi8ELi8ELi32ELc78ELc67EKS2_S3_S2_EEvlllT_PT11_llS6_llS4_PT12_llPT13_lli,comdat
	.globl	_ZN12_GLOBAL__N_127rocblas_gemm_batched_kernelI19rocblas_complex_numIfELi16ELi16ELi32ELi32ELi8ELi32ELi8ELi8ELi32ELc78ELc67EKS2_S3_S2_EEvlllT_PT11_llS6_llS4_PT12_llPT13_lli ; -- Begin function _ZN12_GLOBAL__N_127rocblas_gemm_batched_kernelI19rocblas_complex_numIfELi16ELi16ELi32ELi32ELi8ELi32ELi8ELi8ELi32ELc78ELc67EKS2_S3_S2_EEvlllT_PT11_llS6_llS4_PT12_llPT13_lli
	.p2align	8
	.type	_ZN12_GLOBAL__N_127rocblas_gemm_batched_kernelI19rocblas_complex_numIfELi16ELi16ELi32ELi32ELi8ELi32ELi8ELi8ELi32ELc78ELc67EKS2_S3_S2_EEvlllT_PT11_llS6_llS4_PT12_llPT13_lli,@function
_ZN12_GLOBAL__N_127rocblas_gemm_batched_kernelI19rocblas_complex_numIfELi16ELi16ELi32ELi32ELi8ELi32ELi8ELi8ELi32ELc78ELc67EKS2_S3_S2_EEvlllT_PT11_llS6_llS4_PT12_llPT13_lli: ; @_ZN12_GLOBAL__N_127rocblas_gemm_batched_kernelI19rocblas_complex_numIfELi16ELi16ELi32ELi32ELi8ELi32ELi8ELi8ELi32ELc78ELc67EKS2_S3_S2_EEvlllT_PT11_llS6_llS4_PT12_llPT13_lli
; %bb.0:
	s_load_b32 s33, s[0:1], 0x88
	s_bfe_u32 s2, ttmp6, 0x40014
	s_lshr_b32 s3, ttmp7, 16
	s_add_co_i32 s2, s2, 1
	s_bfe_u32 s4, ttmp6, 0x40008
	s_mul_i32 s2, s3, s2
	s_getreg_b32 s12, hwreg(HW_REG_IB_STS2, 6, 4)
	s_add_co_i32 s4, s4, s2
	s_cmp_eq_u32 s12, 0
	s_cselect_b32 s2, s3, s4
	s_mov_b32 s3, 0
	s_wait_kmcnt 0x0
	s_cmp_ge_i32 s2, s33
	s_cbranch_scc1 .LBB517_10
; %bb.1:
	v_bfe_u32 v2, v0, 10, 10
	v_and_b32_e32 v4, 0x3ff, v0
	s_bfe_u32 s14, ttmp6, 0x4000c
	s_bfe_u32 s15, ttmp6, 0x40010
	s_clause 0x1
	s_load_b128 s[28:31], s[0:1], 0x40
	s_load_b256 s[4:11], s[0:1], 0x58
	s_add_co_i32 s14, s14, 1
	s_and_b32 s16, ttmp7, 0xffff
	s_add_co_i32 s15, s15, 1
	v_lshl_add_u32 v12, v2, 4, v4
	v_mov_b32_e32 v3, 0
	s_and_b32 s13, ttmp6, 15
	s_mul_i32 s14, ttmp9, s14
	s_mul_i32 s15, s16, s15
	s_bfe_u32 s17, ttmp6, 0x40004
	s_add_co_i32 s13, s13, s14
	s_add_co_i32 s17, s17, s15
	s_cmp_eq_u32 s12, 0
	v_dual_mov_b32 v7, v3 :: v_dual_lshrrev_b32 v6, 3, v12
	v_mov_b32_e32 v5, v3
	s_cselect_b32 s12, s16, s17
	s_cselect_b32 s36, ttmp9, s13
	s_lshl_b32 s38, s12, 5
	s_mov_b32 s39, s3
	s_load_b256 s[12:19], s[0:1], 0x20
	v_add_nc_u64_e32 v[8:9], s[38:39], v[6:7]
	s_clause 0x1
	s_load_b128 s[20:23], s[0:1], 0x78
	s_load_b128 s[24:27], s[0:1], 0x10
	v_dual_mov_b32 v11, v3 :: v_dual_bitop2_b32 v7, 7, v0 bitop3:0x40
	v_add_nc_u64_e32 v[0:1], s[38:39], v[2:3]
	s_load_b64 s[34:35], s[0:1], 0x50
	v_dual_lshrrev_b32 v12, 5, v12 :: v_dual_bitop2_b32 v10, 31, v12 bitop3:0x40
	s_wait_kmcnt 0x0
	v_mad_nc_u64_u32 v[8:9], s28, v7, v[8:9]
	v_lshlrev_b32_e32 v3, 3, v7
	s_ashr_i32 s37, s36, 31
	v_mul_u64_e32 v[20:21], s[6:7], v[0:1]
	s_lshl_b64 s[36:37], s[36:37], 5
	v_lshlrev_b32_e32 v13, 3, v10
	v_lshl_or_b32 v3, v6, 6, v3
	v_lshl_add_u32 v19, v2, 6, 0x800
	v_lshlrev_b32_e32 v17, 3, v4
	s_delay_alu instid0(VALU_DEP_4)
	v_lshl_or_b32 v13, v12, 8, v13
	v_mad_u32 v9, s29, v7, v9
	v_mad_nc_u64_u32 v[6:7], s14, v12, s[36:37]
	v_mul_u64_e32 v[0:1], s[20:21], v[0:1]
	v_add_nc_u32_e32 v15, 0x800, v3
	v_add_nc_u64_e32 v[2:3], s[36:37], v[4:5]
	s_mov_b32 s36, s27
	s_or_b32 s0, s34, s35
	s_mov_b32 s37, s26
	s_bitset0_b32 s0, 31
	s_mov_b32 s38, s27
	s_cmp_eq_u32 s0, 0
	v_cmp_gt_i64_e64 s0, s[24:25], 0
	v_mad_u32 v7, s15, v12, v7
	v_lshl_add_u64 v[8:9], v[8:9], 3, s[18:19]
	s_cselect_b32 s1, -1, 0
	s_lshl_b64 s[20:21], s[20:21], 4
	s_lshl_b64 s[6:7], s[6:7], 4
	s_mov_b32 s39, s35
	v_add_nc_u64_e32 v[8:9], 4, v[8:9]
	s_mov_b32 s40, s26
	s_mov_b32 s41, s34
	s_mov_b32 s42, s34
	s_mov_b32 s43, s34
	v_add_nc_u64_e32 v[6:7], v[6:7], v[10:11]
	v_cndmask_b32_e64 v10, 0, 1, s0
	v_lshl_add_u64 v[4:5], v[20:21], 3, s[4:5]
	s_mov_b32 s44, s35
	s_mov_b32 s45, s35
	s_lshl_b64 s[4:5], s[16:17], 3
	v_cmp_ne_u32_e64 s0, 1, v10
	v_lshl_add_u64 v[6:7], v[6:7], 3, s[12:13]
	s_lshl_b64 s[12:13], s[14:15], 6
	s_lshl_b64 s[14:15], s[30:31], 3
	;; [unrolled: 1-line block ×3, first 2 shown]
	s_branch .LBB517_3
.LBB517_2:                              ;   in Loop: Header=BB517_3 Depth=1
	s_add_co_i32 s2, s2, 0x10000
	global_store_b32 v[24:25], v21, off offset:4
	s_cmp_lt_i32 s2, s33
	s_cbranch_scc0 .LBB517_10
.LBB517_3:                              ; =>This Loop Header: Depth=1
                                        ;     Child Loop BB517_5 Depth 2
	v_dual_mov_b32 v11, 0 :: v_dual_mov_b32 v10, 0
	v_dual_mov_b32 v20, 0 :: v_dual_mov_b32 v22, 0
	;; [unrolled: 1-line block ×3, first 2 shown]
	s_wait_xcnt 0x1
	v_dual_mov_b32 v14, 0 :: v_dual_mov_b32 v12, 0
	s_and_b32 vcc_lo, exec_lo, s0
	s_cbranch_vccnz .LBB517_6
; %bb.4:                                ;   in Loop: Header=BB517_3 Depth=1
	s_wait_xcnt 0x0
	v_mad_nc_u64_u32 v[24:25], s4, s2, v[6:7]
	v_mad_nc_u64_u32 v[26:27], s14, s2, v[8:9]
	v_dual_mov_b32 v12, 0 :: v_dual_mov_b32 v14, 0
	v_dual_mov_b32 v18, 0 :: v_dual_mov_b32 v16, 0
	;; [unrolled: 1-line block ×3, first 2 shown]
	s_delay_alu instid0(VALU_DEP_3)
	v_dual_mov_b32 v10, 0 :: v_dual_mov_b32 v11, v12
	s_mov_b64 s[18:19], 0
	v_mad_u32 v25, s5, s2, v25
	v_mad_u32 v27, s15, s2, v27
.LBB517_5:                              ;   Parent Loop BB517_3 Depth=1
                                        ; =>  This Inner Loop Header: Depth=2
	global_load_b64 v[28:29], v[26:27], off offset:-4
	global_load_b64 v[30:31], v[24:25], off
	s_add_nc_u64 s[18:19], s[18:19], 8
	s_wait_xcnt 0x0
	v_add_nc_u64_e32 v[24:25], s[12:13], v[24:25]
	v_cmp_lt_i64_e64 s28, s[18:19], s[24:25]
	v_add_nc_u64_e32 v[26:27], s[16:17], v[26:27]
	s_and_b32 vcc_lo, exec_lo, s28
	s_wait_loadcnt 0x1
	v_xor_b32_e32 v29, 0x80000000, v29
	s_wait_loadcnt 0x0
	ds_store_b64 v13, v[30:31]
	ds_store_b64 v15, v[28:29]
	s_wait_dscnt 0x0
	s_barrier_signal -1
	s_barrier_wait -1
	ds_load_b128 v[28:31], v19
	ds_load_2addr_b64 v[32:35], v17 offset1:16
	ds_load_2addr_b64 v[36:39], v17 offset0:32 offset1:48
	ds_load_b128 v[40:43], v19 offset:16
	ds_load_b128 v[44:47], v19 offset:1024
	;; [unrolled: 1-line block ×3, first 2 shown]
	ds_load_2addr_b64 v[52:55], v17 offset0:64 offset1:80
	ds_load_2addr_b64 v[56:59], v17 offset0:96 offset1:112
	;; [unrolled: 1-line block ×4, first 2 shown]
	ds_load_b128 v[68:71], v19 offset:32
	ds_load_b128 v[72:75], v19 offset:48
	ds_load_2addr_b64 v[76:79], v17 offset0:192 offset1:208
	ds_load_2addr_b64 v[80:83], v17 offset0:224 offset1:240
	ds_load_b128 v[84:87], v19 offset:1056
	ds_load_b128 v[88:91], v19 offset:1072
	s_wait_dscnt 0x0
	s_barrier_signal -1
	s_barrier_wait -1
	v_dual_mul_f32 v21, v29, v33 :: v_dual_mul_f32 v23, v28, v33
	v_dual_mul_f32 v96, v29, v35 :: v_dual_mul_f32 v97, v28, v35
	;; [unrolled: 1-line block ×3, first 2 shown]
	v_dual_mov_b32 v94, v47 :: v_dual_mov_b32 v95, v46
	v_dual_mul_f32 v98, v31, v37 :: v_dual_mul_f32 v99, v30, v37
	v_dual_mul_f32 v100, v31, v39 :: v_dual_mul_f32 v101, v30, v39
	v_pk_mul_f32 v[92:93], v[44:45], v[34:35] op_sel:[1,1] op_sel_hi:[0,1]
	v_dual_fma_f32 v21, v28, v32, -v21 :: v_dual_fmac_f32 v23, v29, v32
	v_dual_fma_f32 v102, v44, v32, -v102 :: v_dual_fmac_f32 v103, v45, v32
	v_pk_mul_f32 v[32:33], v[94:95], v[38:39] op_sel:[0,1]
	v_dual_fma_f32 v96, v28, v34, -v96 :: v_dual_fmac_f32 v97, v29, v34
	v_dual_fma_f32 v98, v30, v36, -v98 :: v_dual_fmac_f32 v99, v31, v36
	;; [unrolled: 1-line block ×3, first 2 shown]
	v_pk_fma_f32 v[28:29], v[44:45], v[34:35], v[92:93] neg_lo:[0,0,1] neg_hi:[0,0,1]
	v_pk_fma_f32 v[30:31], v[44:45], v[34:35], v[92:93] op_sel_hi:[1,0,1]
	v_pk_fma_f32 v[34:35], v[46:47], v[38:39], v[32:33] neg_lo:[0,0,1] neg_hi:[0,0,1]
	v_pk_fma_f32 v[32:33], v[46:47], v[38:39], v[32:33] op_sel_hi:[1,0,1]
	v_dual_mov_b32 v38, v51 :: v_dual_mov_b32 v39, v50
	v_dual_mul_f32 v104, v47, v37 :: v_dual_mul_f32 v105, v46, v37
	v_dual_mul_f32 v106, v41, v53 :: v_dual_mul_f32 v107, v40, v53
	;; [unrolled: 1-line block ×5, first 2 shown]
	v_pk_mul_f32 v[38:39], v[38:39], v[58:59] op_sel:[0,1]
	v_dual_mul_f32 v29, v49, v53 :: v_dual_mul_f32 v30, v48, v53
	v_dual_fma_f32 v92, v46, v36, -v104 :: v_dual_fmac_f32 v105, v47, v36
	v_pk_mul_f32 v[36:37], v[48:49], v[54:55] op_sel:[1,1] op_sel_hi:[0,1]
	v_dual_fma_f32 v95, v40, v52, -v106 :: v_dual_fmac_f32 v107, v41, v52
	v_dual_fma_f32 v104, v40, v54, -v108 :: v_dual_fmac_f32 v109, v41, v54
	;; [unrolled: 1-line block ×4, first 2 shown]
	v_pk_fma_f32 v[42:43], v[50:51], v[58:59], v[38:39] neg_lo:[0,0,1] neg_hi:[0,0,1]
	v_pk_fma_f32 v[38:39], v[50:51], v[58:59], v[38:39] op_sel_hi:[1,0,1]
	v_dual_mul_f32 v35, v69, v61 :: v_dual_mul_f32 v94, v68, v61
	v_dual_mul_f32 v53, v69, v63 :: v_dual_mul_f32 v110, v68, v63
	v_dual_fma_f32 v112, v48, v52, -v29 :: v_dual_fmac_f32 v30, v49, v52
	v_dual_mul_f32 v29, v71, v65 :: v_dual_mul_f32 v38, v71, v67
	v_mul_f32_e32 v114, v70, v67
	v_pk_fma_f32 v[40:41], v[48:49], v[54:55], v[36:37] neg_lo:[0,0,1] neg_hi:[0,0,1]
	v_pk_fma_f32 v[36:37], v[48:49], v[54:55], v[36:37] op_sel_hi:[1,0,1]
	v_dual_mov_b32 v46, v87 :: v_dual_mov_b32 v47, v86
	v_mul_f32_e32 v36, v70, v65
	v_dual_mul_f32 v41, v85, v61 :: v_dual_mul_f32 v61, v84, v61
	v_dual_fma_f32 v115, v68, v60, -v35 :: v_dual_fmac_f32 v94, v69, v60
	v_dual_fma_f32 v68, v68, v62, -v53 :: v_dual_fmac_f32 v110, v69, v62
	s_delay_alu instid0(VALU_DEP_4)
	v_dual_fma_f32 v69, v70, v64, -v29 :: v_dual_fmac_f32 v36, v71, v64
	v_dual_fma_f32 v38, v70, v66, -v38 :: v_dual_mul_f32 v29, v87, v65
	v_dual_mul_f32 v32, v51, v57 :: v_dual_mul_f32 v93, v50, v57
	v_pk_mul_f32 v[46:47], v[46:47], v[66:67] op_sel:[0,1]
	v_dual_fmac_f32 v114, v71, v66 :: v_dual_mul_f32 v65, v86, v65
	v_dual_fma_f32 v70, v84, v60, -v41 :: v_dual_mul_f32 v35, v73, v77
	v_fmac_f32_e32 v61, v85, v60
	v_dual_fma_f32 v60, v86, v64, -v29 :: v_dual_mul_f32 v29, v73, v79
	v_dual_fma_f32 v32, v50, v56, -v32 :: v_dual_fmac_f32 v93, v51, v56
	v_pk_mul_f32 v[44:45], v[84:85], v[62:63] op_sel:[1,1] op_sel_hi:[0,1]
	v_pk_fma_f32 v[50:51], v[86:87], v[66:67], v[46:47] neg_lo:[0,0,1] neg_hi:[0,0,1]
	v_pk_fma_f32 v[46:47], v[86:87], v[66:67], v[46:47] op_sel_hi:[1,0,1]
	v_pk_mul_f32 v[52:53], v[88:89], v[78:79] op_sel:[1,1] op_sel_hi:[0,1]
	v_dual_fmac_f32 v65, v87, v64 :: v_dual_mul_f32 v46, v72, v79
	v_dual_mul_f32 v41, v75, v81 :: v_dual_mul_f32 v43, v75, v83
	v_dual_fma_f32 v67, v72, v78, -v29 :: v_dual_mul_f32 v29, v91, v81
	v_pk_fma_f32 v[48:49], v[84:85], v[62:63], v[44:45] neg_lo:[0,0,1] neg_hi:[0,0,1]
	v_pk_fma_f32 v[44:45], v[84:85], v[62:63], v[44:45] op_sel_hi:[1,0,1]
	v_pk_fma_f32 v[54:55], v[88:89], v[78:79], v[52:53] neg_lo:[0,0,1] neg_hi:[0,0,1]
	v_pk_fma_f32 v[52:53], v[88:89], v[78:79], v[52:53] op_sel_hi:[1,0,1]
	v_mul_f32_e32 v44, v72, v77
	v_dual_mul_f32 v62, v74, v81 :: v_dual_mul_f32 v63, v74, v83
	v_dual_mul_f32 v49, v89, v77 :: v_dual_mul_f32 v64, v88, v77
	s_delay_alu instid0(VALU_DEP_3) | instskip(NEXT) | instid1(VALU_DEP_3)
	v_dual_fma_f32 v66, v72, v76, -v35 :: v_dual_fmac_f32 v44, v73, v76
	v_dual_fma_f32 v71, v74, v80, -v41 :: v_dual_fmac_f32 v62, v75, v80
	v_fma_f32 v72, v74, v82, -v43
	v_dual_mul_f32 v52, v90, v81 :: v_dual_fma_f32 v74, v90, v80, -v29
	v_dual_add_f32 v14, v14, v102 :: v_dual_mov_b32 v29, v31
	v_dual_add_f32 v20, v20, v21 :: v_dual_add_f32 v21, v22, v23
	v_dual_add_f32 v16, v16, v96 :: v_dual_add_f32 v18, v18, v97
	v_dual_add_f32 v12, v12, v103 :: v_dual_mov_b32 v41, v37
	s_delay_alu instid0(VALU_DEP_4) | instskip(SKIP_4) | instid1(VALU_DEP_4)
	v_pk_add_f32 v[10:11], v[10:11], v[28:29]
	v_dual_mov_b32 v35, v33 :: v_dual_mov_b32 v43, v39
	v_dual_add_f32 v20, v20, v98 :: v_dual_add_f32 v21, v21, v99
	v_dual_add_f32 v16, v16, v100 :: v_dual_add_f32 v18, v18, v101
	;; [unrolled: 1-line block ×3, first 2 shown]
	v_pk_add_f32 v[10:11], v[10:11], v[34:35]
	v_dual_mov_b32 v56, v91 :: v_dual_mov_b32 v57, v90
	s_delay_alu instid0(VALU_DEP_4)
	v_dual_add_f32 v20, v20, v95 :: v_dual_add_f32 v18, v18, v109
	v_dual_add_f32 v21, v21, v107 :: v_dual_add_f32 v16, v16, v104
	;; [unrolled: 1-line block ×3, first 2 shown]
	v_pk_add_f32 v[10:11], v[10:11], v[40:41]
	v_dual_fmac_f32 v46, v73, v78 :: v_dual_fma_f32 v73, v88, v76, -v49
	v_pk_mul_f32 v[56:57], v[56:57], v[82:83] op_sel:[0,1]
	v_dual_mov_b32 v49, v45 :: v_dual_mov_b32 v55, v53
	v_dual_add_f32 v20, v20, v106 :: v_dual_add_f32 v21, v21, v111
	v_dual_add_f32 v16, v16, v108 :: v_dual_add_f32 v18, v18, v113
	;; [unrolled: 1-line block ×3, first 2 shown]
	v_pk_add_f32 v[10:11], v[10:11], v[42:43]
	v_pk_fma_f32 v[58:59], v[90:91], v[82:83], v[56:57] neg_lo:[0,0,1] neg_hi:[0,0,1]
	v_pk_fma_f32 v[56:57], v[90:91], v[82:83], v[56:57] op_sel_hi:[1,0,1]
	v_dual_mov_b32 v51, v47 :: v_dual_add_f32 v20, v20, v115
	v_dual_add_f32 v21, v21, v94 :: v_dual_add_f32 v16, v16, v68
	v_add_f32_e32 v18, v18, v110
	v_dual_add_f32 v14, v14, v70 :: v_dual_add_f32 v12, v12, v61
	v_pk_add_f32 v[10:11], v[10:11], v[48:49]
	v_dual_fmac_f32 v63, v75, v82 :: v_dual_fmac_f32 v64, v89, v76
	v_dual_mov_b32 v59, v57 :: v_dual_add_f32 v20, v20, v69
	v_dual_add_f32 v21, v21, v36 :: v_dual_add_f32 v16, v16, v38
	v_add_f32_e32 v14, v14, v60
	v_dual_add_f32 v18, v18, v114 :: v_dual_add_f32 v12, v12, v65
	v_pk_add_f32 v[10:11], v[10:11], v[50:51]
	v_dual_fmac_f32 v52, v91, v80 :: v_dual_add_f32 v20, v20, v66
	v_dual_add_f32 v21, v21, v44 :: v_dual_add_f32 v16, v16, v67
	s_delay_alu instid0(VALU_DEP_4) | instskip(SKIP_2) | instid1(VALU_DEP_4)
	v_add_f32_e32 v18, v18, v46
	v_dual_add_f32 v14, v14, v73 :: v_dual_add_f32 v12, v12, v64
	v_pk_add_f32 v[10:11], v[10:11], v[54:55]
	v_dual_add_f32 v20, v20, v71 :: v_dual_add_f32 v22, v21, v62
	s_delay_alu instid0(VALU_DEP_4) | instskip(NEXT) | instid1(VALU_DEP_4)
	v_dual_add_f32 v16, v16, v72 :: v_dual_add_f32 v18, v18, v63
	v_dual_add_f32 v14, v14, v74 :: v_dual_add_f32 v12, v12, v52
	s_delay_alu instid0(VALU_DEP_4)
	v_pk_add_f32 v[10:11], v[10:11], v[58:59]
	s_cbranch_vccnz .LBB517_5
.LBB517_6:                              ;   in Loop: Header=BB517_3 Depth=1
	s_mul_u64 s[18:19], s[22:23], s[2:3]
	s_and_not1_b32 vcc_lo, exec_lo, s1
	s_lshl_b64 s[18:19], s[18:19], 3
	s_mov_b32 s28, -1
	s_add_nc_u64 s[18:19], s[10:11], s[18:19]
                                        ; implicit-def: $vgpr21
                                        ; implicit-def: $vgpr24_vgpr25
	s_cbranch_vccz .LBB517_8
; %bb.7:                                ;   in Loop: Header=BB517_3 Depth=1
	s_and_not1_b32 vcc_lo, exec_lo, s28
	s_cbranch_vccnz .LBB517_2
	s_branch .LBB517_9
.LBB517_8:                              ;   in Loop: Header=BB517_3 Depth=1
	s_wait_xcnt 0x0
	v_mov_b64_e32 v[24:25], s[36:37]
	v_lshl_add_u64 v[26:27], v[0:1], 3, s[18:19]
	v_mov_b64_e32 v[30:31], s[26:27]
	v_lshlrev_b64_e32 v[28:29], 3, v[2:3]
	s_delay_alu instid0(VALU_DEP_3)
	v_lshl_add_u64 v[36:37], s[20:21], 3, v[26:27]
	v_pk_mul_f32 v[32:33], v[22:23], v[24:25] op_sel_hi:[0,1]
	v_pk_mul_f32 v[34:35], v[18:19], v[24:25] op_sel_hi:[0,1]
	;; [unrolled: 1-line block ×3, first 2 shown]
	v_add_nc_u64_e32 v[26:27], v[26:27], v[28:29]
	v_add_nc_u64_e32 v[28:29], v[36:37], v[28:29]
	v_pk_fma_f32 v[40:41], v[20:21], v[30:31], v[32:33] neg_lo:[0,0,1] neg_hi:[0,0,1]
	v_pk_fma_f32 v[32:33], v[20:21], v[30:31], v[32:33] op_sel_hi:[0,1,1]
	v_pk_fma_f32 v[42:43], v[16:17], v[30:31], v[34:35] neg_lo:[0,0,1] neg_hi:[0,0,1]
	v_pk_fma_f32 v[34:35], v[16:17], v[30:31], v[34:35] op_sel_hi:[0,1,1]
	v_pk_fma_f32 v[36:37], v[14:15], v[30:31], v[38:39] op_sel_hi:[0,1,1]
	s_delay_alu instid0(VALU_DEP_4)
	v_dual_mul_f32 v21, s26, v10 :: v_dual_mov_b32 v41, v33
	v_pk_mul_f32 v[32:33], v[10:11], v[24:25]
	v_add_nc_u64_e32 v[24:25], 0x80, v[28:29]
	v_pk_fma_f32 v[30:31], v[14:15], v[30:31], v[38:39] neg_lo:[0,0,1] neg_hi:[0,0,1]
	v_dual_mov_b32 v43, v35 :: v_dual_mov_b32 v31, v37
	v_fma_f32 v23, -v11, s36, v21
	v_add_f32_e32 v21, v32, v33
	s_clause 0x3
	global_store_b64 v[26:27], v[40:41], off
	global_store_b64 v[26:27], v[42:43], off offset:128
	global_store_b64 v[28:29], v[30:31], off
	global_store_b32 v[28:29], v23, off offset:128
	s_cbranch_execnz .LBB517_2
.LBB517_9:                              ;   in Loop: Header=BB517_3 Depth=1
	s_mul_u64 s[28:29], s[8:9], s[2:3]
	s_wait_xcnt 0x0
	v_lshlrev_b64_e32 v[24:25], 3, v[2:3]
	s_wait_xcnt 0x2
	v_lshl_add_u64 v[26:27], s[28:29], 3, v[4:5]
	v_mov_b64_e32 v[32:33], s[36:37]
	v_mov_b64_e32 v[34:35], s[44:45]
	;; [unrolled: 1-line block ×4, first 2 shown]
	v_lshl_add_u64 v[46:47], v[0:1], 3, s[18:19]
	s_wait_xcnt 0x0
	v_add_nc_u64_e32 v[28:29], v[26:27], v[24:25]
	v_lshl_add_u64 v[26:27], s[6:7], 3, v[26:27]
	v_pk_mul_f32 v[22:23], v[22:23], v[32:33] op_sel_hi:[0,1]
	s_delay_alu instid0(VALU_DEP_2)
	v_add_nc_u64_e32 v[26:27], v[26:27], v[24:25]
	global_load_b64 v[30:31], v[28:29], off
	v_pk_fma_f32 v[42:43], v[20:21], v[36:37], v[22:23] op_sel_hi:[0,1,1]
	v_pk_fma_f32 v[20:21], v[20:21], v[36:37], v[22:23] neg_lo:[0,0,1] neg_hi:[0,0,1]
	s_wait_loadcnt 0x0
	v_pk_mul_f32 v[40:41], v[30:31], v[34:35]
	s_delay_alu instid0(VALU_DEP_1) | instskip(SKIP_3) | instid1(VALU_DEP_4)
	v_pk_fma_f32 v[44:45], v[30:31], v[38:39], v[40:41] op_sel:[0,0,1] op_sel_hi:[1,1,0]
	v_pk_fma_f32 v[22:23], v[30:31], v[38:39], v[40:41] op_sel:[0,0,1] op_sel_hi:[1,1,0] neg_lo:[0,0,1] neg_hi:[0,0,1]
	v_mov_b32_e32 v21, v43
	v_add_nc_u64_e32 v[30:31], v[46:47], v[24:25]
	v_mov_b32_e32 v23, v45
	s_delay_alu instid0(VALU_DEP_1)
	v_pk_add_f32 v[20:21], v[20:21], v[22:23]
	v_pk_mul_f32 v[22:23], v[18:19], v[32:33] op_sel_hi:[0,1]
	global_store_b64 v[30:31], v[20:21], off
	global_load_b64 v[20:21], v[28:29], off offset:128
	v_pk_fma_f32 v[40:41], v[16:17], v[36:37], v[22:23] op_sel_hi:[0,1,1]
	v_pk_fma_f32 v[22:23], v[16:17], v[36:37], v[22:23] neg_lo:[0,0,1] neg_hi:[0,0,1]
	s_wait_loadcnt 0x0
	s_wait_xcnt 0x0
	v_pk_mul_f32 v[28:29], v[20:21], v[34:35]
	s_delay_alu instid0(VALU_DEP_1) | instskip(SKIP_1) | instid1(VALU_DEP_2)
	v_pk_fma_f32 v[42:43], v[20:21], v[38:39], v[28:29] op_sel:[0,0,1] op_sel_hi:[1,1,0]
	v_pk_fma_f32 v[20:21], v[20:21], v[38:39], v[28:29] op_sel:[0,0,1] op_sel_hi:[1,1,0] neg_lo:[0,0,1] neg_hi:[0,0,1]
	v_dual_mov_b32 v23, v41 :: v_dual_mov_b32 v21, v43
	s_delay_alu instid0(VALU_DEP_1)
	v_pk_add_f32 v[20:21], v[22:23], v[20:21]
	v_pk_mul_f32 v[22:23], v[12:13], v[32:33] op_sel_hi:[0,1]
	global_store_b64 v[30:31], v[20:21], off offset:128
	global_load_b64 v[20:21], v[26:27], off
	v_pk_fma_f32 v[30:31], v[14:15], v[36:37], v[22:23] op_sel_hi:[0,1,1]
	v_pk_fma_f32 v[22:23], v[14:15], v[36:37], v[22:23] neg_lo:[0,0,1] neg_hi:[0,0,1]
	v_mul_f32_e32 v14, s26, v10
	s_delay_alu instid0(VALU_DEP_1) | instskip(SKIP_3) | instid1(VALU_DEP_2)
	v_fma_f32 v14, -v11, s36, v14
	s_wait_loadcnt 0x0
	v_pk_mul_f32 v[28:29], v[20:21], v[34:35]
	v_lshl_add_u64 v[34:35], s[20:21], 3, v[46:47]
	v_pk_fma_f32 v[32:33], v[20:21], v[38:39], v[28:29] op_sel:[0,0,1] op_sel_hi:[1,1,0]
	v_pk_fma_f32 v[20:21], v[20:21], v[38:39], v[28:29] op_sel:[0,0,1] op_sel_hi:[1,1,0] neg_lo:[0,0,1] neg_hi:[0,0,1]
	v_mov_b32_e32 v23, v31
	s_delay_alu instid0(VALU_DEP_4) | instskip(NEXT) | instid1(VALU_DEP_4)
	v_add_nc_u64_e32 v[28:29], v[34:35], v[24:25]
	v_dual_mov_b32 v24, v10 :: v_dual_mov_b32 v21, v33
	s_delay_alu instid0(VALU_DEP_1)
	v_pk_add_f32 v[20:21], v[22:23], v[20:21]
	v_mov_b64_e32 v[22:23], s[40:41]
	global_store_b64 v[28:29], v[20:21], off
	global_load_b64 v[20:21], v[26:27], off offset:128
	s_wait_loadcnt 0x0
	v_dual_mul_f32 v12, s35, v21 :: v_dual_mov_b32 v25, v20
	s_delay_alu instid0(VALU_DEP_1) | instskip(NEXT) | instid1(VALU_DEP_1)
	v_fma_f32 v12, v20, s34, -v12
	v_dual_mov_b32 v20, v11 :: v_dual_add_f32 v12, v14, v12
	s_delay_alu instid0(VALU_DEP_1) | instskip(SKIP_4) | instid1(VALU_DEP_2)
	v_pk_mul_f32 v[20:21], v[20:21], v[22:23]
	v_mov_b64_e32 v[22:23], s[38:39]
	global_store_b32 v[28:29], v12, off offset:128
	v_pk_fma_f32 v[10:11], v[24:25], v[22:23], v[20:21]
	v_add_nc_u64_e32 v[24:25], 0x80, v[28:29]
	v_add_f32_e32 v21, v10, v11
	s_branch .LBB517_2
.LBB517_10:
	s_sendmsg sendmsg(MSG_DEALLOC_VGPRS)
	s_endpgm
	.section	.rodata,"a",@progbits
	.p2align	6, 0x0
	.amdhsa_kernel _ZN12_GLOBAL__N_127rocblas_gemm_batched_kernelI19rocblas_complex_numIfELi16ELi16ELi32ELi32ELi8ELi32ELi8ELi8ELi32ELc78ELc67EKS2_S3_S2_EEvlllT_PT11_llS6_llS4_PT12_llPT13_lli
		.amdhsa_group_segment_fixed_size 4096
		.amdhsa_private_segment_fixed_size 0
		.amdhsa_kernarg_size 140
		.amdhsa_user_sgpr_count 2
		.amdhsa_user_sgpr_dispatch_ptr 0
		.amdhsa_user_sgpr_queue_ptr 0
		.amdhsa_user_sgpr_kernarg_segment_ptr 1
		.amdhsa_user_sgpr_dispatch_id 0
		.amdhsa_user_sgpr_kernarg_preload_length 0
		.amdhsa_user_sgpr_kernarg_preload_offset 0
		.amdhsa_user_sgpr_private_segment_size 0
		.amdhsa_wavefront_size32 1
		.amdhsa_uses_dynamic_stack 0
		.amdhsa_enable_private_segment 0
		.amdhsa_system_sgpr_workgroup_id_x 1
		.amdhsa_system_sgpr_workgroup_id_y 1
		.amdhsa_system_sgpr_workgroup_id_z 1
		.amdhsa_system_sgpr_workgroup_info 0
		.amdhsa_system_vgpr_workitem_id 1
		.amdhsa_next_free_vgpr 116
		.amdhsa_next_free_sgpr 46
		.amdhsa_named_barrier_count 0
		.amdhsa_reserve_vcc 1
		.amdhsa_float_round_mode_32 0
		.amdhsa_float_round_mode_16_64 0
		.amdhsa_float_denorm_mode_32 3
		.amdhsa_float_denorm_mode_16_64 3
		.amdhsa_fp16_overflow 0
		.amdhsa_memory_ordered 1
		.amdhsa_forward_progress 1
		.amdhsa_inst_pref_size 23
		.amdhsa_round_robin_scheduling 0
		.amdhsa_exception_fp_ieee_invalid_op 0
		.amdhsa_exception_fp_denorm_src 0
		.amdhsa_exception_fp_ieee_div_zero 0
		.amdhsa_exception_fp_ieee_overflow 0
		.amdhsa_exception_fp_ieee_underflow 0
		.amdhsa_exception_fp_ieee_inexact 0
		.amdhsa_exception_int_div_zero 0
	.end_amdhsa_kernel
	.section	.text._ZN12_GLOBAL__N_127rocblas_gemm_batched_kernelI19rocblas_complex_numIfELi16ELi16ELi32ELi32ELi8ELi32ELi8ELi8ELi32ELc78ELc67EKS2_S3_S2_EEvlllT_PT11_llS6_llS4_PT12_llPT13_lli,"axG",@progbits,_ZN12_GLOBAL__N_127rocblas_gemm_batched_kernelI19rocblas_complex_numIfELi16ELi16ELi32ELi32ELi8ELi32ELi8ELi8ELi32ELc78ELc67EKS2_S3_S2_EEvlllT_PT11_llS6_llS4_PT12_llPT13_lli,comdat
.Lfunc_end517:
	.size	_ZN12_GLOBAL__N_127rocblas_gemm_batched_kernelI19rocblas_complex_numIfELi16ELi16ELi32ELi32ELi8ELi32ELi8ELi8ELi32ELc78ELc67EKS2_S3_S2_EEvlllT_PT11_llS6_llS4_PT12_llPT13_lli, .Lfunc_end517-_ZN12_GLOBAL__N_127rocblas_gemm_batched_kernelI19rocblas_complex_numIfELi16ELi16ELi32ELi32ELi8ELi32ELi8ELi8ELi32ELc78ELc67EKS2_S3_S2_EEvlllT_PT11_llS6_llS4_PT12_llPT13_lli
                                        ; -- End function
	.set _ZN12_GLOBAL__N_127rocblas_gemm_batched_kernelI19rocblas_complex_numIfELi16ELi16ELi32ELi32ELi8ELi32ELi8ELi8ELi32ELc78ELc67EKS2_S3_S2_EEvlllT_PT11_llS6_llS4_PT12_llPT13_lli.num_vgpr, 116
	.set _ZN12_GLOBAL__N_127rocblas_gemm_batched_kernelI19rocblas_complex_numIfELi16ELi16ELi32ELi32ELi8ELi32ELi8ELi8ELi32ELc78ELc67EKS2_S3_S2_EEvlllT_PT11_llS6_llS4_PT12_llPT13_lli.num_agpr, 0
	.set _ZN12_GLOBAL__N_127rocblas_gemm_batched_kernelI19rocblas_complex_numIfELi16ELi16ELi32ELi32ELi8ELi32ELi8ELi8ELi32ELc78ELc67EKS2_S3_S2_EEvlllT_PT11_llS6_llS4_PT12_llPT13_lli.numbered_sgpr, 46
	.set _ZN12_GLOBAL__N_127rocblas_gemm_batched_kernelI19rocblas_complex_numIfELi16ELi16ELi32ELi32ELi8ELi32ELi8ELi8ELi32ELc78ELc67EKS2_S3_S2_EEvlllT_PT11_llS6_llS4_PT12_llPT13_lli.num_named_barrier, 0
	.set _ZN12_GLOBAL__N_127rocblas_gemm_batched_kernelI19rocblas_complex_numIfELi16ELi16ELi32ELi32ELi8ELi32ELi8ELi8ELi32ELc78ELc67EKS2_S3_S2_EEvlllT_PT11_llS6_llS4_PT12_llPT13_lli.private_seg_size, 0
	.set _ZN12_GLOBAL__N_127rocblas_gemm_batched_kernelI19rocblas_complex_numIfELi16ELi16ELi32ELi32ELi8ELi32ELi8ELi8ELi32ELc78ELc67EKS2_S3_S2_EEvlllT_PT11_llS6_llS4_PT12_llPT13_lli.uses_vcc, 1
	.set _ZN12_GLOBAL__N_127rocblas_gemm_batched_kernelI19rocblas_complex_numIfELi16ELi16ELi32ELi32ELi8ELi32ELi8ELi8ELi32ELc78ELc67EKS2_S3_S2_EEvlllT_PT11_llS6_llS4_PT12_llPT13_lli.uses_flat_scratch, 0
	.set _ZN12_GLOBAL__N_127rocblas_gemm_batched_kernelI19rocblas_complex_numIfELi16ELi16ELi32ELi32ELi8ELi32ELi8ELi8ELi32ELc78ELc67EKS2_S3_S2_EEvlllT_PT11_llS6_llS4_PT12_llPT13_lli.has_dyn_sized_stack, 0
	.set _ZN12_GLOBAL__N_127rocblas_gemm_batched_kernelI19rocblas_complex_numIfELi16ELi16ELi32ELi32ELi8ELi32ELi8ELi8ELi32ELc78ELc67EKS2_S3_S2_EEvlllT_PT11_llS6_llS4_PT12_llPT13_lli.has_recursion, 0
	.set _ZN12_GLOBAL__N_127rocblas_gemm_batched_kernelI19rocblas_complex_numIfELi16ELi16ELi32ELi32ELi8ELi32ELi8ELi8ELi32ELc78ELc67EKS2_S3_S2_EEvlllT_PT11_llS6_llS4_PT12_llPT13_lli.has_indirect_call, 0
	.section	.AMDGPU.csdata,"",@progbits
; Kernel info:
; codeLenInByte = 2824
; TotalNumSgprs: 48
; NumVgprs: 116
; ScratchSize: 0
; MemoryBound: 0
; FloatMode: 240
; IeeeMode: 1
; LDSByteSize: 4096 bytes/workgroup (compile time only)
; SGPRBlocks: 0
; VGPRBlocks: 7
; NumSGPRsForWavesPerEU: 48
; NumVGPRsForWavesPerEU: 116
; NamedBarCnt: 0
; Occupancy: 8
; WaveLimiterHint : 1
; COMPUTE_PGM_RSRC2:SCRATCH_EN: 0
; COMPUTE_PGM_RSRC2:USER_SGPR: 2
; COMPUTE_PGM_RSRC2:TRAP_HANDLER: 0
; COMPUTE_PGM_RSRC2:TGID_X_EN: 1
; COMPUTE_PGM_RSRC2:TGID_Y_EN: 1
; COMPUTE_PGM_RSRC2:TGID_Z_EN: 1
; COMPUTE_PGM_RSRC2:TIDIG_COMP_CNT: 1
	.section	.text._ZN12_GLOBAL__N_127rocblas_gemm_batched_kernelI19rocblas_complex_numIfELi16ELi16ELi32ELi32ELi8ELi32ELi8ELi8ELi32ELc84ELc67EKS2_S3_S2_EEvlllT_PT11_llS6_llS4_PT12_llPT13_lli,"axG",@progbits,_ZN12_GLOBAL__N_127rocblas_gemm_batched_kernelI19rocblas_complex_numIfELi16ELi16ELi32ELi32ELi8ELi32ELi8ELi8ELi32ELc84ELc67EKS2_S3_S2_EEvlllT_PT11_llS6_llS4_PT12_llPT13_lli,comdat
	.globl	_ZN12_GLOBAL__N_127rocblas_gemm_batched_kernelI19rocblas_complex_numIfELi16ELi16ELi32ELi32ELi8ELi32ELi8ELi8ELi32ELc84ELc67EKS2_S3_S2_EEvlllT_PT11_llS6_llS4_PT12_llPT13_lli ; -- Begin function _ZN12_GLOBAL__N_127rocblas_gemm_batched_kernelI19rocblas_complex_numIfELi16ELi16ELi32ELi32ELi8ELi32ELi8ELi8ELi32ELc84ELc67EKS2_S3_S2_EEvlllT_PT11_llS6_llS4_PT12_llPT13_lli
	.p2align	8
	.type	_ZN12_GLOBAL__N_127rocblas_gemm_batched_kernelI19rocblas_complex_numIfELi16ELi16ELi32ELi32ELi8ELi32ELi8ELi8ELi32ELc84ELc67EKS2_S3_S2_EEvlllT_PT11_llS6_llS4_PT12_llPT13_lli,@function
_ZN12_GLOBAL__N_127rocblas_gemm_batched_kernelI19rocblas_complex_numIfELi16ELi16ELi32ELi32ELi8ELi32ELi8ELi8ELi32ELc84ELc67EKS2_S3_S2_EEvlllT_PT11_llS6_llS4_PT12_llPT13_lli: ; @_ZN12_GLOBAL__N_127rocblas_gemm_batched_kernelI19rocblas_complex_numIfELi16ELi16ELi32ELi32ELi8ELi32ELi8ELi8ELi32ELc84ELc67EKS2_S3_S2_EEvlllT_PT11_llS6_llS4_PT12_llPT13_lli
; %bb.0:
	s_load_b32 s33, s[0:1], 0x88
	s_bfe_u32 s2, ttmp6, 0x40014
	s_lshr_b32 s3, ttmp7, 16
	s_add_co_i32 s2, s2, 1
	s_bfe_u32 s4, ttmp6, 0x40008
	s_mul_i32 s2, s3, s2
	s_getreg_b32 s24, hwreg(HW_REG_IB_STS2, 6, 4)
	s_add_co_i32 s4, s4, s2
	s_cmp_eq_u32 s24, 0
	s_cselect_b32 s2, s3, s4
	s_mov_b32 s3, 0
	s_wait_kmcnt 0x0
	s_cmp_ge_i32 s2, s33
	s_cbranch_scc1 .LBB518_10
; %bb.1:
	v_bfe_u32 v4, v0, 10, 10
	v_and_b32_e32 v2, 0x3ff, v0
	s_bfe_u32 s25, ttmp6, 0x4000c
	s_bfe_u32 s27, ttmp6, 0x40010
	s_clause 0x1
	s_load_b256 s[12:19], s[0:1], 0x20
	s_load_b128 s[20:23], s[0:1], 0x78
	s_add_co_i32 s25, s25, 1
	s_and_b32 s36, ttmp7, 0xffff
	s_add_co_i32 s27, s27, 1
	s_and_b32 s26, ttmp6, 15
	s_mul_i32 s25, ttmp9, s25
	s_mul_i32 s27, s36, s27
	s_bfe_u32 s37, ttmp6, 0x40004
	v_lshl_add_u32 v3, v4, 4, v2
	v_mov_b32_e32 v5, 0
	s_add_co_i32 s26, s26, s25
	s_add_co_i32 s37, s37, s27
	s_load_b256 s[4:11], s[0:1], 0x58
	s_cmp_eq_u32 s24, 0
	v_and_b32_e32 v12, 31, v3
	s_cselect_b32 s25, s36, s37
	s_cselect_b32 s24, ttmp9, s26
	v_dual_mov_b32 v7, v5 :: v_dual_lshrrev_b32 v6, 3, v3
	s_clause 0x1
	s_load_b128 s[28:31], s[0:1], 0x40
	s_load_b64 s[34:35], s[0:1], 0x50
	s_lshl_b32 s36, s25, 5
	s_ashr_i32 s25, s24, 31
	s_mov_b32 s37, s3
	s_lshl_b64 s[38:39], s[24:25], 5
	v_add_nc_u64_e32 v[8:9], s[36:37], v[6:7]
	v_dual_mov_b32 v1, s39 :: v_dual_bitop2_b32 v7, 7, v0 bitop3:0x40
	v_dual_lshrrev_b32 v14, 5, v3 :: v_dual_bitop2_b32 v0, s38, v12 bitop3:0x54
	v_add_nc_u64_e32 v[10:11], s[36:37], v[4:5]
	s_load_b128 s[24:27], s[0:1], 0x10
	v_lshl_add_u32 v19, v4, 6, 0x800
	s_wait_kmcnt 0x0
	v_mul_u64_e32 v[20:21], s[14:15], v[0:1]
	v_dual_lshlrev_b32 v0, 3, v7 :: v_dual_lshlrev_b32 v1, 3, v12
	v_lshlrev_b32_e32 v4, 3, v14
	v_mul_u64_e32 v[22:23], s[6:7], v[10:11]
	v_dual_mov_b32 v3, v5 :: v_dual_lshlrev_b32 v17, 3, v2
	s_delay_alu instid0(VALU_DEP_4)
	v_lshl_or_b32 v0, v6, 6, v0
	v_mad_nc_u64_u32 v[8:9], s28, v7, v[8:9]
	v_lshl_or_b32 v13, v14, 8, v1
	s_or_b32 s0, s34, s35
	v_add_nc_u64_e32 v[2:3], s[38:39], v[2:3]
	v_add_nc_u32_e32 v15, 0x800, v0
	v_mul_u64_e32 v[0:1], s[20:21], v[10:11]
	s_bitset0_b32 s0, 31
	s_mov_b32 s37, s35
	s_cmp_eq_u32 s0, 0
	s_mov_b32 s39, s34
	v_cmp_gt_i64_e64 s0, s[24:25], 0
	v_mad_u32 v9, s29, v7, v9
	s_cselect_b32 s1, -1, 0
	s_mov_b32 s14, s27
	s_mov_b32 s15, s26
	s_lshl_b64 s[20:21], s[20:21], 4
	s_lshl_b64 s[6:7], s[6:7], 4
	v_cndmask_b32_e64 v10, 0, 1, s0
	s_mov_b32 s36, s27
	s_mov_b32 s38, s26
	;; [unrolled: 1-line block ×4, first 2 shown]
	v_lshl_add_u64 v[6:7], v[8:9], 3, s[18:19]
	v_cmp_ne_u32_e64 s0, 1, v10
	v_lshl_add_u64 v[4:5], v[20:21], 3, v[4:5]
	s_mov_b32 s42, s35
	s_mov_b32 s43, s35
	v_add_nc_u64_e32 v[6:7], 4, v[6:7]
	v_lshl_add_u64 v[8:9], v[22:23], 3, s[4:5]
	v_add_nc_u64_e32 v[4:5], s[12:13], v[4:5]
	s_lshl_b64 s[4:5], s[16:17], 3
	s_lshl_b64 s[12:13], s[30:31], 3
	;; [unrolled: 1-line block ×3, first 2 shown]
	s_branch .LBB518_3
.LBB518_2:                              ;   in Loop: Header=BB518_3 Depth=1
	s_add_co_i32 s2, s2, 0x10000
	global_store_b32 v[24:25], v21, off offset:4
	s_cmp_lt_i32 s2, s33
	s_cbranch_scc0 .LBB518_10
.LBB518_3:                              ; =>This Loop Header: Depth=1
                                        ;     Child Loop BB518_5 Depth 2
	v_dual_mov_b32 v11, 0 :: v_dual_mov_b32 v10, 0
	v_dual_mov_b32 v20, 0 :: v_dual_mov_b32 v22, 0
	;; [unrolled: 1-line block ×3, first 2 shown]
	s_wait_xcnt 0x1
	v_dual_mov_b32 v14, 0 :: v_dual_mov_b32 v12, 0
	s_and_b32 vcc_lo, exec_lo, s0
	s_cbranch_vccnz .LBB518_6
; %bb.4:                                ;   in Loop: Header=BB518_3 Depth=1
	s_wait_xcnt 0x0
	v_mad_nc_u64_u32 v[24:25], s4, s2, v[4:5]
	v_mad_nc_u64_u32 v[26:27], s12, s2, v[6:7]
	v_dual_mov_b32 v12, 0 :: v_dual_mov_b32 v14, 0
	v_dual_mov_b32 v18, 0 :: v_dual_mov_b32 v16, 0
	;; [unrolled: 1-line block ×3, first 2 shown]
	s_delay_alu instid0(VALU_DEP_3)
	v_dual_mov_b32 v10, 0 :: v_dual_mov_b32 v11, v12
	s_mov_b64 s[18:19], 0
	v_mad_u32 v25, s5, s2, v25
	v_mad_u32 v27, s13, s2, v27
.LBB518_5:                              ;   Parent Loop BB518_3 Depth=1
                                        ; =>  This Inner Loop Header: Depth=2
	global_load_b64 v[28:29], v[26:27], off offset:-4
	global_load_b64 v[30:31], v[24:25], off
	s_add_nc_u64 s[18:19], s[18:19], 8
	s_wait_xcnt 0x0
	v_add_nc_u64_e32 v[24:25], 64, v[24:25]
	v_cmp_lt_i64_e64 s28, s[18:19], s[24:25]
	v_add_nc_u64_e32 v[26:27], s[16:17], v[26:27]
	s_and_b32 vcc_lo, exec_lo, s28
	s_wait_loadcnt 0x1
	v_xor_b32_e32 v29, 0x80000000, v29
	s_wait_loadcnt 0x0
	ds_store_b64 v13, v[30:31]
	ds_store_b64 v15, v[28:29]
	s_wait_dscnt 0x0
	s_barrier_signal -1
	s_barrier_wait -1
	ds_load_b128 v[28:31], v19
	ds_load_2addr_b64 v[32:35], v17 offset1:16
	ds_load_2addr_b64 v[36:39], v17 offset0:32 offset1:48
	ds_load_b128 v[40:43], v19 offset:16
	ds_load_b128 v[44:47], v19 offset:1024
	ds_load_b128 v[48:51], v19 offset:1040
	ds_load_2addr_b64 v[52:55], v17 offset0:64 offset1:80
	ds_load_2addr_b64 v[56:59], v17 offset0:96 offset1:112
	;; [unrolled: 1-line block ×4, first 2 shown]
	ds_load_b128 v[68:71], v19 offset:32
	ds_load_b128 v[72:75], v19 offset:48
	ds_load_2addr_b64 v[76:79], v17 offset0:192 offset1:208
	ds_load_2addr_b64 v[80:83], v17 offset0:224 offset1:240
	ds_load_b128 v[84:87], v19 offset:1056
	ds_load_b128 v[88:91], v19 offset:1072
	s_wait_dscnt 0x0
	s_barrier_signal -1
	s_barrier_wait -1
	v_dual_mul_f32 v21, v29, v33 :: v_dual_mul_f32 v23, v28, v33
	v_dual_mul_f32 v96, v29, v35 :: v_dual_mul_f32 v97, v28, v35
	v_dual_mul_f32 v102, v45, v33 :: v_dual_mul_f32 v103, v44, v33
	v_dual_mov_b32 v94, v47 :: v_dual_mov_b32 v95, v46
	v_dual_mul_f32 v98, v31, v37 :: v_dual_mul_f32 v99, v30, v37
	v_dual_mul_f32 v100, v31, v39 :: v_dual_mul_f32 v101, v30, v39
	v_pk_mul_f32 v[92:93], v[44:45], v[34:35] op_sel:[1,1] op_sel_hi:[0,1]
	v_dual_fma_f32 v21, v28, v32, -v21 :: v_dual_fmac_f32 v23, v29, v32
	v_dual_fma_f32 v102, v44, v32, -v102 :: v_dual_fmac_f32 v103, v45, v32
	v_pk_mul_f32 v[32:33], v[94:95], v[38:39] op_sel:[0,1]
	v_dual_fma_f32 v96, v28, v34, -v96 :: v_dual_fmac_f32 v97, v29, v34
	v_dual_fma_f32 v98, v30, v36, -v98 :: v_dual_fmac_f32 v99, v31, v36
	;; [unrolled: 1-line block ×3, first 2 shown]
	v_pk_fma_f32 v[28:29], v[44:45], v[34:35], v[92:93] neg_lo:[0,0,1] neg_hi:[0,0,1]
	v_pk_fma_f32 v[30:31], v[44:45], v[34:35], v[92:93] op_sel_hi:[1,0,1]
	v_pk_fma_f32 v[34:35], v[46:47], v[38:39], v[32:33] neg_lo:[0,0,1] neg_hi:[0,0,1]
	v_pk_fma_f32 v[32:33], v[46:47], v[38:39], v[32:33] op_sel_hi:[1,0,1]
	v_dual_mov_b32 v38, v51 :: v_dual_mov_b32 v39, v50
	v_dual_mul_f32 v104, v47, v37 :: v_dual_mul_f32 v105, v46, v37
	v_dual_mul_f32 v106, v41, v53 :: v_dual_mul_f32 v107, v40, v53
	v_dual_mul_f32 v108, v41, v55 :: v_dual_mul_f32 v109, v40, v55
	v_dual_mul_f32 v110, v43, v57 :: v_dual_mul_f32 v111, v42, v57
	v_dual_mul_f32 v112, v43, v59 :: v_dual_mul_f32 v113, v42, v59
	v_pk_mul_f32 v[38:39], v[38:39], v[58:59] op_sel:[0,1]
	v_dual_mul_f32 v29, v49, v53 :: v_dual_mul_f32 v30, v48, v53
	v_dual_fma_f32 v92, v46, v36, -v104 :: v_dual_fmac_f32 v105, v47, v36
	v_pk_mul_f32 v[36:37], v[48:49], v[54:55] op_sel:[1,1] op_sel_hi:[0,1]
	v_dual_fma_f32 v95, v40, v52, -v106 :: v_dual_fmac_f32 v107, v41, v52
	v_dual_fma_f32 v104, v40, v54, -v108 :: v_dual_fmac_f32 v109, v41, v54
	;; [unrolled: 1-line block ×4, first 2 shown]
	v_pk_fma_f32 v[42:43], v[50:51], v[58:59], v[38:39] neg_lo:[0,0,1] neg_hi:[0,0,1]
	v_pk_fma_f32 v[38:39], v[50:51], v[58:59], v[38:39] op_sel_hi:[1,0,1]
	v_dual_mul_f32 v35, v69, v61 :: v_dual_mul_f32 v94, v68, v61
	v_dual_mul_f32 v53, v69, v63 :: v_dual_mul_f32 v110, v68, v63
	v_dual_fma_f32 v112, v48, v52, -v29 :: v_dual_fmac_f32 v30, v49, v52
	v_dual_mul_f32 v29, v71, v65 :: v_dual_mul_f32 v38, v71, v67
	v_mul_f32_e32 v114, v70, v67
	v_pk_fma_f32 v[40:41], v[48:49], v[54:55], v[36:37] neg_lo:[0,0,1] neg_hi:[0,0,1]
	v_pk_fma_f32 v[36:37], v[48:49], v[54:55], v[36:37] op_sel_hi:[1,0,1]
	v_dual_mov_b32 v46, v87 :: v_dual_mov_b32 v47, v86
	v_mul_f32_e32 v36, v70, v65
	v_dual_mul_f32 v41, v85, v61 :: v_dual_mul_f32 v61, v84, v61
	v_dual_fma_f32 v115, v68, v60, -v35 :: v_dual_fmac_f32 v94, v69, v60
	v_dual_fma_f32 v68, v68, v62, -v53 :: v_dual_fmac_f32 v110, v69, v62
	s_delay_alu instid0(VALU_DEP_4)
	v_dual_fma_f32 v69, v70, v64, -v29 :: v_dual_fmac_f32 v36, v71, v64
	v_dual_fma_f32 v38, v70, v66, -v38 :: v_dual_mul_f32 v29, v87, v65
	v_dual_mul_f32 v32, v51, v57 :: v_dual_mul_f32 v93, v50, v57
	v_pk_mul_f32 v[46:47], v[46:47], v[66:67] op_sel:[0,1]
	v_dual_fmac_f32 v114, v71, v66 :: v_dual_mul_f32 v65, v86, v65
	v_dual_fma_f32 v70, v84, v60, -v41 :: v_dual_mul_f32 v35, v73, v77
	v_fmac_f32_e32 v61, v85, v60
	v_dual_fma_f32 v60, v86, v64, -v29 :: v_dual_mul_f32 v29, v73, v79
	v_dual_fma_f32 v32, v50, v56, -v32 :: v_dual_fmac_f32 v93, v51, v56
	v_pk_mul_f32 v[44:45], v[84:85], v[62:63] op_sel:[1,1] op_sel_hi:[0,1]
	v_pk_fma_f32 v[50:51], v[86:87], v[66:67], v[46:47] neg_lo:[0,0,1] neg_hi:[0,0,1]
	v_pk_fma_f32 v[46:47], v[86:87], v[66:67], v[46:47] op_sel_hi:[1,0,1]
	v_pk_mul_f32 v[52:53], v[88:89], v[78:79] op_sel:[1,1] op_sel_hi:[0,1]
	v_dual_fmac_f32 v65, v87, v64 :: v_dual_mul_f32 v46, v72, v79
	v_dual_mul_f32 v41, v75, v81 :: v_dual_mul_f32 v43, v75, v83
	v_dual_fma_f32 v67, v72, v78, -v29 :: v_dual_mul_f32 v29, v91, v81
	v_pk_fma_f32 v[48:49], v[84:85], v[62:63], v[44:45] neg_lo:[0,0,1] neg_hi:[0,0,1]
	v_pk_fma_f32 v[44:45], v[84:85], v[62:63], v[44:45] op_sel_hi:[1,0,1]
	v_pk_fma_f32 v[54:55], v[88:89], v[78:79], v[52:53] neg_lo:[0,0,1] neg_hi:[0,0,1]
	v_pk_fma_f32 v[52:53], v[88:89], v[78:79], v[52:53] op_sel_hi:[1,0,1]
	v_mul_f32_e32 v44, v72, v77
	v_dual_mul_f32 v62, v74, v81 :: v_dual_mul_f32 v63, v74, v83
	v_dual_mul_f32 v49, v89, v77 :: v_dual_mul_f32 v64, v88, v77
	s_delay_alu instid0(VALU_DEP_3) | instskip(NEXT) | instid1(VALU_DEP_3)
	v_dual_fma_f32 v66, v72, v76, -v35 :: v_dual_fmac_f32 v44, v73, v76
	v_dual_fma_f32 v71, v74, v80, -v41 :: v_dual_fmac_f32 v62, v75, v80
	v_fma_f32 v72, v74, v82, -v43
	v_dual_mul_f32 v52, v90, v81 :: v_dual_fma_f32 v74, v90, v80, -v29
	v_dual_add_f32 v14, v14, v102 :: v_dual_mov_b32 v29, v31
	v_dual_add_f32 v20, v20, v21 :: v_dual_add_f32 v21, v22, v23
	v_dual_add_f32 v16, v16, v96 :: v_dual_add_f32 v18, v18, v97
	v_dual_add_f32 v12, v12, v103 :: v_dual_mov_b32 v41, v37
	s_delay_alu instid0(VALU_DEP_4) | instskip(SKIP_4) | instid1(VALU_DEP_4)
	v_pk_add_f32 v[10:11], v[10:11], v[28:29]
	v_dual_mov_b32 v35, v33 :: v_dual_mov_b32 v43, v39
	v_dual_add_f32 v20, v20, v98 :: v_dual_add_f32 v21, v21, v99
	v_dual_add_f32 v16, v16, v100 :: v_dual_add_f32 v18, v18, v101
	;; [unrolled: 1-line block ×3, first 2 shown]
	v_pk_add_f32 v[10:11], v[10:11], v[34:35]
	v_dual_mov_b32 v56, v91 :: v_dual_mov_b32 v57, v90
	s_delay_alu instid0(VALU_DEP_4)
	v_dual_add_f32 v20, v20, v95 :: v_dual_add_f32 v18, v18, v109
	v_dual_add_f32 v21, v21, v107 :: v_dual_add_f32 v16, v16, v104
	;; [unrolled: 1-line block ×3, first 2 shown]
	v_pk_add_f32 v[10:11], v[10:11], v[40:41]
	v_dual_fmac_f32 v46, v73, v78 :: v_dual_fma_f32 v73, v88, v76, -v49
	v_pk_mul_f32 v[56:57], v[56:57], v[82:83] op_sel:[0,1]
	v_dual_mov_b32 v49, v45 :: v_dual_mov_b32 v55, v53
	v_dual_add_f32 v20, v20, v106 :: v_dual_add_f32 v21, v21, v111
	v_dual_add_f32 v16, v16, v108 :: v_dual_add_f32 v18, v18, v113
	;; [unrolled: 1-line block ×3, first 2 shown]
	v_pk_add_f32 v[10:11], v[10:11], v[42:43]
	v_pk_fma_f32 v[58:59], v[90:91], v[82:83], v[56:57] neg_lo:[0,0,1] neg_hi:[0,0,1]
	v_pk_fma_f32 v[56:57], v[90:91], v[82:83], v[56:57] op_sel_hi:[1,0,1]
	v_dual_mov_b32 v51, v47 :: v_dual_add_f32 v20, v20, v115
	v_dual_add_f32 v21, v21, v94 :: v_dual_add_f32 v16, v16, v68
	v_add_f32_e32 v18, v18, v110
	v_dual_add_f32 v14, v14, v70 :: v_dual_add_f32 v12, v12, v61
	v_pk_add_f32 v[10:11], v[10:11], v[48:49]
	v_dual_fmac_f32 v63, v75, v82 :: v_dual_fmac_f32 v64, v89, v76
	v_dual_mov_b32 v59, v57 :: v_dual_add_f32 v20, v20, v69
	v_dual_add_f32 v21, v21, v36 :: v_dual_add_f32 v16, v16, v38
	v_add_f32_e32 v14, v14, v60
	v_dual_add_f32 v18, v18, v114 :: v_dual_add_f32 v12, v12, v65
	v_pk_add_f32 v[10:11], v[10:11], v[50:51]
	v_dual_fmac_f32 v52, v91, v80 :: v_dual_add_f32 v20, v20, v66
	v_dual_add_f32 v21, v21, v44 :: v_dual_add_f32 v16, v16, v67
	s_delay_alu instid0(VALU_DEP_4) | instskip(SKIP_2) | instid1(VALU_DEP_4)
	v_add_f32_e32 v18, v18, v46
	v_dual_add_f32 v14, v14, v73 :: v_dual_add_f32 v12, v12, v64
	v_pk_add_f32 v[10:11], v[10:11], v[54:55]
	v_dual_add_f32 v20, v20, v71 :: v_dual_add_f32 v22, v21, v62
	s_delay_alu instid0(VALU_DEP_4) | instskip(NEXT) | instid1(VALU_DEP_4)
	v_dual_add_f32 v16, v16, v72 :: v_dual_add_f32 v18, v18, v63
	v_dual_add_f32 v14, v14, v74 :: v_dual_add_f32 v12, v12, v52
	s_delay_alu instid0(VALU_DEP_4)
	v_pk_add_f32 v[10:11], v[10:11], v[58:59]
	s_cbranch_vccnz .LBB518_5
.LBB518_6:                              ;   in Loop: Header=BB518_3 Depth=1
	s_mul_u64 s[18:19], s[22:23], s[2:3]
	s_and_not1_b32 vcc_lo, exec_lo, s1
	s_lshl_b64 s[18:19], s[18:19], 3
	s_mov_b32 s28, -1
	s_add_nc_u64 s[18:19], s[10:11], s[18:19]
                                        ; implicit-def: $vgpr21
                                        ; implicit-def: $vgpr24_vgpr25
	s_cbranch_vccz .LBB518_8
; %bb.7:                                ;   in Loop: Header=BB518_3 Depth=1
	s_and_not1_b32 vcc_lo, exec_lo, s28
	s_cbranch_vccnz .LBB518_2
	s_branch .LBB518_9
.LBB518_8:                              ;   in Loop: Header=BB518_3 Depth=1
	s_wait_xcnt 0x0
	v_mov_b64_e32 v[24:25], s[14:15]
	v_lshl_add_u64 v[26:27], v[0:1], 3, s[18:19]
	v_mov_b64_e32 v[30:31], s[26:27]
	v_lshlrev_b64_e32 v[28:29], 3, v[2:3]
	s_delay_alu instid0(VALU_DEP_3)
	v_lshl_add_u64 v[36:37], s[20:21], 3, v[26:27]
	v_pk_mul_f32 v[32:33], v[22:23], v[24:25] op_sel_hi:[0,1]
	v_pk_mul_f32 v[34:35], v[18:19], v[24:25] op_sel_hi:[0,1]
	;; [unrolled: 1-line block ×3, first 2 shown]
	v_add_nc_u64_e32 v[26:27], v[26:27], v[28:29]
	v_add_nc_u64_e32 v[28:29], v[36:37], v[28:29]
	v_pk_fma_f32 v[40:41], v[20:21], v[30:31], v[32:33] neg_lo:[0,0,1] neg_hi:[0,0,1]
	v_pk_fma_f32 v[32:33], v[20:21], v[30:31], v[32:33] op_sel_hi:[0,1,1]
	v_pk_fma_f32 v[42:43], v[16:17], v[30:31], v[34:35] neg_lo:[0,0,1] neg_hi:[0,0,1]
	v_pk_fma_f32 v[34:35], v[16:17], v[30:31], v[34:35] op_sel_hi:[0,1,1]
	v_pk_fma_f32 v[36:37], v[14:15], v[30:31], v[38:39] op_sel_hi:[0,1,1]
	s_delay_alu instid0(VALU_DEP_4)
	v_dual_mul_f32 v21, s26, v10 :: v_dual_mov_b32 v41, v33
	v_pk_mul_f32 v[32:33], v[10:11], v[24:25]
	v_add_nc_u64_e32 v[24:25], 0x80, v[28:29]
	v_pk_fma_f32 v[30:31], v[14:15], v[30:31], v[38:39] neg_lo:[0,0,1] neg_hi:[0,0,1]
	v_dual_mov_b32 v43, v35 :: v_dual_mov_b32 v31, v37
	v_fma_f32 v23, -v11, s14, v21
	v_add_f32_e32 v21, v32, v33
	s_clause 0x3
	global_store_b64 v[26:27], v[40:41], off
	global_store_b64 v[26:27], v[42:43], off offset:128
	global_store_b64 v[28:29], v[30:31], off
	global_store_b32 v[28:29], v23, off offset:128
	s_cbranch_execnz .LBB518_2
.LBB518_9:                              ;   in Loop: Header=BB518_3 Depth=1
	s_mul_u64 s[28:29], s[8:9], s[2:3]
	s_wait_xcnt 0x0
	v_lshlrev_b64_e32 v[24:25], 3, v[2:3]
	s_wait_xcnt 0x2
	v_lshl_add_u64 v[26:27], s[28:29], 3, v[8:9]
	v_mov_b64_e32 v[32:33], s[14:15]
	v_mov_b64_e32 v[34:35], s[42:43]
	;; [unrolled: 1-line block ×4, first 2 shown]
	v_lshl_add_u64 v[46:47], v[0:1], 3, s[18:19]
	s_wait_xcnt 0x0
	v_add_nc_u64_e32 v[28:29], v[26:27], v[24:25]
	v_lshl_add_u64 v[26:27], s[6:7], 3, v[26:27]
	v_pk_mul_f32 v[22:23], v[22:23], v[32:33] op_sel_hi:[0,1]
	s_delay_alu instid0(VALU_DEP_2)
	v_add_nc_u64_e32 v[26:27], v[26:27], v[24:25]
	global_load_b64 v[30:31], v[28:29], off
	v_pk_fma_f32 v[42:43], v[20:21], v[36:37], v[22:23] op_sel_hi:[0,1,1]
	v_pk_fma_f32 v[20:21], v[20:21], v[36:37], v[22:23] neg_lo:[0,0,1] neg_hi:[0,0,1]
	s_wait_loadcnt 0x0
	v_pk_mul_f32 v[40:41], v[30:31], v[34:35]
	s_delay_alu instid0(VALU_DEP_1) | instskip(SKIP_3) | instid1(VALU_DEP_4)
	v_pk_fma_f32 v[44:45], v[30:31], v[38:39], v[40:41] op_sel:[0,0,1] op_sel_hi:[1,1,0]
	v_pk_fma_f32 v[22:23], v[30:31], v[38:39], v[40:41] op_sel:[0,0,1] op_sel_hi:[1,1,0] neg_lo:[0,0,1] neg_hi:[0,0,1]
	v_mov_b32_e32 v21, v43
	v_add_nc_u64_e32 v[30:31], v[46:47], v[24:25]
	v_mov_b32_e32 v23, v45
	s_delay_alu instid0(VALU_DEP_1)
	v_pk_add_f32 v[20:21], v[20:21], v[22:23]
	v_pk_mul_f32 v[22:23], v[18:19], v[32:33] op_sel_hi:[0,1]
	global_store_b64 v[30:31], v[20:21], off
	global_load_b64 v[20:21], v[28:29], off offset:128
	v_pk_fma_f32 v[40:41], v[16:17], v[36:37], v[22:23] op_sel_hi:[0,1,1]
	v_pk_fma_f32 v[22:23], v[16:17], v[36:37], v[22:23] neg_lo:[0,0,1] neg_hi:[0,0,1]
	s_wait_loadcnt 0x0
	s_wait_xcnt 0x0
	v_pk_mul_f32 v[28:29], v[20:21], v[34:35]
	s_delay_alu instid0(VALU_DEP_1) | instskip(SKIP_1) | instid1(VALU_DEP_2)
	v_pk_fma_f32 v[42:43], v[20:21], v[38:39], v[28:29] op_sel:[0,0,1] op_sel_hi:[1,1,0]
	v_pk_fma_f32 v[20:21], v[20:21], v[38:39], v[28:29] op_sel:[0,0,1] op_sel_hi:[1,1,0] neg_lo:[0,0,1] neg_hi:[0,0,1]
	v_dual_mov_b32 v23, v41 :: v_dual_mov_b32 v21, v43
	s_delay_alu instid0(VALU_DEP_1)
	v_pk_add_f32 v[20:21], v[22:23], v[20:21]
	v_pk_mul_f32 v[22:23], v[12:13], v[32:33] op_sel_hi:[0,1]
	global_store_b64 v[30:31], v[20:21], off offset:128
	global_load_b64 v[20:21], v[26:27], off
	v_pk_fma_f32 v[30:31], v[14:15], v[36:37], v[22:23] op_sel_hi:[0,1,1]
	v_pk_fma_f32 v[22:23], v[14:15], v[36:37], v[22:23] neg_lo:[0,0,1] neg_hi:[0,0,1]
	v_mul_f32_e32 v14, s26, v10
	s_delay_alu instid0(VALU_DEP_1) | instskip(SKIP_3) | instid1(VALU_DEP_2)
	v_fma_f32 v14, -v11, s14, v14
	s_wait_loadcnt 0x0
	v_pk_mul_f32 v[28:29], v[20:21], v[34:35]
	v_lshl_add_u64 v[34:35], s[20:21], 3, v[46:47]
	v_pk_fma_f32 v[32:33], v[20:21], v[38:39], v[28:29] op_sel:[0,0,1] op_sel_hi:[1,1,0]
	v_pk_fma_f32 v[20:21], v[20:21], v[38:39], v[28:29] op_sel:[0,0,1] op_sel_hi:[1,1,0] neg_lo:[0,0,1] neg_hi:[0,0,1]
	v_mov_b32_e32 v23, v31
	s_delay_alu instid0(VALU_DEP_4) | instskip(NEXT) | instid1(VALU_DEP_4)
	v_add_nc_u64_e32 v[28:29], v[34:35], v[24:25]
	v_dual_mov_b32 v24, v10 :: v_dual_mov_b32 v21, v33
	s_delay_alu instid0(VALU_DEP_1)
	v_pk_add_f32 v[20:21], v[22:23], v[20:21]
	v_mov_b64_e32 v[22:23], s[38:39]
	global_store_b64 v[28:29], v[20:21], off
	global_load_b64 v[20:21], v[26:27], off offset:128
	s_wait_loadcnt 0x0
	v_dual_mul_f32 v12, s35, v21 :: v_dual_mov_b32 v25, v20
	s_delay_alu instid0(VALU_DEP_1) | instskip(NEXT) | instid1(VALU_DEP_1)
	v_fma_f32 v12, v20, s34, -v12
	v_dual_mov_b32 v20, v11 :: v_dual_add_f32 v12, v14, v12
	s_delay_alu instid0(VALU_DEP_1) | instskip(SKIP_4) | instid1(VALU_DEP_2)
	v_pk_mul_f32 v[20:21], v[20:21], v[22:23]
	v_mov_b64_e32 v[22:23], s[36:37]
	global_store_b32 v[28:29], v12, off offset:128
	v_pk_fma_f32 v[10:11], v[24:25], v[22:23], v[20:21]
	v_add_nc_u64_e32 v[24:25], 0x80, v[28:29]
	v_add_f32_e32 v21, v10, v11
	s_branch .LBB518_2
.LBB518_10:
	s_sendmsg sendmsg(MSG_DEALLOC_VGPRS)
	s_endpgm
	.section	.rodata,"a",@progbits
	.p2align	6, 0x0
	.amdhsa_kernel _ZN12_GLOBAL__N_127rocblas_gemm_batched_kernelI19rocblas_complex_numIfELi16ELi16ELi32ELi32ELi8ELi32ELi8ELi8ELi32ELc84ELc67EKS2_S3_S2_EEvlllT_PT11_llS6_llS4_PT12_llPT13_lli
		.amdhsa_group_segment_fixed_size 4096
		.amdhsa_private_segment_fixed_size 0
		.amdhsa_kernarg_size 140
		.amdhsa_user_sgpr_count 2
		.amdhsa_user_sgpr_dispatch_ptr 0
		.amdhsa_user_sgpr_queue_ptr 0
		.amdhsa_user_sgpr_kernarg_segment_ptr 1
		.amdhsa_user_sgpr_dispatch_id 0
		.amdhsa_user_sgpr_kernarg_preload_length 0
		.amdhsa_user_sgpr_kernarg_preload_offset 0
		.amdhsa_user_sgpr_private_segment_size 0
		.amdhsa_wavefront_size32 1
		.amdhsa_uses_dynamic_stack 0
		.amdhsa_enable_private_segment 0
		.amdhsa_system_sgpr_workgroup_id_x 1
		.amdhsa_system_sgpr_workgroup_id_y 1
		.amdhsa_system_sgpr_workgroup_id_z 1
		.amdhsa_system_sgpr_workgroup_info 0
		.amdhsa_system_vgpr_workitem_id 1
		.amdhsa_next_free_vgpr 116
		.amdhsa_next_free_sgpr 44
		.amdhsa_named_barrier_count 0
		.amdhsa_reserve_vcc 1
		.amdhsa_float_round_mode_32 0
		.amdhsa_float_round_mode_16_64 0
		.amdhsa_float_denorm_mode_32 3
		.amdhsa_float_denorm_mode_16_64 3
		.amdhsa_fp16_overflow 0
		.amdhsa_memory_ordered 1
		.amdhsa_forward_progress 1
		.amdhsa_inst_pref_size 23
		.amdhsa_round_robin_scheduling 0
		.amdhsa_exception_fp_ieee_invalid_op 0
		.amdhsa_exception_fp_denorm_src 0
		.amdhsa_exception_fp_ieee_div_zero 0
		.amdhsa_exception_fp_ieee_overflow 0
		.amdhsa_exception_fp_ieee_underflow 0
		.amdhsa_exception_fp_ieee_inexact 0
		.amdhsa_exception_int_div_zero 0
	.end_amdhsa_kernel
	.section	.text._ZN12_GLOBAL__N_127rocblas_gemm_batched_kernelI19rocblas_complex_numIfELi16ELi16ELi32ELi32ELi8ELi32ELi8ELi8ELi32ELc84ELc67EKS2_S3_S2_EEvlllT_PT11_llS6_llS4_PT12_llPT13_lli,"axG",@progbits,_ZN12_GLOBAL__N_127rocblas_gemm_batched_kernelI19rocblas_complex_numIfELi16ELi16ELi32ELi32ELi8ELi32ELi8ELi8ELi32ELc84ELc67EKS2_S3_S2_EEvlllT_PT11_llS6_llS4_PT12_llPT13_lli,comdat
.Lfunc_end518:
	.size	_ZN12_GLOBAL__N_127rocblas_gemm_batched_kernelI19rocblas_complex_numIfELi16ELi16ELi32ELi32ELi8ELi32ELi8ELi8ELi32ELc84ELc67EKS2_S3_S2_EEvlllT_PT11_llS6_llS4_PT12_llPT13_lli, .Lfunc_end518-_ZN12_GLOBAL__N_127rocblas_gemm_batched_kernelI19rocblas_complex_numIfELi16ELi16ELi32ELi32ELi8ELi32ELi8ELi8ELi32ELc84ELc67EKS2_S3_S2_EEvlllT_PT11_llS6_llS4_PT12_llPT13_lli
                                        ; -- End function
	.set _ZN12_GLOBAL__N_127rocblas_gemm_batched_kernelI19rocblas_complex_numIfELi16ELi16ELi32ELi32ELi8ELi32ELi8ELi8ELi32ELc84ELc67EKS2_S3_S2_EEvlllT_PT11_llS6_llS4_PT12_llPT13_lli.num_vgpr, 116
	.set _ZN12_GLOBAL__N_127rocblas_gemm_batched_kernelI19rocblas_complex_numIfELi16ELi16ELi32ELi32ELi8ELi32ELi8ELi8ELi32ELc84ELc67EKS2_S3_S2_EEvlllT_PT11_llS6_llS4_PT12_llPT13_lli.num_agpr, 0
	.set _ZN12_GLOBAL__N_127rocblas_gemm_batched_kernelI19rocblas_complex_numIfELi16ELi16ELi32ELi32ELi8ELi32ELi8ELi8ELi32ELc84ELc67EKS2_S3_S2_EEvlllT_PT11_llS6_llS4_PT12_llPT13_lli.numbered_sgpr, 44
	.set _ZN12_GLOBAL__N_127rocblas_gemm_batched_kernelI19rocblas_complex_numIfELi16ELi16ELi32ELi32ELi8ELi32ELi8ELi8ELi32ELc84ELc67EKS2_S3_S2_EEvlllT_PT11_llS6_llS4_PT12_llPT13_lli.num_named_barrier, 0
	.set _ZN12_GLOBAL__N_127rocblas_gemm_batched_kernelI19rocblas_complex_numIfELi16ELi16ELi32ELi32ELi8ELi32ELi8ELi8ELi32ELc84ELc67EKS2_S3_S2_EEvlllT_PT11_llS6_llS4_PT12_llPT13_lli.private_seg_size, 0
	.set _ZN12_GLOBAL__N_127rocblas_gemm_batched_kernelI19rocblas_complex_numIfELi16ELi16ELi32ELi32ELi8ELi32ELi8ELi8ELi32ELc84ELc67EKS2_S3_S2_EEvlllT_PT11_llS6_llS4_PT12_llPT13_lli.uses_vcc, 1
	.set _ZN12_GLOBAL__N_127rocblas_gemm_batched_kernelI19rocblas_complex_numIfELi16ELi16ELi32ELi32ELi8ELi32ELi8ELi8ELi32ELc84ELc67EKS2_S3_S2_EEvlllT_PT11_llS6_llS4_PT12_llPT13_lli.uses_flat_scratch, 0
	.set _ZN12_GLOBAL__N_127rocblas_gemm_batched_kernelI19rocblas_complex_numIfELi16ELi16ELi32ELi32ELi8ELi32ELi8ELi8ELi32ELc84ELc67EKS2_S3_S2_EEvlllT_PT11_llS6_llS4_PT12_llPT13_lli.has_dyn_sized_stack, 0
	.set _ZN12_GLOBAL__N_127rocblas_gemm_batched_kernelI19rocblas_complex_numIfELi16ELi16ELi32ELi32ELi8ELi32ELi8ELi8ELi32ELc84ELc67EKS2_S3_S2_EEvlllT_PT11_llS6_llS4_PT12_llPT13_lli.has_recursion, 0
	.set _ZN12_GLOBAL__N_127rocblas_gemm_batched_kernelI19rocblas_complex_numIfELi16ELi16ELi32ELi32ELi8ELi32ELi8ELi8ELi32ELc84ELc67EKS2_S3_S2_EEvlllT_PT11_llS6_llS4_PT12_llPT13_lli.has_indirect_call, 0
	.section	.AMDGPU.csdata,"",@progbits
; Kernel info:
; codeLenInByte = 2824
; TotalNumSgprs: 46
; NumVgprs: 116
; ScratchSize: 0
; MemoryBound: 0
; FloatMode: 240
; IeeeMode: 1
; LDSByteSize: 4096 bytes/workgroup (compile time only)
; SGPRBlocks: 0
; VGPRBlocks: 7
; NumSGPRsForWavesPerEU: 46
; NumVGPRsForWavesPerEU: 116
; NamedBarCnt: 0
; Occupancy: 8
; WaveLimiterHint : 1
; COMPUTE_PGM_RSRC2:SCRATCH_EN: 0
; COMPUTE_PGM_RSRC2:USER_SGPR: 2
; COMPUTE_PGM_RSRC2:TRAP_HANDLER: 0
; COMPUTE_PGM_RSRC2:TGID_X_EN: 1
; COMPUTE_PGM_RSRC2:TGID_Y_EN: 1
; COMPUTE_PGM_RSRC2:TGID_Z_EN: 1
; COMPUTE_PGM_RSRC2:TIDIG_COMP_CNT: 1
	.section	.text._ZN12_GLOBAL__N_135rocblas_gemm_batched_general_kernelI19rocblas_complex_numIfELi16ELi16ELi32ELi32ELi8ELi32ELi8ELi8ELi32ELc78ELc78EKS2_S3_S2_EEvlllT_PT11_llS6_llS4_PT12_llPT13_lli,"axG",@progbits,_ZN12_GLOBAL__N_135rocblas_gemm_batched_general_kernelI19rocblas_complex_numIfELi16ELi16ELi32ELi32ELi8ELi32ELi8ELi8ELi32ELc78ELc78EKS2_S3_S2_EEvlllT_PT11_llS6_llS4_PT12_llPT13_lli,comdat
	.globl	_ZN12_GLOBAL__N_135rocblas_gemm_batched_general_kernelI19rocblas_complex_numIfELi16ELi16ELi32ELi32ELi8ELi32ELi8ELi8ELi32ELc78ELc78EKS2_S3_S2_EEvlllT_PT11_llS6_llS4_PT12_llPT13_lli ; -- Begin function _ZN12_GLOBAL__N_135rocblas_gemm_batched_general_kernelI19rocblas_complex_numIfELi16ELi16ELi32ELi32ELi8ELi32ELi8ELi8ELi32ELc78ELc78EKS2_S3_S2_EEvlllT_PT11_llS6_llS4_PT12_llPT13_lli
	.p2align	8
	.type	_ZN12_GLOBAL__N_135rocblas_gemm_batched_general_kernelI19rocblas_complex_numIfELi16ELi16ELi32ELi32ELi8ELi32ELi8ELi8ELi32ELc78ELc78EKS2_S3_S2_EEvlllT_PT11_llS6_llS4_PT12_llPT13_lli,@function
_ZN12_GLOBAL__N_135rocblas_gemm_batched_general_kernelI19rocblas_complex_numIfELi16ELi16ELi32ELi32ELi8ELi32ELi8ELi8ELi32ELc78ELc78EKS2_S3_S2_EEvlllT_PT11_llS6_llS4_PT12_llPT13_lli: ; @_ZN12_GLOBAL__N_135rocblas_gemm_batched_general_kernelI19rocblas_complex_numIfELi16ELi16ELi32ELi32ELi8ELi32ELi8ELi8ELi32ELc78ELc78EKS2_S3_S2_EEvlllT_PT11_llS6_llS4_PT12_llPT13_lli
; %bb.0:
	s_load_b32 s33, s[0:1], 0x88
	s_bfe_u32 s2, ttmp6, 0x40014
	s_lshr_b32 s3, ttmp7, 16
	s_add_co_i32 s2, s2, 1
	s_bfe_u32 s5, ttmp6, 0x40008
	s_mul_i32 s4, s3, s2
	s_getreg_b32 s2, hwreg(HW_REG_IB_STS2, 6, 4)
	s_add_co_i32 s5, s5, s4
	s_cmp_eq_u32 s2, 0
	s_mov_b32 s35, 0
	s_cselect_b32 s34, s3, s5
	s_wait_kmcnt 0x0
	s_cmp_ge_i32 s34, s33
	s_cbranch_scc1 .LBB519_34
; %bb.1:
	s_clause 0x2
	s_load_b256 s[4:11], s[0:1], 0x0
	s_load_b256 s[20:27], s[0:1], 0x20
	s_load_b128 s[28:31], s[0:1], 0x78
	v_bfe_u32 v2, v0, 10, 10
	v_and_b32_e32 v4, 0x3ff, v0
	s_clause 0x2
	s_load_b256 s[12:19], s[0:1], 0x58
	s_load_b128 s[36:39], s[0:1], 0x40
	s_load_b64 s[40:41], s[0:1], 0x50
	s_wait_xcnt 0x0
	s_bfe_u32 s0, ttmp6, 0x4000c
	s_bfe_u32 s3, ttmp6, 0x40010
	s_add_co_i32 s0, s0, 1
	s_and_b32 s42, ttmp7, 0xffff
	s_add_co_i32 s3, s3, 1
	v_lshl_add_u32 v1, v2, 4, v4
	v_mov_b32_e32 v3, 0
	s_and_b32 s1, ttmp6, 15
	s_mul_i32 s0, ttmp9, s0
	s_mul_i32 s3, s42, s3
	s_bfe_u32 s43, ttmp6, 0x40004
	s_add_co_i32 s1, s1, s0
	s_add_co_i32 s43, s43, s3
	s_cmp_eq_u32 s2, 0
	v_dual_lshrrev_b32 v28, 5, v1 :: v_dual_bitop2_b32 v15, 31, v1 bitop3:0x40
	v_dual_mov_b32 v29, v3 :: v_dual_bitop2_b32 v30, 7, v0 bitop3:0x40
	v_dual_mov_b32 v1, v3 :: v_dual_lshrrev_b32 v0, 3, v1
	v_mov_b32_e32 v5, v3
	s_cselect_b32 s0, s42, s43
	s_cselect_b32 s44, ttmp9, s1
	s_lshl_b32 s0, s0, 5
	s_mov_b32 s1, s35
	s_wait_kmcnt 0x0
	v_mul_u64_e32 v[8:9], s[22:23], v[28:29]
	v_add_nc_u64_e32 v[6:7], s[0:1], v[0:1]
	s_ashr_i32 s45, s44, 31
	v_add_nc_u64_e32 v[12:13], s[0:1], v[2:3]
	s_lshl_b64 s[2:3], s[44:45], 5
	v_dual_mov_b32 v31, v3 :: v_dual_lshlrev_b32 v14, 3, v30
	v_dual_mov_b32 v11, s3 :: v_dual_bitop2_b32 v10, s2, v15 bitop3:0x54
	s_delay_alu instid0(VALU_DEP_4)
	v_mul_u64_e32 v[16:17], s[36:37], v[6:7]
	v_add_nc_u64_e32 v[32:33], s[2:3], v[4:5]
	v_mul_u64_e32 v[34:35], s[28:29], v[12:13]
	s_or_b32 s2, s40, s41
	v_cmp_gt_i64_e64 s0, s[4:5], v[10:11]
	v_lshl_or_b32 v10, v0, 6, v14
	v_mul_u64_e32 v[0:1], s[14:15], v[12:13]
	v_dual_lshlrev_b32 v18, 3, v15 :: v_dual_lshlrev_b32 v54, 3, v4
	v_add_nc_u64_e32 v[4:5], 16, v[32:33]
	s_bitset0_b32 s2, 31
	v_cmp_gt_i64_e64 s1, s[6:7], v[6:7]
	s_cmp_eq_u32 s2, 0
	v_cmp_gt_i64_e64 s3, s[4:5], v[32:33]
	s_cselect_b32 s42, -1, 0
	s_lshl_b64 s[44:45], s[44:45], 8
	v_cmp_gt_i64_e64 s4, s[4:5], v[4:5]
	v_add_nc_u64_e32 v[4:5], 16, v[12:13]
	v_dual_mov_b32 v19, v3 :: v_dual_mov_b32 v15, v3
	v_lshl_add_u32 v55, v2, 6, 0x800
	v_cmp_gt_i64_e64 s2, s[6:7], v[12:13]
	v_lshl_or_b32 v52, v28, 8, v18
	v_lshl_add_u64 v[6:7], v[8:9], 3, s[44:45]
	v_cmp_gt_i64_e64 s5, s[6:7], v[4:5]
	v_add_nc_u32_e32 v53, 0x800, v10
	s_mov_b32 s36, s11
	s_mov_b32 s37, s11
	v_add_nc_u64_e32 v[2:3], v[6:7], v[18:19]
	s_mov_b32 s11, s10
	s_lshl_b64 s[6:7], s[28:29], 4
	s_mov_b32 s28, s41
	v_lshl_add_u64 v[4:5], v[16:17], 3, v[14:15]
	s_mov_b32 s29, s41
	s_mov_b32 s41, s40
	v_add_nc_u64_e32 v[40:41], s[20:21], v[2:3]
	s_lshl_b64 s[14:15], s[14:15], 4
	v_add_nc_u64_e32 v[38:39], s[26:27], v[4:5]
	v_cmp_gt_i64_e64 s26, s[8:9], 0
	v_lshl_add_u64 v[36:37], v[0:1], 3, s[12:13]
	s_lshl_b64 s[12:13], s[38:39], 3
	s_lshl_b64 s[20:21], s[24:25], 3
	;; [unrolled: 1-line block ×3, first 2 shown]
	s_branch .LBB519_4
.LBB519_2:                              ;   in Loop: Header=BB519_4 Depth=1
	s_wait_xcnt 0x0
	s_or_b32 exec_lo, exec_lo, s27
.LBB519_3:                              ;   in Loop: Header=BB519_4 Depth=1
	s_add_co_i32 s34, s34, 0x10000
	s_delay_alu instid0(SALU_CYCLE_1)
	s_cmp_lt_i32 s34, s33
	s_cbranch_scc0 .LBB519_34
.LBB519_4:                              ; =>This Loop Header: Depth=1
                                        ;     Child Loop BB519_7 Depth 2
	v_dual_mov_b32 v51, 0 :: v_dual_mov_b32 v50, 0
	v_dual_mov_b32 v25, 0 :: v_dual_mov_b32 v24, 0
	;; [unrolled: 1-line block ×4, first 2 shown]
	s_and_not1_b32 vcc_lo, exec_lo, s26
	s_cbranch_vccnz .LBB519_11
; %bb.5:                                ;   in Loop: Header=BB519_4 Depth=1
	v_mad_nc_u64_u32 v[44:45], s12, s34, v[38:39]
	v_mad_nc_u64_u32 v[46:47], s20, s34, v[40:41]
	v_mov_b32_e32 v42, 0
	s_mov_b64 s[24:25], 0
	s_delay_alu instid0(VALU_DEP_1)
	v_dual_mov_b32 v43, v42 :: v_dual_mov_b32 v48, v42
	v_dual_mov_b32 v49, v42 :: v_dual_mov_b32 v24, v42
	v_mad_u32 v45, s13, s34, v45
	v_mad_u32 v47, s21, s34, v47
	v_dual_mov_b32 v25, v42 :: v_dual_mov_b32 v50, v42
	v_mov_b32_e32 v51, v42
	s_branch .LBB519_7
.LBB519_6:                              ;   in Loop: Header=BB519_7 Depth=2
	s_wait_xcnt 0x0
	s_or_b32 exec_lo, exec_lo, s27
	s_wait_loadcnt 0x0
	ds_store_b64 v53, v[0:1]
	s_wait_dscnt 0x0
	s_barrier_signal -1
	s_barrier_wait -1
	ds_load_2addr_b64 v[56:59], v54 offset1:16
	ds_load_b128 v[60:63], v55
	ds_load_2addr_b64 v[20:23], v54 offset0:32 offset1:48
	ds_load_2addr_b64 v[16:19], v54 offset0:64 offset1:80
	ds_load_b128 v[64:67], v55 offset:16
	ds_load_2addr_b64 v[12:15], v54 offset0:96 offset1:112
	ds_load_2addr_b64 v[8:11], v54 offset0:128 offset1:144
	ds_load_b128 v[68:71], v55 offset:32
	ds_load_2addr_b64 v[4:7], v54 offset0:160 offset1:176
	ds_load_2addr_b64 v[0:3], v54 offset0:192 offset1:208
	s_add_nc_u64 s[24:25], s[24:25], 8
	v_add_nc_u64_e32 v[44:45], 64, v[44:45]
	v_cmp_lt_i64_e64 s27, s[24:25], s[8:9]
	v_add_nc_u64_e32 v[46:47], s[22:23], v[46:47]
	s_and_b32 vcc_lo, exec_lo, s27
	s_wait_dscnt 0x8
	v_pk_mul_f32 v[26:27], v[60:61], v[56:57] op_sel:[0,1]
	s_wait_dscnt 0x7
	v_pk_mul_f32 v[72:73], v[62:63], v[20:21] op_sel:[0,1]
	;; [unrolled: 2-line block ×4, first 2 shown]
	v_pk_fma_f32 v[78:79], v[60:61], v[56:57], v[26:27] op_sel:[0,0,1] op_sel_hi:[1,0,0]
	v_pk_fma_f32 v[82:83], v[62:63], v[20:21], v[72:73] op_sel:[0,0,1] op_sel_hi:[1,0,0]
	v_pk_fma_f32 v[26:27], v[60:61], v[56:57], v[26:27] op_sel:[0,0,1] op_sel_hi:[1,1,0] neg_lo:[0,0,1] neg_hi:[0,0,1]
	v_pk_fma_f32 v[72:73], v[62:63], v[20:21], v[72:73] op_sel:[0,0,1] op_sel_hi:[1,1,0] neg_lo:[0,0,1] neg_hi:[0,0,1]
	s_wait_dscnt 0x2
	v_pk_mul_f32 v[80:81], v[68:69], v[8:9] op_sel:[0,1]
	v_dual_mov_b32 v27, v79 :: v_dual_mov_b32 v73, v83
	v_pk_fma_f32 v[78:79], v[64:65], v[16:17], v[74:75] op_sel:[0,0,1] op_sel_hi:[1,0,0]
	v_pk_fma_f32 v[82:83], v[66:67], v[12:13], v[76:77] op_sel:[0,0,1] op_sel_hi:[1,0,0]
	v_pk_fma_f32 v[74:75], v[64:65], v[16:17], v[74:75] op_sel:[0,0,1] op_sel_hi:[1,1,0] neg_lo:[0,0,1] neg_hi:[0,0,1]
	v_pk_fma_f32 v[76:77], v[66:67], v[12:13], v[76:77] op_sel:[0,0,1] op_sel_hi:[1,1,0] neg_lo:[0,0,1] neg_hi:[0,0,1]
	v_pk_add_f32 v[26:27], v[50:51], v[26:27]
	s_delay_alu instid0(VALU_DEP_4)
	v_dual_mov_b32 v75, v79 :: v_dual_mov_b32 v77, v83
	v_pk_fma_f32 v[78:79], v[68:69], v[8:9], v[80:81] op_sel:[0,0,1] op_sel_hi:[1,0,0]
	v_pk_mul_f32 v[82:83], v[60:61], v[58:59] op_sel:[0,1]
	v_pk_fma_f32 v[80:81], v[68:69], v[8:9], v[80:81] op_sel:[0,0,1] op_sel_hi:[1,1,0] neg_lo:[0,0,1] neg_hi:[0,0,1]
	v_pk_mul_f32 v[50:51], v[62:63], v[22:23] op_sel:[0,1]
	v_pk_add_f32 v[26:27], v[26:27], v[72:73]
	v_mov_b32_e32 v81, v79
	v_pk_fma_f32 v[78:79], v[60:61], v[58:59], v[82:83] op_sel:[0,0,1] op_sel_hi:[1,1,0] neg_lo:[0,0,1] neg_hi:[0,0,1]
	v_pk_fma_f32 v[82:83], v[60:61], v[58:59], v[82:83] op_sel:[0,0,1] op_sel_hi:[1,0,0]
	v_pk_fma_f32 v[72:73], v[62:63], v[22:23], v[50:51] op_sel:[0,0,1] op_sel_hi:[1,1,0] neg_lo:[0,0,1] neg_hi:[0,0,1]
	v_pk_fma_f32 v[50:51], v[62:63], v[22:23], v[50:51] op_sel:[0,0,1] op_sel_hi:[1,0,0]
	ds_load_b128 v[60:63], v55 offset:48
	v_pk_add_f32 v[26:27], v[26:27], v[74:75]
	s_wait_dscnt 0x2
	v_pk_mul_f32 v[74:75], v[70:71], v[4:5] op_sel:[0,1]
	v_mov_b32_e32 v79, v83
	v_pk_mul_f32 v[82:83], v[64:65], v[18:19] op_sel:[0,1]
	v_mov_b32_e32 v73, v51
	v_pk_add_f32 v[76:77], v[26:27], v[76:77]
	v_pk_fma_f32 v[50:51], v[70:71], v[4:5], v[74:75] op_sel:[0,0,1] op_sel_hi:[1,0,0]
	v_pk_add_f32 v[78:79], v[24:25], v[78:79]
	v_pk_fma_f32 v[74:75], v[70:71], v[4:5], v[74:75] op_sel:[0,0,1] op_sel_hi:[1,1,0] neg_lo:[0,0,1] neg_hi:[0,0,1]
	ds_load_2addr_b64 v[24:27], v54 offset0:224 offset1:240
	v_mov_b32_e32 v75, v51
	v_pk_add_f32 v[50:51], v[76:77], v[80:81]
	v_pk_fma_f32 v[76:77], v[64:65], v[18:19], v[82:83] op_sel:[0,0,1] op_sel_hi:[1,0,0]
	v_pk_add_f32 v[72:73], v[78:79], v[72:73]
	v_pk_mul_f32 v[78:79], v[66:67], v[14:15] op_sel:[0,1]
	v_pk_fma_f32 v[64:65], v[64:65], v[18:19], v[82:83] op_sel:[0,0,1] op_sel_hi:[1,1,0] neg_lo:[0,0,1] neg_hi:[0,0,1]
	v_pk_add_f32 v[50:51], v[50:51], v[74:75]
	v_mov_b32_e32 v65, v77
	v_pk_mul_f32 v[82:83], v[68:69], v[10:11] op_sel:[0,1]
	v_pk_fma_f32 v[76:77], v[66:67], v[14:15], v[78:79] op_sel:[0,0,1] op_sel_hi:[1,0,0]
	v_pk_fma_f32 v[78:79], v[66:67], v[14:15], v[78:79] op_sel:[0,0,1] op_sel_hi:[1,1,0] neg_lo:[0,0,1] neg_hi:[0,0,1]
	s_delay_alu instid0(VALU_DEP_2)
	v_mov_b32_e32 v79, v77
	v_pk_add_f32 v[72:73], v[72:73], v[64:65]
	ds_load_b128 v[64:67], v55 offset:1024
	s_wait_dscnt 0x2
	v_pk_mul_f32 v[80:81], v[60:61], v[0:1] op_sel:[0,1]
	v_pk_add_f32 v[72:73], v[72:73], v[78:79]
	v_pk_mul_f32 v[78:79], v[70:71], v[6:7] op_sel:[0,1]
	s_delay_alu instid0(VALU_DEP_3) | instskip(SKIP_3) | instid1(VALU_DEP_3)
	v_pk_fma_f32 v[74:75], v[60:61], v[0:1], v[80:81] op_sel:[0,0,1] op_sel_hi:[1,0,0]
	v_pk_fma_f32 v[76:77], v[60:61], v[0:1], v[80:81] op_sel:[0,0,1] op_sel_hi:[1,1,0] neg_lo:[0,0,1] neg_hi:[0,0,1]
	s_wait_dscnt 0x1
	v_pk_mul_f32 v[80:81], v[62:63], v[24:25] op_sel:[0,1]
	v_mov_b32_e32 v77, v75
	v_pk_fma_f32 v[74:75], v[68:69], v[10:11], v[82:83] op_sel:[0,0,1] op_sel_hi:[1,0,0]
	v_pk_fma_f32 v[68:69], v[68:69], v[10:11], v[82:83] op_sel:[0,0,1] op_sel_hi:[1,1,0] neg_lo:[0,0,1] neg_hi:[0,0,1]
	s_delay_alu instid0(VALU_DEP_2)
	v_mov_b32_e32 v69, v75
	v_pk_fma_f32 v[74:75], v[62:63], v[24:25], v[80:81] op_sel:[0,0,1] op_sel_hi:[1,0,0]
	v_pk_fma_f32 v[80:81], v[62:63], v[24:25], v[80:81] op_sel:[0,0,1] op_sel_hi:[1,1,0] neg_lo:[0,0,1] neg_hi:[0,0,1]
	v_pk_add_f32 v[50:51], v[50:51], v[76:77]
	v_pk_fma_f32 v[76:77], v[70:71], v[6:7], v[78:79] op_sel:[0,0,1] op_sel_hi:[1,0,0]
	v_pk_add_f32 v[72:73], v[72:73], v[68:69]
	v_mov_b32_e32 v81, v75
	v_pk_fma_f32 v[74:75], v[70:71], v[6:7], v[78:79] op_sel:[0,0,1] op_sel_hi:[1,1,0] neg_lo:[0,0,1] neg_hi:[0,0,1]
	ds_load_b128 v[68:71], v55 offset:1040
	v_mov_b32_e32 v75, v77
	s_wait_dscnt 0x1
	v_pk_mul_f32 v[76:77], v[64:65], v[56:57] op_sel:[0,1]
	v_pk_mul_f32 v[78:79], v[60:61], v[2:3] op_sel:[0,1]
	v_pk_add_f32 v[50:51], v[50:51], v[80:81]
	v_pk_add_f32 v[72:73], v[72:73], v[74:75]
	s_delay_alu instid0(VALU_DEP_4) | instskip(NEXT) | instid1(VALU_DEP_4)
	v_pk_fma_f32 v[74:75], v[64:65], v[56:57], v[76:77] op_sel:[0,0,1] op_sel_hi:[1,0,0]
	v_pk_fma_f32 v[80:81], v[60:61], v[2:3], v[78:79] op_sel:[0,0,1] op_sel_hi:[1,1,0] neg_lo:[0,0,1] neg_hi:[0,0,1]
	v_pk_fma_f32 v[60:61], v[60:61], v[2:3], v[78:79] op_sel:[0,0,1] op_sel_hi:[1,0,0]
	v_pk_mul_f32 v[78:79], v[66:67], v[20:21] op_sel:[0,1]
	v_pk_fma_f32 v[56:57], v[64:65], v[56:57], v[76:77] op_sel:[0,0,1] op_sel_hi:[1,1,0] neg_lo:[0,0,1] neg_hi:[0,0,1]
	v_mov_b32_e32 v57, v75
	v_pk_mul_f32 v[74:75], v[62:63], v[26:27] op_sel:[0,1]
	v_mov_b32_e32 v81, v61
	v_pk_fma_f32 v[60:61], v[66:67], v[20:21], v[78:79] op_sel:[0,0,1] op_sel_hi:[1,0,0]
	v_pk_fma_f32 v[20:21], v[66:67], v[20:21], v[78:79] op_sel:[0,0,1] op_sel_hi:[1,1,0] neg_lo:[0,0,1] neg_hi:[0,0,1]
	v_pk_add_f32 v[48:49], v[48:49], v[56:57]
	v_pk_fma_f32 v[76:77], v[62:63], v[26:27], v[74:75] op_sel:[0,0,1] op_sel_hi:[1,1,0] neg_lo:[0,0,1] neg_hi:[0,0,1]
	v_pk_fma_f32 v[74:75], v[62:63], v[26:27], v[74:75] op_sel:[0,0,1] op_sel_hi:[1,0,0]
	v_mov_b32_e32 v21, v61
	ds_load_b128 v[60:63], v55 offset:1056
	s_wait_dscnt 0x1
	v_pk_mul_f32 v[56:57], v[68:69], v[16:17] op_sel:[0,1]
	v_mov_b32_e32 v77, v75
	v_pk_add_f32 v[20:21], v[48:49], v[20:21]
	s_delay_alu instid0(VALU_DEP_3) | instskip(SKIP_2) | instid1(VALU_DEP_3)
	v_pk_fma_f32 v[48:49], v[68:69], v[16:17], v[56:57] op_sel:[0,0,1] op_sel_hi:[1,0,0]
	v_pk_fma_f32 v[16:17], v[68:69], v[16:17], v[56:57] op_sel:[0,0,1] op_sel_hi:[1,1,0] neg_lo:[0,0,1] neg_hi:[0,0,1]
	v_pk_mul_f32 v[56:57], v[64:65], v[58:59] op_sel:[0,1]
	v_mov_b32_e32 v17, v49
	v_pk_mul_f32 v[48:49], v[70:71], v[12:13] op_sel:[0,1]
	s_delay_alu instid0(VALU_DEP_2) | instskip(NEXT) | instid1(VALU_DEP_2)
	v_pk_add_f32 v[16:17], v[20:21], v[16:17]
	v_pk_fma_f32 v[20:21], v[70:71], v[12:13], v[48:49] op_sel:[0,0,1] op_sel_hi:[1,0,0]
	v_pk_fma_f32 v[12:13], v[70:71], v[12:13], v[48:49] op_sel:[0,0,1] op_sel_hi:[1,1,0] neg_lo:[0,0,1] neg_hi:[0,0,1]
	v_pk_add_f32 v[48:49], v[72:73], v[80:81]
	s_delay_alu instid0(VALU_DEP_3) | instskip(SKIP_2) | instid1(VALU_DEP_2)
	v_mov_b32_e32 v13, v21
	s_wait_dscnt 0x0
	v_pk_mul_f32 v[20:21], v[60:61], v[8:9] op_sel:[0,1]
	v_pk_add_f32 v[12:13], v[16:17], v[12:13]
	s_delay_alu instid0(VALU_DEP_2) | instskip(SKIP_2) | instid1(VALU_DEP_3)
	v_pk_fma_f32 v[16:17], v[60:61], v[8:9], v[20:21] op_sel:[0,0,1] op_sel_hi:[1,0,0]
	v_pk_fma_f32 v[8:9], v[60:61], v[8:9], v[20:21] op_sel:[0,0,1] op_sel_hi:[1,1,0] neg_lo:[0,0,1] neg_hi:[0,0,1]
	v_pk_fma_f32 v[20:21], v[64:65], v[58:59], v[56:57] op_sel:[0,0,1] op_sel_hi:[1,1,0] neg_lo:[0,0,1] neg_hi:[0,0,1]
	v_mov_b32_e32 v9, v17
	v_pk_fma_f32 v[16:17], v[64:65], v[58:59], v[56:57] op_sel:[0,0,1] op_sel_hi:[1,0,0]
	ds_load_b128 v[56:59], v55 offset:1072
	s_wait_dscnt 0x0
	s_barrier_signal -1
	v_pk_add_f32 v[8:9], v[12:13], v[8:9]
	v_mov_b32_e32 v21, v17
	v_pk_mul_f32 v[16:17], v[66:67], v[22:23] op_sel:[0,1]
	v_pk_mul_f32 v[12:13], v[62:63], v[4:5] op_sel:[0,1]
	s_barrier_wait -1
	s_delay_alu instid0(VALU_DEP_3) | instskip(NEXT) | instid1(VALU_DEP_3)
	v_pk_add_f32 v[20:21], v[42:43], v[20:21]
	v_pk_fma_f32 v[64:65], v[66:67], v[22:23], v[16:17] op_sel:[0,0,1] op_sel_hi:[1,0,0]
	v_pk_mul_f32 v[42:43], v[68:69], v[18:19] op_sel:[0,1]
	v_pk_fma_f32 v[16:17], v[66:67], v[22:23], v[16:17] op_sel:[0,0,1] op_sel_hi:[1,1,0] neg_lo:[0,0,1] neg_hi:[0,0,1]
	v_pk_fma_f32 v[22:23], v[62:63], v[4:5], v[12:13] op_sel:[0,0,1] op_sel_hi:[1,1,0] neg_lo:[0,0,1] neg_hi:[0,0,1]
	v_pk_fma_f32 v[4:5], v[62:63], v[4:5], v[12:13] op_sel:[0,0,1] op_sel_hi:[1,0,0]
	v_mov_b32_e32 v17, v65
	v_pk_fma_f32 v[64:65], v[68:69], v[18:19], v[42:43] op_sel:[0,0,1] op_sel_hi:[1,0,0]
	v_pk_mul_f32 v[12:13], v[70:71], v[14:15] op_sel:[0,1]
	v_pk_fma_f32 v[18:19], v[68:69], v[18:19], v[42:43] op_sel:[0,0,1] op_sel_hi:[1,1,0] neg_lo:[0,0,1] neg_hi:[0,0,1]
	v_mov_b32_e32 v23, v5
	v_pk_mul_f32 v[42:43], v[60:61], v[10:11] op_sel:[0,1]
	v_mov_b32_e32 v19, v65
	v_pk_add_f32 v[16:17], v[20:21], v[16:17]
	v_pk_fma_f32 v[4:5], v[70:71], v[14:15], v[12:13] op_sel:[0,0,1] op_sel_hi:[1,0,0]
	v_pk_fma_f32 v[12:13], v[70:71], v[14:15], v[12:13] op_sel:[0,0,1] op_sel_hi:[1,1,0] neg_lo:[0,0,1] neg_hi:[0,0,1]
	v_pk_mul_f32 v[20:21], v[56:57], v[0:1] op_sel:[0,1]
	s_delay_alu instid0(VALU_DEP_4) | instskip(NEXT) | instid1(VALU_DEP_4)
	v_pk_add_f32 v[16:17], v[16:17], v[18:19]
	v_mov_b32_e32 v13, v5
	v_pk_add_f32 v[4:5], v[8:9], v[22:23]
	v_pk_fma_f32 v[8:9], v[60:61], v[10:11], v[42:43] op_sel:[0,0,1] op_sel_hi:[1,0,0]
	v_pk_mul_f32 v[18:19], v[62:63], v[6:7] op_sel:[0,1]
	v_pk_fma_f32 v[10:11], v[60:61], v[10:11], v[42:43] op_sel:[0,0,1] op_sel_hi:[1,1,0] neg_lo:[0,0,1] neg_hi:[0,0,1]
	v_pk_fma_f32 v[14:15], v[56:57], v[0:1], v[20:21] op_sel:[0,0,1] op_sel_hi:[1,1,0] neg_lo:[0,0,1] neg_hi:[0,0,1]
	v_pk_add_f32 v[12:13], v[16:17], v[12:13]
	v_mov_b32_e32 v11, v9
	v_pk_fma_f32 v[0:1], v[56:57], v[0:1], v[20:21] op_sel:[0,0,1] op_sel_hi:[1,0,0]
	v_pk_fma_f32 v[8:9], v[62:63], v[6:7], v[18:19] op_sel:[0,0,1] op_sel_hi:[1,0,0]
	v_pk_mul_f32 v[20:21], v[56:57], v[2:3] op_sel:[0,1]
	v_pk_fma_f32 v[6:7], v[62:63], v[6:7], v[18:19] op_sel:[0,0,1] op_sel_hi:[1,1,0] neg_lo:[0,0,1] neg_hi:[0,0,1]
	v_pk_mul_f32 v[16:17], v[58:59], v[24:25] op_sel:[0,1]
	s_delay_alu instid0(VALU_DEP_4)
	v_dual_mov_b32 v15, v1 :: v_dual_mov_b32 v7, v9
	v_pk_add_f32 v[10:11], v[12:13], v[10:11]
	v_pk_fma_f32 v[0:1], v[56:57], v[2:3], v[20:21] op_sel:[0,0,1] op_sel_hi:[1,0,0]
	v_pk_mul_f32 v[12:13], v[58:59], v[26:27] op_sel:[0,1]
	v_pk_fma_f32 v[2:3], v[56:57], v[2:3], v[20:21] op_sel:[0,0,1] op_sel_hi:[1,1,0] neg_lo:[0,0,1] neg_hi:[0,0,1]
	v_pk_fma_f32 v[8:9], v[58:59], v[24:25], v[16:17] op_sel:[0,0,1] op_sel_hi:[1,0,0]
	v_pk_add_f32 v[6:7], v[10:11], v[6:7]
	v_mov_b32_e32 v3, v1
	v_pk_add_f32 v[0:1], v[4:5], v[14:15]
	v_pk_fma_f32 v[4:5], v[58:59], v[26:27], v[12:13] op_sel:[0,0,1] op_sel_hi:[1,0,0]
	v_pk_fma_f32 v[10:11], v[58:59], v[24:25], v[16:17] op_sel:[0,0,1] op_sel_hi:[1,1,0] neg_lo:[0,0,1] neg_hi:[0,0,1]
	v_mov_b32_e32 v11, v9
	v_pk_add_f32 v[2:3], v[6:7], v[2:3]
	v_pk_fma_f32 v[6:7], v[58:59], v[26:27], v[12:13] op_sel:[0,0,1] op_sel_hi:[1,1,0] neg_lo:[0,0,1] neg_hi:[0,0,1]
	v_mov_b32_e32 v7, v5
	v_pk_add_f32 v[24:25], v[48:49], v[76:77]
	v_pk_add_f32 v[48:49], v[0:1], v[10:11]
	s_delay_alu instid0(VALU_DEP_3)
	v_pk_add_f32 v[42:43], v[2:3], v[6:7]
	s_cbranch_vccz .LBB519_11
.LBB519_7:                              ;   Parent Loop BB519_4 Depth=1
                                        ; =>  This Inner Loop Header: Depth=2
	v_add_nc_u64_e32 v[0:1], s[24:25], v[28:29]
	v_dual_mov_b32 v2, 0 :: v_dual_mov_b32 v3, 0
	s_delay_alu instid0(VALU_DEP_2) | instskip(SKIP_1) | instid1(SALU_CYCLE_1)
	v_cmp_gt_i64_e32 vcc_lo, s[8:9], v[0:1]
	s_and_b32 s38, s0, vcc_lo
	s_and_saveexec_b32 s27, s38
	s_cbranch_execz .LBB519_9
; %bb.8:                                ;   in Loop: Header=BB519_7 Depth=2
	global_load_b64 v[2:3], v[46:47], off
.LBB519_9:                              ;   in Loop: Header=BB519_7 Depth=2
	s_wait_xcnt 0x0
	s_or_b32 exec_lo, exec_lo, s27
	v_add_nc_u64_e32 v[0:1], s[24:25], v[30:31]
	s_wait_loadcnt 0x0
	ds_store_b64 v52, v[2:3]
	v_cmp_gt_i64_e32 vcc_lo, s[8:9], v[0:1]
	v_dual_mov_b32 v0, 0 :: v_dual_mov_b32 v1, 0
	s_and_b32 s38, vcc_lo, s1
	s_delay_alu instid0(SALU_CYCLE_1)
	s_and_saveexec_b32 s27, s38
	s_cbranch_execz .LBB519_6
; %bb.10:                               ;   in Loop: Header=BB519_7 Depth=2
	global_load_b64 v[0:1], v[44:45], off
	s_branch .LBB519_6
.LBB519_11:                             ;   in Loop: Header=BB519_4 Depth=1
	s_mul_u64 s[24:25], s[30:31], s[34:35]
	s_and_not1_b32 vcc_lo, exec_lo, s42
	s_lshl_b64 s[24:25], s[24:25], 3
	s_mov_b32 s27, -1
	s_add_nc_u64 s[24:25], s[18:19], s[24:25]
	s_cbranch_vccz .LBB519_13
; %bb.12:                               ;   in Loop: Header=BB519_4 Depth=1
	s_and_not1_b32 vcc_lo, exec_lo, s27
	s_cbranch_vccnz .LBB519_3
	s_branch .LBB519_24
.LBB519_13:                             ;   in Loop: Header=BB519_4 Depth=1
	s_and_saveexec_b32 s27, s2
	s_cbranch_execz .LBB519_23
; %bb.14:                               ;   in Loop: Header=BB519_4 Depth=1
	v_lshl_add_u64 v[0:1], v[34:35], 3, s[24:25]
	s_delay_alu instid0(VALU_DEP_1)
	v_lshl_add_u64 v[2:3], v[32:33], 3, v[0:1]
	s_and_saveexec_b32 s38, s3
	s_cbranch_execnz .LBB519_17
; %bb.15:                               ;   in Loop: Header=BB519_4 Depth=1
	s_or_b32 exec_lo, exec_lo, s38
	s_and_saveexec_b32 s38, s4
	s_cbranch_execnz .LBB519_18
.LBB519_16:                             ;   in Loop: Header=BB519_4 Depth=1
	s_or_b32 exec_lo, exec_lo, s38
	s_delay_alu instid0(SALU_CYCLE_1)
	s_and_b32 exec_lo, exec_lo, s5
	s_cbranch_execnz .LBB519_19
	s_branch .LBB519_23
.LBB519_17:                             ;   in Loop: Header=BB519_4 Depth=1
	v_mov_b64_e32 v[4:5], s[36:37]
	v_mov_b64_e32 v[6:7], s[10:11]
	s_delay_alu instid0(VALU_DEP_2) | instskip(NEXT) | instid1(VALU_DEP_1)
	v_pk_mul_f32 v[4:5], v[50:51], v[4:5] op_sel:[1,0] op_sel_hi:[0,1]
	v_pk_fma_f32 v[8:9], v[50:51], v[6:7], v[4:5]
	v_pk_fma_f32 v[4:5], v[50:51], v[6:7], v[4:5] neg_lo:[0,0,1] neg_hi:[0,0,1]
	s_delay_alu instid0(VALU_DEP_2)
	v_mov_b32_e32 v5, v9
	global_store_b64 v[2:3], v[4:5], off
	s_wait_xcnt 0x0
	s_or_b32 exec_lo, exec_lo, s38
	s_and_saveexec_b32 s38, s4
	s_cbranch_execz .LBB519_16
.LBB519_18:                             ;   in Loop: Header=BB519_4 Depth=1
	v_mov_b64_e32 v[4:5], s[36:37]
	v_mov_b64_e32 v[6:7], s[10:11]
	s_delay_alu instid0(VALU_DEP_2) | instskip(NEXT) | instid1(VALU_DEP_1)
	v_pk_mul_f32 v[4:5], v[24:25], v[4:5] op_sel:[1,0] op_sel_hi:[0,1]
	v_pk_fma_f32 v[8:9], v[24:25], v[6:7], v[4:5]
	v_pk_fma_f32 v[4:5], v[24:25], v[6:7], v[4:5] neg_lo:[0,0,1] neg_hi:[0,0,1]
	s_delay_alu instid0(VALU_DEP_2) | instskip(SKIP_3) | instid1(SALU_CYCLE_1)
	v_mov_b32_e32 v5, v9
	global_store_b64 v[2:3], v[4:5], off offset:128
	s_wait_xcnt 0x0
	s_or_b32 exec_lo, exec_lo, s38
	s_and_b32 exec_lo, exec_lo, s5
	s_cbranch_execz .LBB519_23
.LBB519_19:                             ;   in Loop: Header=BB519_4 Depth=1
	v_lshl_add_u64 v[0:1], s[6:7], 3, v[0:1]
	s_delay_alu instid0(VALU_DEP_1)
	v_lshl_add_u64 v[0:1], v[32:33], 3, v[0:1]
	s_and_saveexec_b32 s38, s3
	s_cbranch_execz .LBB519_21
; %bb.20:                               ;   in Loop: Header=BB519_4 Depth=1
	v_mov_b64_e32 v[2:3], s[36:37]
	v_mov_b64_e32 v[4:5], s[10:11]
	s_delay_alu instid0(VALU_DEP_2) | instskip(NEXT) | instid1(VALU_DEP_1)
	v_pk_mul_f32 v[2:3], v[48:49], v[2:3] op_sel:[1,0] op_sel_hi:[0,1]
	v_pk_fma_f32 v[6:7], v[48:49], v[4:5], v[2:3]
	v_pk_fma_f32 v[2:3], v[48:49], v[4:5], v[2:3] neg_lo:[0,0,1] neg_hi:[0,0,1]
	s_delay_alu instid0(VALU_DEP_2)
	v_mov_b32_e32 v3, v7
	global_store_b64 v[0:1], v[2:3], off
.LBB519_21:                             ;   in Loop: Header=BB519_4 Depth=1
	s_wait_xcnt 0x0
	s_or_b32 exec_lo, exec_lo, s38
	s_delay_alu instid0(SALU_CYCLE_1)
	s_and_b32 exec_lo, exec_lo, s4
	s_cbranch_execz .LBB519_23
; %bb.22:                               ;   in Loop: Header=BB519_4 Depth=1
	v_mov_b64_e32 v[2:3], s[36:37]
	v_mov_b64_e32 v[4:5], s[10:11]
	s_delay_alu instid0(VALU_DEP_2) | instskip(NEXT) | instid1(VALU_DEP_1)
	v_pk_mul_f32 v[2:3], v[42:43], v[2:3] op_sel:[1,0] op_sel_hi:[0,1]
	v_pk_fma_f32 v[6:7], v[42:43], v[4:5], v[2:3]
	v_pk_fma_f32 v[2:3], v[42:43], v[4:5], v[2:3] neg_lo:[0,0,1] neg_hi:[0,0,1]
	s_delay_alu instid0(VALU_DEP_2)
	v_mov_b32_e32 v3, v7
	global_store_b64 v[0:1], v[2:3], off offset:128
.LBB519_23:                             ;   in Loop: Header=BB519_4 Depth=1
	s_wait_xcnt 0x0
	s_or_b32 exec_lo, exec_lo, s27
	s_cbranch_execnz .LBB519_3
.LBB519_24:                             ;   in Loop: Header=BB519_4 Depth=1
	s_and_saveexec_b32 s27, s2
	s_cbranch_execz .LBB519_2
; %bb.25:                               ;   in Loop: Header=BB519_4 Depth=1
	s_mul_u64 s[38:39], s[16:17], s[34:35]
	v_lshlrev_b64_e32 v[0:1], 3, v[32:33]
	v_lshl_add_u64 v[2:3], s[38:39], 3, v[36:37]
	v_lshl_add_u64 v[4:5], v[34:35], 3, s[24:25]
	s_delay_alu instid0(VALU_DEP_2) | instskip(NEXT) | instid1(VALU_DEP_2)
	v_add_nc_u64_e32 v[8:9], v[2:3], v[0:1]
	v_add_nc_u64_e32 v[6:7], v[4:5], v[0:1]
	s_and_saveexec_b32 s24, s3
	s_cbranch_execnz .LBB519_28
; %bb.26:                               ;   in Loop: Header=BB519_4 Depth=1
	s_or_b32 exec_lo, exec_lo, s24
	s_and_saveexec_b32 s24, s4
	s_cbranch_execnz .LBB519_29
.LBB519_27:                             ;   in Loop: Header=BB519_4 Depth=1
	s_or_b32 exec_lo, exec_lo, s24
	s_delay_alu instid0(SALU_CYCLE_1)
	s_and_b32 exec_lo, exec_lo, s5
	s_cbranch_execz .LBB519_2
	s_branch .LBB519_30
.LBB519_28:                             ;   in Loop: Header=BB519_4 Depth=1
	global_load_b64 v[10:11], v[8:9], off
	v_mov_b64_e32 v[12:13], s[36:37]
	v_mov_b64_e32 v[14:15], s[28:29]
	;; [unrolled: 1-line block ×4, first 2 shown]
	s_delay_alu instid0(VALU_DEP_4) | instskip(NEXT) | instid1(VALU_DEP_1)
	v_pk_mul_f32 v[12:13], v[50:51], v[12:13] op_sel:[1,0] op_sel_hi:[0,1]
	v_pk_fma_f32 v[20:21], v[50:51], v[16:17], v[12:13]
	v_pk_fma_f32 v[12:13], v[50:51], v[16:17], v[12:13] neg_lo:[0,0,1] neg_hi:[0,0,1]
	s_wait_loadcnt 0x0
	v_pk_mul_f32 v[14:15], v[10:11], v[14:15] op_sel:[1,0] op_sel_hi:[0,1]
	s_delay_alu instid0(VALU_DEP_1) | instskip(SKIP_1) | instid1(VALU_DEP_2)
	v_pk_fma_f32 v[22:23], v[10:11], v[18:19], v[14:15]
	v_pk_fma_f32 v[10:11], v[10:11], v[18:19], v[14:15] neg_lo:[0,0,1] neg_hi:[0,0,1]
	v_dual_mov_b32 v13, v21 :: v_dual_mov_b32 v11, v23
	s_delay_alu instid0(VALU_DEP_1)
	v_pk_add_f32 v[10:11], v[12:13], v[10:11]
	global_store_b64 v[6:7], v[10:11], off
	s_wait_xcnt 0x0
	s_or_b32 exec_lo, exec_lo, s24
	s_and_saveexec_b32 s24, s4
	s_cbranch_execz .LBB519_27
.LBB519_29:                             ;   in Loop: Header=BB519_4 Depth=1
	global_load_b64 v[8:9], v[8:9], off offset:128
	v_mov_b64_e32 v[10:11], s[36:37]
	v_mov_b64_e32 v[12:13], s[28:29]
	;; [unrolled: 1-line block ×4, first 2 shown]
	s_delay_alu instid0(VALU_DEP_4) | instskip(NEXT) | instid1(VALU_DEP_1)
	v_pk_mul_f32 v[10:11], v[24:25], v[10:11] op_sel:[1,0] op_sel_hi:[0,1]
	v_pk_fma_f32 v[18:19], v[24:25], v[14:15], v[10:11]
	v_pk_fma_f32 v[10:11], v[24:25], v[14:15], v[10:11] neg_lo:[0,0,1] neg_hi:[0,0,1]
	s_wait_loadcnt 0x0
	v_pk_mul_f32 v[12:13], v[8:9], v[12:13] op_sel:[1,0] op_sel_hi:[0,1]
	s_delay_alu instid0(VALU_DEP_1) | instskip(SKIP_2) | instid1(VALU_DEP_2)
	v_pk_fma_f32 v[20:21], v[8:9], v[16:17], v[12:13]
	s_wait_xcnt 0x0
	v_pk_fma_f32 v[8:9], v[8:9], v[16:17], v[12:13] neg_lo:[0,0,1] neg_hi:[0,0,1]
	v_dual_mov_b32 v11, v19 :: v_dual_mov_b32 v9, v21
	s_delay_alu instid0(VALU_DEP_1) | instskip(SKIP_3) | instid1(SALU_CYCLE_1)
	v_pk_add_f32 v[8:9], v[10:11], v[8:9]
	global_store_b64 v[6:7], v[8:9], off offset:128
	s_wait_xcnt 0x0
	s_or_b32 exec_lo, exec_lo, s24
	s_and_b32 exec_lo, exec_lo, s5
	s_cbranch_execz .LBB519_2
.LBB519_30:                             ;   in Loop: Header=BB519_4 Depth=1
	v_lshl_add_u64 v[2:3], s[14:15], 3, v[2:3]
	v_lshl_add_u64 v[4:5], s[6:7], 3, v[4:5]
	s_delay_alu instid0(VALU_DEP_2) | instskip(NEXT) | instid1(VALU_DEP_2)
	v_add_nc_u64_e32 v[2:3], v[2:3], v[0:1]
	v_add_nc_u64_e32 v[0:1], v[4:5], v[0:1]
	s_and_saveexec_b32 s24, s3
	s_cbranch_execz .LBB519_32
; %bb.31:                               ;   in Loop: Header=BB519_4 Depth=1
	global_load_b64 v[4:5], v[2:3], off
	v_mov_b64_e32 v[6:7], s[36:37]
	v_mov_b64_e32 v[8:9], s[28:29]
	;; [unrolled: 1-line block ×4, first 2 shown]
	s_delay_alu instid0(VALU_DEP_4) | instskip(NEXT) | instid1(VALU_DEP_1)
	v_pk_mul_f32 v[6:7], v[48:49], v[6:7] op_sel:[1,0] op_sel_hi:[0,1]
	v_pk_fma_f32 v[14:15], v[48:49], v[10:11], v[6:7]
	v_pk_fma_f32 v[6:7], v[48:49], v[10:11], v[6:7] neg_lo:[0,0,1] neg_hi:[0,0,1]
	s_wait_loadcnt 0x0
	v_pk_mul_f32 v[8:9], v[4:5], v[8:9] op_sel:[1,0] op_sel_hi:[0,1]
	s_delay_alu instid0(VALU_DEP_1) | instskip(SKIP_1) | instid1(VALU_DEP_2)
	v_pk_fma_f32 v[16:17], v[4:5], v[12:13], v[8:9]
	v_pk_fma_f32 v[4:5], v[4:5], v[12:13], v[8:9] neg_lo:[0,0,1] neg_hi:[0,0,1]
	v_dual_mov_b32 v7, v15 :: v_dual_mov_b32 v5, v17
	s_delay_alu instid0(VALU_DEP_1)
	v_pk_add_f32 v[4:5], v[6:7], v[4:5]
	global_store_b64 v[0:1], v[4:5], off
.LBB519_32:                             ;   in Loop: Header=BB519_4 Depth=1
	s_wait_xcnt 0x0
	s_or_b32 exec_lo, exec_lo, s24
	s_delay_alu instid0(SALU_CYCLE_1)
	s_and_b32 exec_lo, exec_lo, s4
	s_cbranch_execz .LBB519_2
; %bb.33:                               ;   in Loop: Header=BB519_4 Depth=1
	global_load_b64 v[2:3], v[2:3], off offset:128
	v_mov_b64_e32 v[4:5], s[36:37]
	v_mov_b64_e32 v[6:7], s[28:29]
	;; [unrolled: 1-line block ×4, first 2 shown]
	s_delay_alu instid0(VALU_DEP_4) | instskip(NEXT) | instid1(VALU_DEP_1)
	v_pk_mul_f32 v[4:5], v[42:43], v[4:5] op_sel:[1,0] op_sel_hi:[0,1]
	v_pk_fma_f32 v[12:13], v[42:43], v[8:9], v[4:5]
	v_pk_fma_f32 v[4:5], v[42:43], v[8:9], v[4:5] neg_lo:[0,0,1] neg_hi:[0,0,1]
	s_wait_loadcnt 0x0
	v_pk_mul_f32 v[6:7], v[2:3], v[6:7] op_sel:[1,0] op_sel_hi:[0,1]
	s_delay_alu instid0(VALU_DEP_1) | instskip(SKIP_2) | instid1(VALU_DEP_2)
	v_pk_fma_f32 v[14:15], v[2:3], v[10:11], v[6:7]
	s_wait_xcnt 0x0
	v_pk_fma_f32 v[2:3], v[2:3], v[10:11], v[6:7] neg_lo:[0,0,1] neg_hi:[0,0,1]
	v_dual_mov_b32 v5, v13 :: v_dual_mov_b32 v3, v15
	s_delay_alu instid0(VALU_DEP_1)
	v_pk_add_f32 v[2:3], v[4:5], v[2:3]
	global_store_b64 v[0:1], v[2:3], off offset:128
	s_branch .LBB519_2
.LBB519_34:
	s_sendmsg sendmsg(MSG_DEALLOC_VGPRS)
	s_endpgm
	.section	.rodata,"a",@progbits
	.p2align	6, 0x0
	.amdhsa_kernel _ZN12_GLOBAL__N_135rocblas_gemm_batched_general_kernelI19rocblas_complex_numIfELi16ELi16ELi32ELi32ELi8ELi32ELi8ELi8ELi32ELc78ELc78EKS2_S3_S2_EEvlllT_PT11_llS6_llS4_PT12_llPT13_lli
		.amdhsa_group_segment_fixed_size 4096
		.amdhsa_private_segment_fixed_size 0
		.amdhsa_kernarg_size 140
		.amdhsa_user_sgpr_count 2
		.amdhsa_user_sgpr_dispatch_ptr 0
		.amdhsa_user_sgpr_queue_ptr 0
		.amdhsa_user_sgpr_kernarg_segment_ptr 1
		.amdhsa_user_sgpr_dispatch_id 0
		.amdhsa_user_sgpr_kernarg_preload_length 0
		.amdhsa_user_sgpr_kernarg_preload_offset 0
		.amdhsa_user_sgpr_private_segment_size 0
		.amdhsa_wavefront_size32 1
		.amdhsa_uses_dynamic_stack 0
		.amdhsa_enable_private_segment 0
		.amdhsa_system_sgpr_workgroup_id_x 1
		.amdhsa_system_sgpr_workgroup_id_y 1
		.amdhsa_system_sgpr_workgroup_id_z 1
		.amdhsa_system_sgpr_workgroup_info 0
		.amdhsa_system_vgpr_workitem_id 1
		.amdhsa_next_free_vgpr 84
		.amdhsa_next_free_sgpr 46
		.amdhsa_named_barrier_count 0
		.amdhsa_reserve_vcc 1
		.amdhsa_float_round_mode_32 0
		.amdhsa_float_round_mode_16_64 0
		.amdhsa_float_denorm_mode_32 3
		.amdhsa_float_denorm_mode_16_64 3
		.amdhsa_fp16_overflow 0
		.amdhsa_memory_ordered 1
		.amdhsa_forward_progress 1
		.amdhsa_inst_pref_size 27
		.amdhsa_round_robin_scheduling 0
		.amdhsa_exception_fp_ieee_invalid_op 0
		.amdhsa_exception_fp_denorm_src 0
		.amdhsa_exception_fp_ieee_div_zero 0
		.amdhsa_exception_fp_ieee_overflow 0
		.amdhsa_exception_fp_ieee_underflow 0
		.amdhsa_exception_fp_ieee_inexact 0
		.amdhsa_exception_int_div_zero 0
	.end_amdhsa_kernel
	.section	.text._ZN12_GLOBAL__N_135rocblas_gemm_batched_general_kernelI19rocblas_complex_numIfELi16ELi16ELi32ELi32ELi8ELi32ELi8ELi8ELi32ELc78ELc78EKS2_S3_S2_EEvlllT_PT11_llS6_llS4_PT12_llPT13_lli,"axG",@progbits,_ZN12_GLOBAL__N_135rocblas_gemm_batched_general_kernelI19rocblas_complex_numIfELi16ELi16ELi32ELi32ELi8ELi32ELi8ELi8ELi32ELc78ELc78EKS2_S3_S2_EEvlllT_PT11_llS6_llS4_PT12_llPT13_lli,comdat
.Lfunc_end519:
	.size	_ZN12_GLOBAL__N_135rocblas_gemm_batched_general_kernelI19rocblas_complex_numIfELi16ELi16ELi32ELi32ELi8ELi32ELi8ELi8ELi32ELc78ELc78EKS2_S3_S2_EEvlllT_PT11_llS6_llS4_PT12_llPT13_lli, .Lfunc_end519-_ZN12_GLOBAL__N_135rocblas_gemm_batched_general_kernelI19rocblas_complex_numIfELi16ELi16ELi32ELi32ELi8ELi32ELi8ELi8ELi32ELc78ELc78EKS2_S3_S2_EEvlllT_PT11_llS6_llS4_PT12_llPT13_lli
                                        ; -- End function
	.set _ZN12_GLOBAL__N_135rocblas_gemm_batched_general_kernelI19rocblas_complex_numIfELi16ELi16ELi32ELi32ELi8ELi32ELi8ELi8ELi32ELc78ELc78EKS2_S3_S2_EEvlllT_PT11_llS6_llS4_PT12_llPT13_lli.num_vgpr, 84
	.set _ZN12_GLOBAL__N_135rocblas_gemm_batched_general_kernelI19rocblas_complex_numIfELi16ELi16ELi32ELi32ELi8ELi32ELi8ELi8ELi32ELc78ELc78EKS2_S3_S2_EEvlllT_PT11_llS6_llS4_PT12_llPT13_lli.num_agpr, 0
	.set _ZN12_GLOBAL__N_135rocblas_gemm_batched_general_kernelI19rocblas_complex_numIfELi16ELi16ELi32ELi32ELi8ELi32ELi8ELi8ELi32ELc78ELc78EKS2_S3_S2_EEvlllT_PT11_llS6_llS4_PT12_llPT13_lli.numbered_sgpr, 46
	.set _ZN12_GLOBAL__N_135rocblas_gemm_batched_general_kernelI19rocblas_complex_numIfELi16ELi16ELi32ELi32ELi8ELi32ELi8ELi8ELi32ELc78ELc78EKS2_S3_S2_EEvlllT_PT11_llS6_llS4_PT12_llPT13_lli.num_named_barrier, 0
	.set _ZN12_GLOBAL__N_135rocblas_gemm_batched_general_kernelI19rocblas_complex_numIfELi16ELi16ELi32ELi32ELi8ELi32ELi8ELi8ELi32ELc78ELc78EKS2_S3_S2_EEvlllT_PT11_llS6_llS4_PT12_llPT13_lli.private_seg_size, 0
	.set _ZN12_GLOBAL__N_135rocblas_gemm_batched_general_kernelI19rocblas_complex_numIfELi16ELi16ELi32ELi32ELi8ELi32ELi8ELi8ELi32ELc78ELc78EKS2_S3_S2_EEvlllT_PT11_llS6_llS4_PT12_llPT13_lli.uses_vcc, 1
	.set _ZN12_GLOBAL__N_135rocblas_gemm_batched_general_kernelI19rocblas_complex_numIfELi16ELi16ELi32ELi32ELi8ELi32ELi8ELi8ELi32ELc78ELc78EKS2_S3_S2_EEvlllT_PT11_llS6_llS4_PT12_llPT13_lli.uses_flat_scratch, 0
	.set _ZN12_GLOBAL__N_135rocblas_gemm_batched_general_kernelI19rocblas_complex_numIfELi16ELi16ELi32ELi32ELi8ELi32ELi8ELi8ELi32ELc78ELc78EKS2_S3_S2_EEvlllT_PT11_llS6_llS4_PT12_llPT13_lli.has_dyn_sized_stack, 0
	.set _ZN12_GLOBAL__N_135rocblas_gemm_batched_general_kernelI19rocblas_complex_numIfELi16ELi16ELi32ELi32ELi8ELi32ELi8ELi8ELi32ELc78ELc78EKS2_S3_S2_EEvlllT_PT11_llS6_llS4_PT12_llPT13_lli.has_recursion, 0
	.set _ZN12_GLOBAL__N_135rocblas_gemm_batched_general_kernelI19rocblas_complex_numIfELi16ELi16ELi32ELi32ELi8ELi32ELi8ELi8ELi32ELc78ELc78EKS2_S3_S2_EEvlllT_PT11_llS6_llS4_PT12_llPT13_lli.has_indirect_call, 0
	.section	.AMDGPU.csdata,"",@progbits
; Kernel info:
; codeLenInByte = 3388
; TotalNumSgprs: 48
; NumVgprs: 84
; ScratchSize: 0
; MemoryBound: 0
; FloatMode: 240
; IeeeMode: 1
; LDSByteSize: 4096 bytes/workgroup (compile time only)
; SGPRBlocks: 0
; VGPRBlocks: 5
; NumSGPRsForWavesPerEU: 48
; NumVGPRsForWavesPerEU: 84
; NamedBarCnt: 0
; Occupancy: 10
; WaveLimiterHint : 0
; COMPUTE_PGM_RSRC2:SCRATCH_EN: 0
; COMPUTE_PGM_RSRC2:USER_SGPR: 2
; COMPUTE_PGM_RSRC2:TRAP_HANDLER: 0
; COMPUTE_PGM_RSRC2:TGID_X_EN: 1
; COMPUTE_PGM_RSRC2:TGID_Y_EN: 1
; COMPUTE_PGM_RSRC2:TGID_Z_EN: 1
; COMPUTE_PGM_RSRC2:TIDIG_COMP_CNT: 1
	.section	.text._ZN12_GLOBAL__N_135rocblas_gemm_batched_general_kernelI19rocblas_complex_numIfELi16ELi16ELi32ELi32ELi8ELi32ELi8ELi8ELi32ELc84ELc78EKS2_S3_S2_EEvlllT_PT11_llS6_llS4_PT12_llPT13_lli,"axG",@progbits,_ZN12_GLOBAL__N_135rocblas_gemm_batched_general_kernelI19rocblas_complex_numIfELi16ELi16ELi32ELi32ELi8ELi32ELi8ELi8ELi32ELc84ELc78EKS2_S3_S2_EEvlllT_PT11_llS6_llS4_PT12_llPT13_lli,comdat
	.globl	_ZN12_GLOBAL__N_135rocblas_gemm_batched_general_kernelI19rocblas_complex_numIfELi16ELi16ELi32ELi32ELi8ELi32ELi8ELi8ELi32ELc84ELc78EKS2_S3_S2_EEvlllT_PT11_llS6_llS4_PT12_llPT13_lli ; -- Begin function _ZN12_GLOBAL__N_135rocblas_gemm_batched_general_kernelI19rocblas_complex_numIfELi16ELi16ELi32ELi32ELi8ELi32ELi8ELi8ELi32ELc84ELc78EKS2_S3_S2_EEvlllT_PT11_llS6_llS4_PT12_llPT13_lli
	.p2align	8
	.type	_ZN12_GLOBAL__N_135rocblas_gemm_batched_general_kernelI19rocblas_complex_numIfELi16ELi16ELi32ELi32ELi8ELi32ELi8ELi8ELi32ELc84ELc78EKS2_S3_S2_EEvlllT_PT11_llS6_llS4_PT12_llPT13_lli,@function
_ZN12_GLOBAL__N_135rocblas_gemm_batched_general_kernelI19rocblas_complex_numIfELi16ELi16ELi32ELi32ELi8ELi32ELi8ELi8ELi32ELc84ELc78EKS2_S3_S2_EEvlllT_PT11_llS6_llS4_PT12_llPT13_lli: ; @_ZN12_GLOBAL__N_135rocblas_gemm_batched_general_kernelI19rocblas_complex_numIfELi16ELi16ELi32ELi32ELi8ELi32ELi8ELi8ELi32ELc84ELc78EKS2_S3_S2_EEvlllT_PT11_llS6_llS4_PT12_llPT13_lli
; %bb.0:
	s_load_b32 s33, s[0:1], 0x88
	s_bfe_u32 s2, ttmp6, 0x40014
	s_lshr_b32 s3, ttmp7, 16
	s_add_co_i32 s2, s2, 1
	s_bfe_u32 s5, ttmp6, 0x40008
	s_mul_i32 s4, s3, s2
	s_getreg_b32 s2, hwreg(HW_REG_IB_STS2, 6, 4)
	s_add_co_i32 s5, s5, s4
	s_cmp_eq_u32 s2, 0
	s_mov_b32 s35, 0
	s_cselect_b32 s34, s3, s5
	s_wait_kmcnt 0x0
	s_cmp_ge_i32 s34, s33
	s_cbranch_scc1 .LBB520_34
; %bb.1:
	v_bfe_u32 v2, v0, 10, 10
	v_and_b32_e32 v4, 0x3ff, v0
	s_clause 0x5
	s_load_b256 s[4:11], s[0:1], 0x0
	s_load_b256 s[20:27], s[0:1], 0x20
	s_load_b128 s[28:31], s[0:1], 0x78
	s_load_b256 s[12:19], s[0:1], 0x58
	s_load_b128 s[36:39], s[0:1], 0x40
	s_load_b64 s[40:41], s[0:1], 0x50
	s_wait_xcnt 0x0
	s_bfe_u32 s0, ttmp6, 0x4000c
	s_bfe_u32 s3, ttmp6, 0x40010
	s_add_co_i32 s0, s0, 1
	s_and_b32 s42, ttmp7, 0xffff
	s_add_co_i32 s3, s3, 1
	v_lshl_add_u32 v12, v2, 4, v4
	v_mov_b32_e32 v3, 0
	s_and_b32 s1, ttmp6, 15
	s_mul_i32 s0, ttmp9, s0
	s_mul_i32 s3, s42, s3
	s_bfe_u32 s43, ttmp6, 0x40004
	s_add_co_i32 s1, s1, s0
	s_add_co_i32 s43, s43, s3
	s_cmp_eq_u32 s2, 0
	v_dual_mov_b32 v5, v3 :: v_dual_bitop2_b32 v13, 31, v12 bitop3:0x40
	v_dual_mov_b32 v7, v3 :: v_dual_lshrrev_b32 v6, 3, v12
	v_and_b32_e32 v28, 7, v0
	s_cselect_b32 s0, ttmp9, s1
	s_cselect_b32 s2, s42, s43
	s_ashr_i32 s1, s0, 31
	s_lshl_b32 s2, s2, 5
	s_mov_b32 s3, s35
	s_lshl_b64 s[42:43], s[0:1], 5
	v_add_nc_u64_e32 v[8:9], s[2:3], v[6:7]
	v_dual_mov_b32 v1, s43 :: v_dual_bitop2_b32 v0, s42, v13 bitop3:0x54
	v_add_nc_u64_e32 v[10:11], s[2:3], v[2:3]
	v_add_nc_u64_e32 v[32:33], s[42:43], v[4:5]
	v_dual_mov_b32 v31, v3 :: v_dual_lshrrev_b32 v30, 5, v12
	s_wait_kmcnt 0x0
	v_mul_u64_e32 v[14:15], s[36:37], v[8:9]
	v_mul_u64_e32 v[16:17], s[22:23], v[0:1]
	v_cmp_gt_i64_e64 s0, s[4:5], v[0:1]
	v_mul_u64_e32 v[18:19], s[14:15], v[10:11]
	v_mul_u64_e32 v[34:35], s[28:29], v[10:11]
	v_add_nc_u64_e32 v[0:1], 16, v[32:33]
	v_dual_lshlrev_b32 v12, 3, v28 :: v_dual_lshlrev_b32 v7, 3, v13
	v_lshl_add_u32 v55, v2, 6, 0x800
	v_dual_mov_b32 v13, v3 :: v_dual_lshlrev_b32 v2, 3, v30
	v_dual_mov_b32 v29, v3 :: v_dual_lshlrev_b32 v54, 3, v4
	v_add_nc_u64_e32 v[4:5], 16, v[10:11]
	v_cmp_gt_i64_e64 s3, s[4:5], v[32:33]
	v_cmp_gt_i64_e64 s4, s[4:5], v[0:1]
	s_or_b32 s2, s40, s41
	v_lshl_or_b32 v6, v6, 6, v12
	s_bitset0_b32 s2, 31
	v_cmp_gt_i64_e64 s1, s[6:7], v[8:9]
	s_cmp_eq_u32 s2, 0
	v_cmp_gt_i64_e64 s2, s[6:7], v[10:11]
	v_cmp_gt_i64_e64 s5, s[6:7], v[4:5]
	v_lshl_or_b32 v52, v30, 8, v7
	v_add_nc_u32_e32 v53, 0x800, v6
	s_cselect_b32 s36, -1, 0
	s_mov_b32 s22, s11
	s_mov_b32 s23, s11
	;; [unrolled: 1-line block ×3, first 2 shown]
	s_lshl_b64 s[6:7], s[28:29], 4
	s_mov_b32 s28, s41
	s_mov_b32 s29, s41
	v_lshl_add_u64 v[0:1], v[14:15], 3, v[12:13]
	v_lshl_add_u64 v[2:3], v[16:17], 3, v[2:3]
	s_mov_b32 s41, s40
	v_lshl_add_u64 v[36:37], v[18:19], 3, s[12:13]
	s_lshl_b64 s[12:13], s[14:15], 4
	v_add_nc_u64_e32 v[38:39], s[26:27], v[0:1]
	v_add_nc_u64_e32 v[40:41], s[20:21], v[2:3]
	v_cmp_gt_i64_e64 s26, s[8:9], 0
	s_lshl_b64 s[14:15], s[38:39], 3
	s_lshl_b64 s[20:21], s[24:25], 3
	s_branch .LBB520_4
.LBB520_2:                              ;   in Loop: Header=BB520_4 Depth=1
	s_wait_xcnt 0x0
	s_or_b32 exec_lo, exec_lo, s27
.LBB520_3:                              ;   in Loop: Header=BB520_4 Depth=1
	s_add_co_i32 s34, s34, 0x10000
	s_delay_alu instid0(SALU_CYCLE_1)
	s_cmp_lt_i32 s34, s33
	s_cbranch_scc0 .LBB520_34
.LBB520_4:                              ; =>This Loop Header: Depth=1
                                        ;     Child Loop BB520_7 Depth 2
	v_dual_mov_b32 v51, 0 :: v_dual_mov_b32 v50, 0
	v_dual_mov_b32 v25, 0 :: v_dual_mov_b32 v24, 0
	;; [unrolled: 1-line block ×4, first 2 shown]
	s_and_not1_b32 vcc_lo, exec_lo, s26
	s_cbranch_vccnz .LBB520_11
; %bb.5:                                ;   in Loop: Header=BB520_4 Depth=1
	v_mad_nc_u64_u32 v[44:45], s14, s34, v[38:39]
	v_mad_nc_u64_u32 v[46:47], s20, s34, v[40:41]
	v_mov_b32_e32 v42, 0
	s_mov_b64 s[24:25], 0
	s_delay_alu instid0(VALU_DEP_1)
	v_dual_mov_b32 v43, v42 :: v_dual_mov_b32 v48, v42
	v_dual_mov_b32 v49, v42 :: v_dual_mov_b32 v24, v42
	v_mad_u32 v45, s15, s34, v45
	v_mad_u32 v47, s21, s34, v47
	v_dual_mov_b32 v25, v42 :: v_dual_mov_b32 v50, v42
	v_mov_b32_e32 v51, v42
	s_branch .LBB520_7
.LBB520_6:                              ;   in Loop: Header=BB520_7 Depth=2
	s_wait_xcnt 0x0
	s_or_b32 exec_lo, exec_lo, s27
	s_wait_loadcnt 0x0
	ds_store_b64 v53, v[0:1]
	s_wait_dscnt 0x0
	s_barrier_signal -1
	s_barrier_wait -1
	ds_load_2addr_b64 v[56:59], v54 offset1:16
	ds_load_b128 v[60:63], v55
	ds_load_2addr_b64 v[20:23], v54 offset0:32 offset1:48
	ds_load_2addr_b64 v[16:19], v54 offset0:64 offset1:80
	ds_load_b128 v[64:67], v55 offset:16
	ds_load_2addr_b64 v[12:15], v54 offset0:96 offset1:112
	ds_load_2addr_b64 v[8:11], v54 offset0:128 offset1:144
	ds_load_b128 v[68:71], v55 offset:32
	ds_load_2addr_b64 v[4:7], v54 offset0:160 offset1:176
	ds_load_2addr_b64 v[0:3], v54 offset0:192 offset1:208
	s_add_nc_u64 s[24:25], s[24:25], 8
	v_add_nc_u64_e32 v[44:45], 64, v[44:45]
	v_cmp_lt_i64_e64 s27, s[24:25], s[8:9]
	v_add_nc_u64_e32 v[46:47], 64, v[46:47]
	s_and_b32 vcc_lo, exec_lo, s27
	s_wait_dscnt 0x8
	v_pk_mul_f32 v[26:27], v[60:61], v[56:57] op_sel:[0,1]
	s_wait_dscnt 0x7
	v_pk_mul_f32 v[72:73], v[62:63], v[20:21] op_sel:[0,1]
	;; [unrolled: 2-line block ×4, first 2 shown]
	v_pk_fma_f32 v[78:79], v[60:61], v[56:57], v[26:27] op_sel:[0,0,1] op_sel_hi:[1,0,0]
	v_pk_fma_f32 v[82:83], v[62:63], v[20:21], v[72:73] op_sel:[0,0,1] op_sel_hi:[1,0,0]
	v_pk_fma_f32 v[26:27], v[60:61], v[56:57], v[26:27] op_sel:[0,0,1] op_sel_hi:[1,1,0] neg_lo:[0,0,1] neg_hi:[0,0,1]
	v_pk_fma_f32 v[72:73], v[62:63], v[20:21], v[72:73] op_sel:[0,0,1] op_sel_hi:[1,1,0] neg_lo:[0,0,1] neg_hi:[0,0,1]
	s_wait_dscnt 0x2
	v_pk_mul_f32 v[80:81], v[68:69], v[8:9] op_sel:[0,1]
	v_dual_mov_b32 v27, v79 :: v_dual_mov_b32 v73, v83
	v_pk_fma_f32 v[78:79], v[64:65], v[16:17], v[74:75] op_sel:[0,0,1] op_sel_hi:[1,0,0]
	v_pk_fma_f32 v[82:83], v[66:67], v[12:13], v[76:77] op_sel:[0,0,1] op_sel_hi:[1,0,0]
	v_pk_fma_f32 v[74:75], v[64:65], v[16:17], v[74:75] op_sel:[0,0,1] op_sel_hi:[1,1,0] neg_lo:[0,0,1] neg_hi:[0,0,1]
	v_pk_fma_f32 v[76:77], v[66:67], v[12:13], v[76:77] op_sel:[0,0,1] op_sel_hi:[1,1,0] neg_lo:[0,0,1] neg_hi:[0,0,1]
	v_pk_add_f32 v[26:27], v[50:51], v[26:27]
	s_delay_alu instid0(VALU_DEP_4)
	v_dual_mov_b32 v75, v79 :: v_dual_mov_b32 v77, v83
	v_pk_fma_f32 v[78:79], v[68:69], v[8:9], v[80:81] op_sel:[0,0,1] op_sel_hi:[1,0,0]
	v_pk_mul_f32 v[82:83], v[60:61], v[58:59] op_sel:[0,1]
	v_pk_fma_f32 v[80:81], v[68:69], v[8:9], v[80:81] op_sel:[0,0,1] op_sel_hi:[1,1,0] neg_lo:[0,0,1] neg_hi:[0,0,1]
	v_pk_mul_f32 v[50:51], v[62:63], v[22:23] op_sel:[0,1]
	v_pk_add_f32 v[26:27], v[26:27], v[72:73]
	v_mov_b32_e32 v81, v79
	v_pk_fma_f32 v[78:79], v[60:61], v[58:59], v[82:83] op_sel:[0,0,1] op_sel_hi:[1,1,0] neg_lo:[0,0,1] neg_hi:[0,0,1]
	v_pk_fma_f32 v[82:83], v[60:61], v[58:59], v[82:83] op_sel:[0,0,1] op_sel_hi:[1,0,0]
	v_pk_fma_f32 v[72:73], v[62:63], v[22:23], v[50:51] op_sel:[0,0,1] op_sel_hi:[1,1,0] neg_lo:[0,0,1] neg_hi:[0,0,1]
	v_pk_fma_f32 v[50:51], v[62:63], v[22:23], v[50:51] op_sel:[0,0,1] op_sel_hi:[1,0,0]
	ds_load_b128 v[60:63], v55 offset:48
	v_pk_add_f32 v[26:27], v[26:27], v[74:75]
	s_wait_dscnt 0x2
	v_pk_mul_f32 v[74:75], v[70:71], v[4:5] op_sel:[0,1]
	v_mov_b32_e32 v79, v83
	v_pk_mul_f32 v[82:83], v[64:65], v[18:19] op_sel:[0,1]
	v_mov_b32_e32 v73, v51
	v_pk_add_f32 v[76:77], v[26:27], v[76:77]
	v_pk_fma_f32 v[50:51], v[70:71], v[4:5], v[74:75] op_sel:[0,0,1] op_sel_hi:[1,0,0]
	v_pk_add_f32 v[78:79], v[24:25], v[78:79]
	v_pk_fma_f32 v[74:75], v[70:71], v[4:5], v[74:75] op_sel:[0,0,1] op_sel_hi:[1,1,0] neg_lo:[0,0,1] neg_hi:[0,0,1]
	ds_load_2addr_b64 v[24:27], v54 offset0:224 offset1:240
	v_mov_b32_e32 v75, v51
	v_pk_add_f32 v[50:51], v[76:77], v[80:81]
	v_pk_fma_f32 v[76:77], v[64:65], v[18:19], v[82:83] op_sel:[0,0,1] op_sel_hi:[1,0,0]
	v_pk_add_f32 v[72:73], v[78:79], v[72:73]
	v_pk_mul_f32 v[78:79], v[66:67], v[14:15] op_sel:[0,1]
	v_pk_fma_f32 v[64:65], v[64:65], v[18:19], v[82:83] op_sel:[0,0,1] op_sel_hi:[1,1,0] neg_lo:[0,0,1] neg_hi:[0,0,1]
	v_pk_add_f32 v[50:51], v[50:51], v[74:75]
	v_mov_b32_e32 v65, v77
	v_pk_mul_f32 v[82:83], v[68:69], v[10:11] op_sel:[0,1]
	v_pk_fma_f32 v[76:77], v[66:67], v[14:15], v[78:79] op_sel:[0,0,1] op_sel_hi:[1,0,0]
	v_pk_fma_f32 v[78:79], v[66:67], v[14:15], v[78:79] op_sel:[0,0,1] op_sel_hi:[1,1,0] neg_lo:[0,0,1] neg_hi:[0,0,1]
	s_delay_alu instid0(VALU_DEP_2)
	v_mov_b32_e32 v79, v77
	v_pk_add_f32 v[72:73], v[72:73], v[64:65]
	ds_load_b128 v[64:67], v55 offset:1024
	s_wait_dscnt 0x2
	v_pk_mul_f32 v[80:81], v[60:61], v[0:1] op_sel:[0,1]
	v_pk_add_f32 v[72:73], v[72:73], v[78:79]
	v_pk_mul_f32 v[78:79], v[70:71], v[6:7] op_sel:[0,1]
	s_delay_alu instid0(VALU_DEP_3) | instskip(SKIP_3) | instid1(VALU_DEP_3)
	v_pk_fma_f32 v[74:75], v[60:61], v[0:1], v[80:81] op_sel:[0,0,1] op_sel_hi:[1,0,0]
	v_pk_fma_f32 v[76:77], v[60:61], v[0:1], v[80:81] op_sel:[0,0,1] op_sel_hi:[1,1,0] neg_lo:[0,0,1] neg_hi:[0,0,1]
	s_wait_dscnt 0x1
	v_pk_mul_f32 v[80:81], v[62:63], v[24:25] op_sel:[0,1]
	v_mov_b32_e32 v77, v75
	v_pk_fma_f32 v[74:75], v[68:69], v[10:11], v[82:83] op_sel:[0,0,1] op_sel_hi:[1,0,0]
	v_pk_fma_f32 v[68:69], v[68:69], v[10:11], v[82:83] op_sel:[0,0,1] op_sel_hi:[1,1,0] neg_lo:[0,0,1] neg_hi:[0,0,1]
	s_delay_alu instid0(VALU_DEP_2)
	v_mov_b32_e32 v69, v75
	v_pk_fma_f32 v[74:75], v[62:63], v[24:25], v[80:81] op_sel:[0,0,1] op_sel_hi:[1,0,0]
	v_pk_fma_f32 v[80:81], v[62:63], v[24:25], v[80:81] op_sel:[0,0,1] op_sel_hi:[1,1,0] neg_lo:[0,0,1] neg_hi:[0,0,1]
	v_pk_add_f32 v[50:51], v[50:51], v[76:77]
	v_pk_fma_f32 v[76:77], v[70:71], v[6:7], v[78:79] op_sel:[0,0,1] op_sel_hi:[1,0,0]
	v_pk_add_f32 v[72:73], v[72:73], v[68:69]
	v_mov_b32_e32 v81, v75
	v_pk_fma_f32 v[74:75], v[70:71], v[6:7], v[78:79] op_sel:[0,0,1] op_sel_hi:[1,1,0] neg_lo:[0,0,1] neg_hi:[0,0,1]
	ds_load_b128 v[68:71], v55 offset:1040
	v_mov_b32_e32 v75, v77
	s_wait_dscnt 0x1
	v_pk_mul_f32 v[76:77], v[64:65], v[56:57] op_sel:[0,1]
	v_pk_mul_f32 v[78:79], v[60:61], v[2:3] op_sel:[0,1]
	v_pk_add_f32 v[50:51], v[50:51], v[80:81]
	v_pk_add_f32 v[72:73], v[72:73], v[74:75]
	s_delay_alu instid0(VALU_DEP_4) | instskip(NEXT) | instid1(VALU_DEP_4)
	v_pk_fma_f32 v[74:75], v[64:65], v[56:57], v[76:77] op_sel:[0,0,1] op_sel_hi:[1,0,0]
	v_pk_fma_f32 v[80:81], v[60:61], v[2:3], v[78:79] op_sel:[0,0,1] op_sel_hi:[1,1,0] neg_lo:[0,0,1] neg_hi:[0,0,1]
	v_pk_fma_f32 v[60:61], v[60:61], v[2:3], v[78:79] op_sel:[0,0,1] op_sel_hi:[1,0,0]
	v_pk_mul_f32 v[78:79], v[66:67], v[20:21] op_sel:[0,1]
	v_pk_fma_f32 v[56:57], v[64:65], v[56:57], v[76:77] op_sel:[0,0,1] op_sel_hi:[1,1,0] neg_lo:[0,0,1] neg_hi:[0,0,1]
	v_mov_b32_e32 v57, v75
	v_pk_mul_f32 v[74:75], v[62:63], v[26:27] op_sel:[0,1]
	v_mov_b32_e32 v81, v61
	v_pk_fma_f32 v[60:61], v[66:67], v[20:21], v[78:79] op_sel:[0,0,1] op_sel_hi:[1,0,0]
	v_pk_fma_f32 v[20:21], v[66:67], v[20:21], v[78:79] op_sel:[0,0,1] op_sel_hi:[1,1,0] neg_lo:[0,0,1] neg_hi:[0,0,1]
	v_pk_add_f32 v[48:49], v[48:49], v[56:57]
	v_pk_fma_f32 v[76:77], v[62:63], v[26:27], v[74:75] op_sel:[0,0,1] op_sel_hi:[1,1,0] neg_lo:[0,0,1] neg_hi:[0,0,1]
	v_pk_fma_f32 v[74:75], v[62:63], v[26:27], v[74:75] op_sel:[0,0,1] op_sel_hi:[1,0,0]
	v_mov_b32_e32 v21, v61
	ds_load_b128 v[60:63], v55 offset:1056
	s_wait_dscnt 0x1
	v_pk_mul_f32 v[56:57], v[68:69], v[16:17] op_sel:[0,1]
	v_mov_b32_e32 v77, v75
	v_pk_add_f32 v[20:21], v[48:49], v[20:21]
	s_delay_alu instid0(VALU_DEP_3) | instskip(SKIP_2) | instid1(VALU_DEP_3)
	v_pk_fma_f32 v[48:49], v[68:69], v[16:17], v[56:57] op_sel:[0,0,1] op_sel_hi:[1,0,0]
	v_pk_fma_f32 v[16:17], v[68:69], v[16:17], v[56:57] op_sel:[0,0,1] op_sel_hi:[1,1,0] neg_lo:[0,0,1] neg_hi:[0,0,1]
	v_pk_mul_f32 v[56:57], v[64:65], v[58:59] op_sel:[0,1]
	v_mov_b32_e32 v17, v49
	v_pk_mul_f32 v[48:49], v[70:71], v[12:13] op_sel:[0,1]
	s_delay_alu instid0(VALU_DEP_2) | instskip(NEXT) | instid1(VALU_DEP_2)
	v_pk_add_f32 v[16:17], v[20:21], v[16:17]
	v_pk_fma_f32 v[20:21], v[70:71], v[12:13], v[48:49] op_sel:[0,0,1] op_sel_hi:[1,0,0]
	v_pk_fma_f32 v[12:13], v[70:71], v[12:13], v[48:49] op_sel:[0,0,1] op_sel_hi:[1,1,0] neg_lo:[0,0,1] neg_hi:[0,0,1]
	v_pk_add_f32 v[48:49], v[72:73], v[80:81]
	s_delay_alu instid0(VALU_DEP_3) | instskip(SKIP_2) | instid1(VALU_DEP_2)
	v_mov_b32_e32 v13, v21
	s_wait_dscnt 0x0
	v_pk_mul_f32 v[20:21], v[60:61], v[8:9] op_sel:[0,1]
	v_pk_add_f32 v[12:13], v[16:17], v[12:13]
	s_delay_alu instid0(VALU_DEP_2) | instskip(SKIP_2) | instid1(VALU_DEP_3)
	v_pk_fma_f32 v[16:17], v[60:61], v[8:9], v[20:21] op_sel:[0,0,1] op_sel_hi:[1,0,0]
	v_pk_fma_f32 v[8:9], v[60:61], v[8:9], v[20:21] op_sel:[0,0,1] op_sel_hi:[1,1,0] neg_lo:[0,0,1] neg_hi:[0,0,1]
	v_pk_fma_f32 v[20:21], v[64:65], v[58:59], v[56:57] op_sel:[0,0,1] op_sel_hi:[1,1,0] neg_lo:[0,0,1] neg_hi:[0,0,1]
	v_mov_b32_e32 v9, v17
	v_pk_fma_f32 v[16:17], v[64:65], v[58:59], v[56:57] op_sel:[0,0,1] op_sel_hi:[1,0,0]
	ds_load_b128 v[56:59], v55 offset:1072
	s_wait_dscnt 0x0
	s_barrier_signal -1
	v_pk_add_f32 v[8:9], v[12:13], v[8:9]
	v_mov_b32_e32 v21, v17
	v_pk_mul_f32 v[16:17], v[66:67], v[22:23] op_sel:[0,1]
	v_pk_mul_f32 v[12:13], v[62:63], v[4:5] op_sel:[0,1]
	s_barrier_wait -1
	s_delay_alu instid0(VALU_DEP_3) | instskip(NEXT) | instid1(VALU_DEP_3)
	v_pk_add_f32 v[20:21], v[42:43], v[20:21]
	v_pk_fma_f32 v[64:65], v[66:67], v[22:23], v[16:17] op_sel:[0,0,1] op_sel_hi:[1,0,0]
	v_pk_mul_f32 v[42:43], v[68:69], v[18:19] op_sel:[0,1]
	v_pk_fma_f32 v[16:17], v[66:67], v[22:23], v[16:17] op_sel:[0,0,1] op_sel_hi:[1,1,0] neg_lo:[0,0,1] neg_hi:[0,0,1]
	v_pk_fma_f32 v[22:23], v[62:63], v[4:5], v[12:13] op_sel:[0,0,1] op_sel_hi:[1,1,0] neg_lo:[0,0,1] neg_hi:[0,0,1]
	v_pk_fma_f32 v[4:5], v[62:63], v[4:5], v[12:13] op_sel:[0,0,1] op_sel_hi:[1,0,0]
	v_mov_b32_e32 v17, v65
	v_pk_fma_f32 v[64:65], v[68:69], v[18:19], v[42:43] op_sel:[0,0,1] op_sel_hi:[1,0,0]
	v_pk_mul_f32 v[12:13], v[70:71], v[14:15] op_sel:[0,1]
	v_pk_fma_f32 v[18:19], v[68:69], v[18:19], v[42:43] op_sel:[0,0,1] op_sel_hi:[1,1,0] neg_lo:[0,0,1] neg_hi:[0,0,1]
	v_mov_b32_e32 v23, v5
	v_pk_mul_f32 v[42:43], v[60:61], v[10:11] op_sel:[0,1]
	v_mov_b32_e32 v19, v65
	v_pk_add_f32 v[16:17], v[20:21], v[16:17]
	v_pk_fma_f32 v[4:5], v[70:71], v[14:15], v[12:13] op_sel:[0,0,1] op_sel_hi:[1,0,0]
	v_pk_fma_f32 v[12:13], v[70:71], v[14:15], v[12:13] op_sel:[0,0,1] op_sel_hi:[1,1,0] neg_lo:[0,0,1] neg_hi:[0,0,1]
	v_pk_mul_f32 v[20:21], v[56:57], v[0:1] op_sel:[0,1]
	s_delay_alu instid0(VALU_DEP_4) | instskip(NEXT) | instid1(VALU_DEP_4)
	v_pk_add_f32 v[16:17], v[16:17], v[18:19]
	v_mov_b32_e32 v13, v5
	v_pk_add_f32 v[4:5], v[8:9], v[22:23]
	v_pk_fma_f32 v[8:9], v[60:61], v[10:11], v[42:43] op_sel:[0,0,1] op_sel_hi:[1,0,0]
	v_pk_mul_f32 v[18:19], v[62:63], v[6:7] op_sel:[0,1]
	v_pk_fma_f32 v[10:11], v[60:61], v[10:11], v[42:43] op_sel:[0,0,1] op_sel_hi:[1,1,0] neg_lo:[0,0,1] neg_hi:[0,0,1]
	v_pk_fma_f32 v[14:15], v[56:57], v[0:1], v[20:21] op_sel:[0,0,1] op_sel_hi:[1,1,0] neg_lo:[0,0,1] neg_hi:[0,0,1]
	v_pk_add_f32 v[12:13], v[16:17], v[12:13]
	v_mov_b32_e32 v11, v9
	v_pk_fma_f32 v[0:1], v[56:57], v[0:1], v[20:21] op_sel:[0,0,1] op_sel_hi:[1,0,0]
	v_pk_fma_f32 v[8:9], v[62:63], v[6:7], v[18:19] op_sel:[0,0,1] op_sel_hi:[1,0,0]
	v_pk_mul_f32 v[20:21], v[56:57], v[2:3] op_sel:[0,1]
	v_pk_fma_f32 v[6:7], v[62:63], v[6:7], v[18:19] op_sel:[0,0,1] op_sel_hi:[1,1,0] neg_lo:[0,0,1] neg_hi:[0,0,1]
	v_pk_mul_f32 v[16:17], v[58:59], v[24:25] op_sel:[0,1]
	s_delay_alu instid0(VALU_DEP_4)
	v_dual_mov_b32 v15, v1 :: v_dual_mov_b32 v7, v9
	v_pk_add_f32 v[10:11], v[12:13], v[10:11]
	v_pk_fma_f32 v[0:1], v[56:57], v[2:3], v[20:21] op_sel:[0,0,1] op_sel_hi:[1,0,0]
	v_pk_mul_f32 v[12:13], v[58:59], v[26:27] op_sel:[0,1]
	v_pk_fma_f32 v[2:3], v[56:57], v[2:3], v[20:21] op_sel:[0,0,1] op_sel_hi:[1,1,0] neg_lo:[0,0,1] neg_hi:[0,0,1]
	v_pk_fma_f32 v[8:9], v[58:59], v[24:25], v[16:17] op_sel:[0,0,1] op_sel_hi:[1,0,0]
	v_pk_add_f32 v[6:7], v[10:11], v[6:7]
	v_mov_b32_e32 v3, v1
	v_pk_add_f32 v[0:1], v[4:5], v[14:15]
	v_pk_fma_f32 v[4:5], v[58:59], v[26:27], v[12:13] op_sel:[0,0,1] op_sel_hi:[1,0,0]
	v_pk_fma_f32 v[10:11], v[58:59], v[24:25], v[16:17] op_sel:[0,0,1] op_sel_hi:[1,1,0] neg_lo:[0,0,1] neg_hi:[0,0,1]
	v_mov_b32_e32 v11, v9
	v_pk_add_f32 v[2:3], v[6:7], v[2:3]
	v_pk_fma_f32 v[6:7], v[58:59], v[26:27], v[12:13] op_sel:[0,0,1] op_sel_hi:[1,1,0] neg_lo:[0,0,1] neg_hi:[0,0,1]
	v_mov_b32_e32 v7, v5
	v_pk_add_f32 v[24:25], v[48:49], v[76:77]
	v_pk_add_f32 v[48:49], v[0:1], v[10:11]
	s_delay_alu instid0(VALU_DEP_3)
	v_pk_add_f32 v[42:43], v[2:3], v[6:7]
	s_cbranch_vccz .LBB520_11
.LBB520_7:                              ;   Parent Loop BB520_4 Depth=1
                                        ; =>  This Inner Loop Header: Depth=2
	v_add_nc_u64_e32 v[0:1], s[24:25], v[30:31]
	v_dual_mov_b32 v2, 0 :: v_dual_mov_b32 v3, 0
	s_delay_alu instid0(VALU_DEP_2) | instskip(SKIP_1) | instid1(SALU_CYCLE_1)
	v_cmp_gt_i64_e32 vcc_lo, s[8:9], v[0:1]
	s_and_b32 s37, s0, vcc_lo
	s_and_saveexec_b32 s27, s37
	s_cbranch_execz .LBB520_9
; %bb.8:                                ;   in Loop: Header=BB520_7 Depth=2
	global_load_b64 v[2:3], v[46:47], off
.LBB520_9:                              ;   in Loop: Header=BB520_7 Depth=2
	s_wait_xcnt 0x0
	s_or_b32 exec_lo, exec_lo, s27
	v_add_nc_u64_e32 v[0:1], s[24:25], v[28:29]
	s_wait_loadcnt 0x0
	ds_store_b64 v52, v[2:3]
	v_cmp_gt_i64_e32 vcc_lo, s[8:9], v[0:1]
	v_dual_mov_b32 v0, 0 :: v_dual_mov_b32 v1, 0
	s_and_b32 s37, vcc_lo, s1
	s_delay_alu instid0(SALU_CYCLE_1)
	s_and_saveexec_b32 s27, s37
	s_cbranch_execz .LBB520_6
; %bb.10:                               ;   in Loop: Header=BB520_7 Depth=2
	global_load_b64 v[0:1], v[44:45], off
	s_branch .LBB520_6
.LBB520_11:                             ;   in Loop: Header=BB520_4 Depth=1
	s_mul_u64 s[24:25], s[30:31], s[34:35]
	s_and_not1_b32 vcc_lo, exec_lo, s36
	s_lshl_b64 s[24:25], s[24:25], 3
	s_mov_b32 s27, -1
	s_add_nc_u64 s[24:25], s[18:19], s[24:25]
	s_cbranch_vccz .LBB520_13
; %bb.12:                               ;   in Loop: Header=BB520_4 Depth=1
	s_and_not1_b32 vcc_lo, exec_lo, s27
	s_cbranch_vccnz .LBB520_3
	s_branch .LBB520_24
.LBB520_13:                             ;   in Loop: Header=BB520_4 Depth=1
	s_and_saveexec_b32 s27, s2
	s_cbranch_execz .LBB520_23
; %bb.14:                               ;   in Loop: Header=BB520_4 Depth=1
	v_lshl_add_u64 v[0:1], v[34:35], 3, s[24:25]
	s_delay_alu instid0(VALU_DEP_1)
	v_lshl_add_u64 v[2:3], v[32:33], 3, v[0:1]
	s_and_saveexec_b32 s37, s3
	s_cbranch_execnz .LBB520_17
; %bb.15:                               ;   in Loop: Header=BB520_4 Depth=1
	s_or_b32 exec_lo, exec_lo, s37
	s_and_saveexec_b32 s37, s4
	s_cbranch_execnz .LBB520_18
.LBB520_16:                             ;   in Loop: Header=BB520_4 Depth=1
	s_or_b32 exec_lo, exec_lo, s37
	s_delay_alu instid0(SALU_CYCLE_1)
	s_and_b32 exec_lo, exec_lo, s5
	s_cbranch_execnz .LBB520_19
	s_branch .LBB520_23
.LBB520_17:                             ;   in Loop: Header=BB520_4 Depth=1
	v_mov_b64_e32 v[4:5], s[22:23]
	v_mov_b64_e32 v[6:7], s[10:11]
	s_delay_alu instid0(VALU_DEP_2) | instskip(NEXT) | instid1(VALU_DEP_1)
	v_pk_mul_f32 v[4:5], v[50:51], v[4:5] op_sel:[1,0] op_sel_hi:[0,1]
	v_pk_fma_f32 v[8:9], v[50:51], v[6:7], v[4:5]
	v_pk_fma_f32 v[4:5], v[50:51], v[6:7], v[4:5] neg_lo:[0,0,1] neg_hi:[0,0,1]
	s_delay_alu instid0(VALU_DEP_2)
	v_mov_b32_e32 v5, v9
	global_store_b64 v[2:3], v[4:5], off
	s_wait_xcnt 0x0
	s_or_b32 exec_lo, exec_lo, s37
	s_and_saveexec_b32 s37, s4
	s_cbranch_execz .LBB520_16
.LBB520_18:                             ;   in Loop: Header=BB520_4 Depth=1
	v_mov_b64_e32 v[4:5], s[22:23]
	v_mov_b64_e32 v[6:7], s[10:11]
	s_delay_alu instid0(VALU_DEP_2) | instskip(NEXT) | instid1(VALU_DEP_1)
	v_pk_mul_f32 v[4:5], v[24:25], v[4:5] op_sel:[1,0] op_sel_hi:[0,1]
	v_pk_fma_f32 v[8:9], v[24:25], v[6:7], v[4:5]
	v_pk_fma_f32 v[4:5], v[24:25], v[6:7], v[4:5] neg_lo:[0,0,1] neg_hi:[0,0,1]
	s_delay_alu instid0(VALU_DEP_2) | instskip(SKIP_3) | instid1(SALU_CYCLE_1)
	v_mov_b32_e32 v5, v9
	global_store_b64 v[2:3], v[4:5], off offset:128
	s_wait_xcnt 0x0
	s_or_b32 exec_lo, exec_lo, s37
	s_and_b32 exec_lo, exec_lo, s5
	s_cbranch_execz .LBB520_23
.LBB520_19:                             ;   in Loop: Header=BB520_4 Depth=1
	v_lshl_add_u64 v[0:1], s[6:7], 3, v[0:1]
	s_delay_alu instid0(VALU_DEP_1)
	v_lshl_add_u64 v[0:1], v[32:33], 3, v[0:1]
	s_and_saveexec_b32 s37, s3
	s_cbranch_execz .LBB520_21
; %bb.20:                               ;   in Loop: Header=BB520_4 Depth=1
	v_mov_b64_e32 v[2:3], s[22:23]
	v_mov_b64_e32 v[4:5], s[10:11]
	s_delay_alu instid0(VALU_DEP_2) | instskip(NEXT) | instid1(VALU_DEP_1)
	v_pk_mul_f32 v[2:3], v[48:49], v[2:3] op_sel:[1,0] op_sel_hi:[0,1]
	v_pk_fma_f32 v[6:7], v[48:49], v[4:5], v[2:3]
	v_pk_fma_f32 v[2:3], v[48:49], v[4:5], v[2:3] neg_lo:[0,0,1] neg_hi:[0,0,1]
	s_delay_alu instid0(VALU_DEP_2)
	v_mov_b32_e32 v3, v7
	global_store_b64 v[0:1], v[2:3], off
.LBB520_21:                             ;   in Loop: Header=BB520_4 Depth=1
	s_wait_xcnt 0x0
	s_or_b32 exec_lo, exec_lo, s37
	s_delay_alu instid0(SALU_CYCLE_1)
	s_and_b32 exec_lo, exec_lo, s4
	s_cbranch_execz .LBB520_23
; %bb.22:                               ;   in Loop: Header=BB520_4 Depth=1
	v_mov_b64_e32 v[2:3], s[22:23]
	v_mov_b64_e32 v[4:5], s[10:11]
	s_delay_alu instid0(VALU_DEP_2) | instskip(NEXT) | instid1(VALU_DEP_1)
	v_pk_mul_f32 v[2:3], v[42:43], v[2:3] op_sel:[1,0] op_sel_hi:[0,1]
	v_pk_fma_f32 v[6:7], v[42:43], v[4:5], v[2:3]
	v_pk_fma_f32 v[2:3], v[42:43], v[4:5], v[2:3] neg_lo:[0,0,1] neg_hi:[0,0,1]
	s_delay_alu instid0(VALU_DEP_2)
	v_mov_b32_e32 v3, v7
	global_store_b64 v[0:1], v[2:3], off offset:128
.LBB520_23:                             ;   in Loop: Header=BB520_4 Depth=1
	s_wait_xcnt 0x0
	s_or_b32 exec_lo, exec_lo, s27
	s_cbranch_execnz .LBB520_3
.LBB520_24:                             ;   in Loop: Header=BB520_4 Depth=1
	s_and_saveexec_b32 s27, s2
	s_cbranch_execz .LBB520_2
; %bb.25:                               ;   in Loop: Header=BB520_4 Depth=1
	s_mul_u64 s[38:39], s[16:17], s[34:35]
	v_lshlrev_b64_e32 v[0:1], 3, v[32:33]
	v_lshl_add_u64 v[2:3], s[38:39], 3, v[36:37]
	v_lshl_add_u64 v[4:5], v[34:35], 3, s[24:25]
	s_delay_alu instid0(VALU_DEP_2) | instskip(NEXT) | instid1(VALU_DEP_2)
	v_add_nc_u64_e32 v[8:9], v[2:3], v[0:1]
	v_add_nc_u64_e32 v[6:7], v[4:5], v[0:1]
	s_and_saveexec_b32 s24, s3
	s_cbranch_execnz .LBB520_28
; %bb.26:                               ;   in Loop: Header=BB520_4 Depth=1
	s_or_b32 exec_lo, exec_lo, s24
	s_and_saveexec_b32 s24, s4
	s_cbranch_execnz .LBB520_29
.LBB520_27:                             ;   in Loop: Header=BB520_4 Depth=1
	s_or_b32 exec_lo, exec_lo, s24
	s_delay_alu instid0(SALU_CYCLE_1)
	s_and_b32 exec_lo, exec_lo, s5
	s_cbranch_execz .LBB520_2
	s_branch .LBB520_30
.LBB520_28:                             ;   in Loop: Header=BB520_4 Depth=1
	global_load_b64 v[10:11], v[8:9], off
	v_mov_b64_e32 v[12:13], s[22:23]
	v_mov_b64_e32 v[14:15], s[28:29]
	;; [unrolled: 1-line block ×4, first 2 shown]
	s_delay_alu instid0(VALU_DEP_4) | instskip(NEXT) | instid1(VALU_DEP_1)
	v_pk_mul_f32 v[12:13], v[50:51], v[12:13] op_sel:[1,0] op_sel_hi:[0,1]
	v_pk_fma_f32 v[20:21], v[50:51], v[16:17], v[12:13]
	v_pk_fma_f32 v[12:13], v[50:51], v[16:17], v[12:13] neg_lo:[0,0,1] neg_hi:[0,0,1]
	s_wait_loadcnt 0x0
	v_pk_mul_f32 v[14:15], v[10:11], v[14:15] op_sel:[1,0] op_sel_hi:[0,1]
	s_delay_alu instid0(VALU_DEP_1) | instskip(SKIP_1) | instid1(VALU_DEP_2)
	v_pk_fma_f32 v[22:23], v[10:11], v[18:19], v[14:15]
	v_pk_fma_f32 v[10:11], v[10:11], v[18:19], v[14:15] neg_lo:[0,0,1] neg_hi:[0,0,1]
	v_dual_mov_b32 v13, v21 :: v_dual_mov_b32 v11, v23
	s_delay_alu instid0(VALU_DEP_1)
	v_pk_add_f32 v[10:11], v[12:13], v[10:11]
	global_store_b64 v[6:7], v[10:11], off
	s_wait_xcnt 0x0
	s_or_b32 exec_lo, exec_lo, s24
	s_and_saveexec_b32 s24, s4
	s_cbranch_execz .LBB520_27
.LBB520_29:                             ;   in Loop: Header=BB520_4 Depth=1
	global_load_b64 v[8:9], v[8:9], off offset:128
	v_mov_b64_e32 v[10:11], s[22:23]
	v_mov_b64_e32 v[12:13], s[28:29]
	;; [unrolled: 1-line block ×4, first 2 shown]
	s_delay_alu instid0(VALU_DEP_4) | instskip(NEXT) | instid1(VALU_DEP_1)
	v_pk_mul_f32 v[10:11], v[24:25], v[10:11] op_sel:[1,0] op_sel_hi:[0,1]
	v_pk_fma_f32 v[18:19], v[24:25], v[14:15], v[10:11]
	v_pk_fma_f32 v[10:11], v[24:25], v[14:15], v[10:11] neg_lo:[0,0,1] neg_hi:[0,0,1]
	s_wait_loadcnt 0x0
	v_pk_mul_f32 v[12:13], v[8:9], v[12:13] op_sel:[1,0] op_sel_hi:[0,1]
	s_delay_alu instid0(VALU_DEP_1) | instskip(SKIP_2) | instid1(VALU_DEP_2)
	v_pk_fma_f32 v[20:21], v[8:9], v[16:17], v[12:13]
	s_wait_xcnt 0x0
	v_pk_fma_f32 v[8:9], v[8:9], v[16:17], v[12:13] neg_lo:[0,0,1] neg_hi:[0,0,1]
	v_dual_mov_b32 v11, v19 :: v_dual_mov_b32 v9, v21
	s_delay_alu instid0(VALU_DEP_1) | instskip(SKIP_3) | instid1(SALU_CYCLE_1)
	v_pk_add_f32 v[8:9], v[10:11], v[8:9]
	global_store_b64 v[6:7], v[8:9], off offset:128
	s_wait_xcnt 0x0
	s_or_b32 exec_lo, exec_lo, s24
	s_and_b32 exec_lo, exec_lo, s5
	s_cbranch_execz .LBB520_2
.LBB520_30:                             ;   in Loop: Header=BB520_4 Depth=1
	v_lshl_add_u64 v[2:3], s[12:13], 3, v[2:3]
	v_lshl_add_u64 v[4:5], s[6:7], 3, v[4:5]
	s_delay_alu instid0(VALU_DEP_2) | instskip(NEXT) | instid1(VALU_DEP_2)
	v_add_nc_u64_e32 v[2:3], v[2:3], v[0:1]
	v_add_nc_u64_e32 v[0:1], v[4:5], v[0:1]
	s_and_saveexec_b32 s24, s3
	s_cbranch_execz .LBB520_32
; %bb.31:                               ;   in Loop: Header=BB520_4 Depth=1
	global_load_b64 v[4:5], v[2:3], off
	v_mov_b64_e32 v[6:7], s[22:23]
	v_mov_b64_e32 v[8:9], s[28:29]
	;; [unrolled: 1-line block ×4, first 2 shown]
	s_delay_alu instid0(VALU_DEP_4) | instskip(NEXT) | instid1(VALU_DEP_1)
	v_pk_mul_f32 v[6:7], v[48:49], v[6:7] op_sel:[1,0] op_sel_hi:[0,1]
	v_pk_fma_f32 v[14:15], v[48:49], v[10:11], v[6:7]
	v_pk_fma_f32 v[6:7], v[48:49], v[10:11], v[6:7] neg_lo:[0,0,1] neg_hi:[0,0,1]
	s_wait_loadcnt 0x0
	v_pk_mul_f32 v[8:9], v[4:5], v[8:9] op_sel:[1,0] op_sel_hi:[0,1]
	s_delay_alu instid0(VALU_DEP_1) | instskip(SKIP_1) | instid1(VALU_DEP_2)
	v_pk_fma_f32 v[16:17], v[4:5], v[12:13], v[8:9]
	v_pk_fma_f32 v[4:5], v[4:5], v[12:13], v[8:9] neg_lo:[0,0,1] neg_hi:[0,0,1]
	v_dual_mov_b32 v7, v15 :: v_dual_mov_b32 v5, v17
	s_delay_alu instid0(VALU_DEP_1)
	v_pk_add_f32 v[4:5], v[6:7], v[4:5]
	global_store_b64 v[0:1], v[4:5], off
.LBB520_32:                             ;   in Loop: Header=BB520_4 Depth=1
	s_wait_xcnt 0x0
	s_or_b32 exec_lo, exec_lo, s24
	s_delay_alu instid0(SALU_CYCLE_1)
	s_and_b32 exec_lo, exec_lo, s4
	s_cbranch_execz .LBB520_2
; %bb.33:                               ;   in Loop: Header=BB520_4 Depth=1
	global_load_b64 v[2:3], v[2:3], off offset:128
	v_mov_b64_e32 v[4:5], s[22:23]
	v_mov_b64_e32 v[6:7], s[28:29]
	;; [unrolled: 1-line block ×4, first 2 shown]
	s_delay_alu instid0(VALU_DEP_4) | instskip(NEXT) | instid1(VALU_DEP_1)
	v_pk_mul_f32 v[4:5], v[42:43], v[4:5] op_sel:[1,0] op_sel_hi:[0,1]
	v_pk_fma_f32 v[12:13], v[42:43], v[8:9], v[4:5]
	v_pk_fma_f32 v[4:5], v[42:43], v[8:9], v[4:5] neg_lo:[0,0,1] neg_hi:[0,0,1]
	s_wait_loadcnt 0x0
	v_pk_mul_f32 v[6:7], v[2:3], v[6:7] op_sel:[1,0] op_sel_hi:[0,1]
	s_delay_alu instid0(VALU_DEP_1) | instskip(SKIP_2) | instid1(VALU_DEP_2)
	v_pk_fma_f32 v[14:15], v[2:3], v[10:11], v[6:7]
	s_wait_xcnt 0x0
	v_pk_fma_f32 v[2:3], v[2:3], v[10:11], v[6:7] neg_lo:[0,0,1] neg_hi:[0,0,1]
	v_dual_mov_b32 v5, v13 :: v_dual_mov_b32 v3, v15
	s_delay_alu instid0(VALU_DEP_1)
	v_pk_add_f32 v[2:3], v[4:5], v[2:3]
	global_store_b64 v[0:1], v[2:3], off offset:128
	s_branch .LBB520_2
.LBB520_34:
	s_sendmsg sendmsg(MSG_DEALLOC_VGPRS)
	s_endpgm
	.section	.rodata,"a",@progbits
	.p2align	6, 0x0
	.amdhsa_kernel _ZN12_GLOBAL__N_135rocblas_gemm_batched_general_kernelI19rocblas_complex_numIfELi16ELi16ELi32ELi32ELi8ELi32ELi8ELi8ELi32ELc84ELc78EKS2_S3_S2_EEvlllT_PT11_llS6_llS4_PT12_llPT13_lli
		.amdhsa_group_segment_fixed_size 4096
		.amdhsa_private_segment_fixed_size 0
		.amdhsa_kernarg_size 140
		.amdhsa_user_sgpr_count 2
		.amdhsa_user_sgpr_dispatch_ptr 0
		.amdhsa_user_sgpr_queue_ptr 0
		.amdhsa_user_sgpr_kernarg_segment_ptr 1
		.amdhsa_user_sgpr_dispatch_id 0
		.amdhsa_user_sgpr_kernarg_preload_length 0
		.amdhsa_user_sgpr_kernarg_preload_offset 0
		.amdhsa_user_sgpr_private_segment_size 0
		.amdhsa_wavefront_size32 1
		.amdhsa_uses_dynamic_stack 0
		.amdhsa_enable_private_segment 0
		.amdhsa_system_sgpr_workgroup_id_x 1
		.amdhsa_system_sgpr_workgroup_id_y 1
		.amdhsa_system_sgpr_workgroup_id_z 1
		.amdhsa_system_sgpr_workgroup_info 0
		.amdhsa_system_vgpr_workitem_id 1
		.amdhsa_next_free_vgpr 84
		.amdhsa_next_free_sgpr 44
		.amdhsa_named_barrier_count 0
		.amdhsa_reserve_vcc 1
		.amdhsa_float_round_mode_32 0
		.amdhsa_float_round_mode_16_64 0
		.amdhsa_float_denorm_mode_32 3
		.amdhsa_float_denorm_mode_16_64 3
		.amdhsa_fp16_overflow 0
		.amdhsa_memory_ordered 1
		.amdhsa_forward_progress 1
		.amdhsa_inst_pref_size 27
		.amdhsa_round_robin_scheduling 0
		.amdhsa_exception_fp_ieee_invalid_op 0
		.amdhsa_exception_fp_denorm_src 0
		.amdhsa_exception_fp_ieee_div_zero 0
		.amdhsa_exception_fp_ieee_overflow 0
		.amdhsa_exception_fp_ieee_underflow 0
		.amdhsa_exception_fp_ieee_inexact 0
		.amdhsa_exception_int_div_zero 0
	.end_amdhsa_kernel
	.section	.text._ZN12_GLOBAL__N_135rocblas_gemm_batched_general_kernelI19rocblas_complex_numIfELi16ELi16ELi32ELi32ELi8ELi32ELi8ELi8ELi32ELc84ELc78EKS2_S3_S2_EEvlllT_PT11_llS6_llS4_PT12_llPT13_lli,"axG",@progbits,_ZN12_GLOBAL__N_135rocblas_gemm_batched_general_kernelI19rocblas_complex_numIfELi16ELi16ELi32ELi32ELi8ELi32ELi8ELi8ELi32ELc84ELc78EKS2_S3_S2_EEvlllT_PT11_llS6_llS4_PT12_llPT13_lli,comdat
.Lfunc_end520:
	.size	_ZN12_GLOBAL__N_135rocblas_gemm_batched_general_kernelI19rocblas_complex_numIfELi16ELi16ELi32ELi32ELi8ELi32ELi8ELi8ELi32ELc84ELc78EKS2_S3_S2_EEvlllT_PT11_llS6_llS4_PT12_llPT13_lli, .Lfunc_end520-_ZN12_GLOBAL__N_135rocblas_gemm_batched_general_kernelI19rocblas_complex_numIfELi16ELi16ELi32ELi32ELi8ELi32ELi8ELi8ELi32ELc84ELc78EKS2_S3_S2_EEvlllT_PT11_llS6_llS4_PT12_llPT13_lli
                                        ; -- End function
	.set _ZN12_GLOBAL__N_135rocblas_gemm_batched_general_kernelI19rocblas_complex_numIfELi16ELi16ELi32ELi32ELi8ELi32ELi8ELi8ELi32ELc84ELc78EKS2_S3_S2_EEvlllT_PT11_llS6_llS4_PT12_llPT13_lli.num_vgpr, 84
	.set _ZN12_GLOBAL__N_135rocblas_gemm_batched_general_kernelI19rocblas_complex_numIfELi16ELi16ELi32ELi32ELi8ELi32ELi8ELi8ELi32ELc84ELc78EKS2_S3_S2_EEvlllT_PT11_llS6_llS4_PT12_llPT13_lli.num_agpr, 0
	.set _ZN12_GLOBAL__N_135rocblas_gemm_batched_general_kernelI19rocblas_complex_numIfELi16ELi16ELi32ELi32ELi8ELi32ELi8ELi8ELi32ELc84ELc78EKS2_S3_S2_EEvlllT_PT11_llS6_llS4_PT12_llPT13_lli.numbered_sgpr, 44
	.set _ZN12_GLOBAL__N_135rocblas_gemm_batched_general_kernelI19rocblas_complex_numIfELi16ELi16ELi32ELi32ELi8ELi32ELi8ELi8ELi32ELc84ELc78EKS2_S3_S2_EEvlllT_PT11_llS6_llS4_PT12_llPT13_lli.num_named_barrier, 0
	.set _ZN12_GLOBAL__N_135rocblas_gemm_batched_general_kernelI19rocblas_complex_numIfELi16ELi16ELi32ELi32ELi8ELi32ELi8ELi8ELi32ELc84ELc78EKS2_S3_S2_EEvlllT_PT11_llS6_llS4_PT12_llPT13_lli.private_seg_size, 0
	.set _ZN12_GLOBAL__N_135rocblas_gemm_batched_general_kernelI19rocblas_complex_numIfELi16ELi16ELi32ELi32ELi8ELi32ELi8ELi8ELi32ELc84ELc78EKS2_S3_S2_EEvlllT_PT11_llS6_llS4_PT12_llPT13_lli.uses_vcc, 1
	.set _ZN12_GLOBAL__N_135rocblas_gemm_batched_general_kernelI19rocblas_complex_numIfELi16ELi16ELi32ELi32ELi8ELi32ELi8ELi8ELi32ELc84ELc78EKS2_S3_S2_EEvlllT_PT11_llS6_llS4_PT12_llPT13_lli.uses_flat_scratch, 0
	.set _ZN12_GLOBAL__N_135rocblas_gemm_batched_general_kernelI19rocblas_complex_numIfELi16ELi16ELi32ELi32ELi8ELi32ELi8ELi8ELi32ELc84ELc78EKS2_S3_S2_EEvlllT_PT11_llS6_llS4_PT12_llPT13_lli.has_dyn_sized_stack, 0
	.set _ZN12_GLOBAL__N_135rocblas_gemm_batched_general_kernelI19rocblas_complex_numIfELi16ELi16ELi32ELi32ELi8ELi32ELi8ELi8ELi32ELc84ELc78EKS2_S3_S2_EEvlllT_PT11_llS6_llS4_PT12_llPT13_lli.has_recursion, 0
	.set _ZN12_GLOBAL__N_135rocblas_gemm_batched_general_kernelI19rocblas_complex_numIfELi16ELi16ELi32ELi32ELi8ELi32ELi8ELi8ELi32ELc84ELc78EKS2_S3_S2_EEvlllT_PT11_llS6_llS4_PT12_llPT13_lli.has_indirect_call, 0
	.section	.AMDGPU.csdata,"",@progbits
; Kernel info:
; codeLenInByte = 3360
; TotalNumSgprs: 46
; NumVgprs: 84
; ScratchSize: 0
; MemoryBound: 0
; FloatMode: 240
; IeeeMode: 1
; LDSByteSize: 4096 bytes/workgroup (compile time only)
; SGPRBlocks: 0
; VGPRBlocks: 5
; NumSGPRsForWavesPerEU: 46
; NumVGPRsForWavesPerEU: 84
; NamedBarCnt: 0
; Occupancy: 10
; WaveLimiterHint : 0
; COMPUTE_PGM_RSRC2:SCRATCH_EN: 0
; COMPUTE_PGM_RSRC2:USER_SGPR: 2
; COMPUTE_PGM_RSRC2:TRAP_HANDLER: 0
; COMPUTE_PGM_RSRC2:TGID_X_EN: 1
; COMPUTE_PGM_RSRC2:TGID_Y_EN: 1
; COMPUTE_PGM_RSRC2:TGID_Z_EN: 1
; COMPUTE_PGM_RSRC2:TIDIG_COMP_CNT: 1
	.section	.text._ZN12_GLOBAL__N_135rocblas_gemm_batched_general_kernelI19rocblas_complex_numIfELi16ELi16ELi32ELi32ELi8ELi32ELi8ELi8ELi32ELc78ELc84EKS2_S3_S2_EEvlllT_PT11_llS6_llS4_PT12_llPT13_lli,"axG",@progbits,_ZN12_GLOBAL__N_135rocblas_gemm_batched_general_kernelI19rocblas_complex_numIfELi16ELi16ELi32ELi32ELi8ELi32ELi8ELi8ELi32ELc78ELc84EKS2_S3_S2_EEvlllT_PT11_llS6_llS4_PT12_llPT13_lli,comdat
	.globl	_ZN12_GLOBAL__N_135rocblas_gemm_batched_general_kernelI19rocblas_complex_numIfELi16ELi16ELi32ELi32ELi8ELi32ELi8ELi8ELi32ELc78ELc84EKS2_S3_S2_EEvlllT_PT11_llS6_llS4_PT12_llPT13_lli ; -- Begin function _ZN12_GLOBAL__N_135rocblas_gemm_batched_general_kernelI19rocblas_complex_numIfELi16ELi16ELi32ELi32ELi8ELi32ELi8ELi8ELi32ELc78ELc84EKS2_S3_S2_EEvlllT_PT11_llS6_llS4_PT12_llPT13_lli
	.p2align	8
	.type	_ZN12_GLOBAL__N_135rocblas_gemm_batched_general_kernelI19rocblas_complex_numIfELi16ELi16ELi32ELi32ELi8ELi32ELi8ELi8ELi32ELc78ELc84EKS2_S3_S2_EEvlllT_PT11_llS6_llS4_PT12_llPT13_lli,@function
_ZN12_GLOBAL__N_135rocblas_gemm_batched_general_kernelI19rocblas_complex_numIfELi16ELi16ELi32ELi32ELi8ELi32ELi8ELi8ELi32ELc78ELc84EKS2_S3_S2_EEvlllT_PT11_llS6_llS4_PT12_llPT13_lli: ; @_ZN12_GLOBAL__N_135rocblas_gemm_batched_general_kernelI19rocblas_complex_numIfELi16ELi16ELi32ELi32ELi8ELi32ELi8ELi8ELi32ELc78ELc84EKS2_S3_S2_EEvlllT_PT11_llS6_llS4_PT12_llPT13_lli
; %bb.0:
	s_load_b32 s33, s[0:1], 0x88
	s_bfe_u32 s2, ttmp6, 0x40014
	s_lshr_b32 s3, ttmp7, 16
	s_add_co_i32 s2, s2, 1
	s_bfe_u32 s5, ttmp6, 0x40008
	s_mul_i32 s4, s3, s2
	s_getreg_b32 s2, hwreg(HW_REG_IB_STS2, 6, 4)
	s_add_co_i32 s5, s5, s4
	s_cmp_eq_u32 s2, 0
	s_mov_b32 s35, 0
	s_cselect_b32 s34, s3, s5
	s_wait_kmcnt 0x0
	s_cmp_ge_i32 s34, s33
	s_cbranch_scc1 .LBB521_34
; %bb.1:
	s_clause 0x3
	s_load_b256 s[20:27], s[0:1], 0x20
	s_load_b128 s[28:31], s[0:1], 0x78
	s_load_b128 s[36:39], s[0:1], 0x40
	s_load_b64 s[40:41], s[0:1], 0x50
	v_bfe_u32 v2, v0, 10, 10
	v_and_b32_e32 v4, 0x3ff, v0
	s_clause 0x1
	s_load_b256 s[4:11], s[0:1], 0x0
	s_load_b256 s[12:19], s[0:1], 0x58
	s_wait_xcnt 0x0
	s_bfe_u32 s0, ttmp6, 0x4000c
	s_bfe_u32 s3, ttmp6, 0x40010
	v_lshl_add_u32 v15, v2, 4, v4
	v_mov_b32_e32 v3, 0
	s_add_co_i32 s0, s0, 1
	s_and_b32 s42, ttmp7, 0xffff
	s_add_co_i32 s3, s3, 1
	s_and_b32 s1, ttmp6, 15
	s_mul_i32 s0, ttmp9, s0
	s_mul_i32 s3, s42, s3
	s_bfe_u32 s43, ttmp6, 0x40004
	v_dual_mov_b32 v5, v3 :: v_dual_bitop2_b32 v14, 31, v15 bitop3:0x40
	v_dual_mov_b32 v29, v3 :: v_dual_lshrrev_b32 v28, 5, v15
	v_and_b32_e32 v30, 7, v0
	s_add_co_i32 s1, s1, s0
	s_add_co_i32 s43, s43, s3
	v_dual_mov_b32 v31, v3 :: v_dual_lshrrev_b32 v0, 3, v15
	s_cmp_eq_u32 s2, 0
	s_wait_kmcnt 0x0
	v_mul_u64_e32 v[12:13], s[22:23], v[28:29]
	s_cselect_b32 s46, ttmp9, s1
	s_cselect_b32 s45, s42, s43
	s_ashr_i32 s47, s46, 31
	v_mul_u64_e32 v[8:9], s[36:37], v[30:31]
	s_lshl_b64 s[2:3], s[46:47], 5
	s_delay_alu instid0(SALU_CYCLE_1)
	v_dual_mov_b32 v1, v3 :: v_dual_bitop2_b32 v6, s2, v14 bitop3:0x54
	s_lshl_b32 s0, s45, 5
	s_mov_b32 s1, s35
	v_mov_b32_e32 v7, s3
	v_add_nc_u64_e32 v[16:17], s[0:1], v[2:3]
	v_add_nc_u64_e32 v[10:11], s[0:1], v[0:1]
	v_lshlrev_b32_e32 v1, 3, v30
	v_add_nc_u64_e32 v[32:33], s[2:3], v[4:5]
	v_cmp_gt_i64_e64 s0, s[4:5], v[6:7]
	v_dual_lshlrev_b32 v14, 3, v14 :: v_dual_lshlrev_b32 v54, 3, v4
	s_delay_alu instid0(VALU_DEP_4)
	v_lshl_or_b32 v6, v0, 6, v1
	v_mul_u64_e32 v[0:1], s[14:15], v[16:17]
	v_mul_u64_e32 v[34:35], s[28:29], v[16:17]
	v_add_nc_u64_e32 v[4:5], 16, v[32:33]
	s_or_b32 s2, s40, s41
	v_cmp_gt_i64_e64 s3, s[4:5], v[32:33]
	s_bitset0_b32 s2, 31
	s_mov_b32 s49, s35
	s_cmp_eq_u32 s2, 0
	v_add_nc_u32_e32 v53, 0x800, v6
	s_cselect_b32 s44, -1, 0
	v_cmp_gt_i64_e64 s4, s[4:5], v[4:5]
	v_add_nc_u64_e32 v[4:5], 16, v[16:17]
	s_lshl_b32 s48, s45, 8
	s_lshl_b64 s[46:47], s[46:47], 8
	v_lshl_add_u32 v55, v2, 6, 0x800
	v_and_b32_e32 v2, 0x1ff8, v15
	v_mov_b32_e32 v15, v3
	v_lshl_add_u64 v[6:7], v[8:9], 3, s[48:49]
	v_lshl_add_u64 v[8:9], v[12:13], 3, s[46:47]
	v_cmp_gt_i64_e64 s5, s[6:7], v[4:5]
	v_cmp_gt_i64_e64 s1, s[6:7], v[10:11]
	;; [unrolled: 1-line block ×3, first 2 shown]
	v_add_nc_u64_e32 v[2:3], v[6:7], v[2:3]
	v_add_nc_u64_e32 v[4:5], v[8:9], v[14:15]
	v_lshl_or_b32 v52, v28, 8, v14
	s_mov_b32 s42, s11
	s_mov_b32 s43, s11
	;; [unrolled: 1-line block ×3, first 2 shown]
	s_lshl_b64 s[6:7], s[28:29], 4
	v_add_nc_u64_e32 v[38:39], s[26:27], v[2:3]
	v_add_nc_u64_e32 v[40:41], s[20:21], v[4:5]
	s_mov_b32 s28, s41
	v_lshl_add_u64 v[36:37], v[0:1], 3, s[12:13]
	s_lshl_b64 s[12:13], s[38:39], 3
	v_cmp_gt_i64_e64 s38, s[8:9], 0
	s_mov_b32 s29, s41
	s_mov_b32 s41, s40
	s_lshl_b64 s[14:15], s[14:15], 4
	s_lshl_b64 s[20:21], s[36:37], 6
	;; [unrolled: 1-line block ×4, first 2 shown]
	s_branch .LBB521_4
.LBB521_2:                              ;   in Loop: Header=BB521_4 Depth=1
	s_wait_xcnt 0x0
	s_or_b32 exec_lo, exec_lo, s36
.LBB521_3:                              ;   in Loop: Header=BB521_4 Depth=1
	s_add_co_i32 s34, s34, 0x10000
	s_delay_alu instid0(SALU_CYCLE_1)
	s_cmp_lt_i32 s34, s33
	s_cbranch_scc0 .LBB521_34
.LBB521_4:                              ; =>This Loop Header: Depth=1
                                        ;     Child Loop BB521_7 Depth 2
	v_dual_mov_b32 v51, 0 :: v_dual_mov_b32 v50, 0
	v_dual_mov_b32 v25, 0 :: v_dual_mov_b32 v24, 0
	v_dual_mov_b32 v49, 0 :: v_dual_mov_b32 v48, 0
	v_dual_mov_b32 v43, 0 :: v_dual_mov_b32 v42, 0
	s_and_not1_b32 vcc_lo, exec_lo, s38
	s_cbranch_vccnz .LBB521_11
; %bb.5:                                ;   in Loop: Header=BB521_4 Depth=1
	v_mad_nc_u64_u32 v[44:45], s12, s34, v[38:39]
	v_mad_nc_u64_u32 v[46:47], s24, s34, v[40:41]
	v_mov_b32_e32 v42, 0
	s_mov_b64 s[26:27], 0
	s_delay_alu instid0(VALU_DEP_1)
	v_dual_mov_b32 v43, v42 :: v_dual_mov_b32 v48, v42
	v_dual_mov_b32 v49, v42 :: v_dual_mov_b32 v24, v42
	v_mad_u32 v45, s13, s34, v45
	v_mad_u32 v47, s25, s34, v47
	v_dual_mov_b32 v25, v42 :: v_dual_mov_b32 v50, v42
	v_mov_b32_e32 v51, v42
	s_branch .LBB521_7
.LBB521_6:                              ;   in Loop: Header=BB521_7 Depth=2
	s_wait_xcnt 0x0
	s_or_b32 exec_lo, exec_lo, s36
	s_wait_loadcnt 0x0
	ds_store_b64 v53, v[0:1]
	s_wait_dscnt 0x0
	s_barrier_signal -1
	s_barrier_wait -1
	ds_load_2addr_b64 v[56:59], v54 offset1:16
	ds_load_b128 v[60:63], v55
	ds_load_2addr_b64 v[20:23], v54 offset0:32 offset1:48
	ds_load_2addr_b64 v[16:19], v54 offset0:64 offset1:80
	ds_load_b128 v[64:67], v55 offset:16
	ds_load_2addr_b64 v[12:15], v54 offset0:96 offset1:112
	ds_load_2addr_b64 v[8:11], v54 offset0:128 offset1:144
	ds_load_b128 v[68:71], v55 offset:32
	ds_load_2addr_b64 v[4:7], v54 offset0:160 offset1:176
	ds_load_2addr_b64 v[0:3], v54 offset0:192 offset1:208
	s_add_nc_u64 s[26:27], s[26:27], 8
	v_add_nc_u64_e32 v[44:45], s[20:21], v[44:45]
	v_cmp_lt_i64_e64 s36, s[26:27], s[8:9]
	v_add_nc_u64_e32 v[46:47], s[22:23], v[46:47]
	s_and_b32 vcc_lo, exec_lo, s36
	s_wait_dscnt 0x8
	v_pk_mul_f32 v[26:27], v[60:61], v[56:57] op_sel:[0,1]
	s_wait_dscnt 0x7
	v_pk_mul_f32 v[72:73], v[62:63], v[20:21] op_sel:[0,1]
	;; [unrolled: 2-line block ×4, first 2 shown]
	v_pk_fma_f32 v[78:79], v[60:61], v[56:57], v[26:27] op_sel:[0,0,1] op_sel_hi:[1,0,0]
	v_pk_fma_f32 v[82:83], v[62:63], v[20:21], v[72:73] op_sel:[0,0,1] op_sel_hi:[1,0,0]
	v_pk_fma_f32 v[26:27], v[60:61], v[56:57], v[26:27] op_sel:[0,0,1] op_sel_hi:[1,1,0] neg_lo:[0,0,1] neg_hi:[0,0,1]
	v_pk_fma_f32 v[72:73], v[62:63], v[20:21], v[72:73] op_sel:[0,0,1] op_sel_hi:[1,1,0] neg_lo:[0,0,1] neg_hi:[0,0,1]
	s_wait_dscnt 0x2
	v_pk_mul_f32 v[80:81], v[68:69], v[8:9] op_sel:[0,1]
	v_dual_mov_b32 v27, v79 :: v_dual_mov_b32 v73, v83
	v_pk_fma_f32 v[78:79], v[64:65], v[16:17], v[74:75] op_sel:[0,0,1] op_sel_hi:[1,0,0]
	v_pk_fma_f32 v[82:83], v[66:67], v[12:13], v[76:77] op_sel:[0,0,1] op_sel_hi:[1,0,0]
	v_pk_fma_f32 v[74:75], v[64:65], v[16:17], v[74:75] op_sel:[0,0,1] op_sel_hi:[1,1,0] neg_lo:[0,0,1] neg_hi:[0,0,1]
	v_pk_fma_f32 v[76:77], v[66:67], v[12:13], v[76:77] op_sel:[0,0,1] op_sel_hi:[1,1,0] neg_lo:[0,0,1] neg_hi:[0,0,1]
	v_pk_add_f32 v[26:27], v[50:51], v[26:27]
	s_delay_alu instid0(VALU_DEP_4)
	v_dual_mov_b32 v75, v79 :: v_dual_mov_b32 v77, v83
	v_pk_fma_f32 v[78:79], v[68:69], v[8:9], v[80:81] op_sel:[0,0,1] op_sel_hi:[1,0,0]
	v_pk_mul_f32 v[82:83], v[60:61], v[58:59] op_sel:[0,1]
	v_pk_fma_f32 v[80:81], v[68:69], v[8:9], v[80:81] op_sel:[0,0,1] op_sel_hi:[1,1,0] neg_lo:[0,0,1] neg_hi:[0,0,1]
	v_pk_mul_f32 v[50:51], v[62:63], v[22:23] op_sel:[0,1]
	v_pk_add_f32 v[26:27], v[26:27], v[72:73]
	v_mov_b32_e32 v81, v79
	v_pk_fma_f32 v[78:79], v[60:61], v[58:59], v[82:83] op_sel:[0,0,1] op_sel_hi:[1,1,0] neg_lo:[0,0,1] neg_hi:[0,0,1]
	v_pk_fma_f32 v[82:83], v[60:61], v[58:59], v[82:83] op_sel:[0,0,1] op_sel_hi:[1,0,0]
	v_pk_fma_f32 v[72:73], v[62:63], v[22:23], v[50:51] op_sel:[0,0,1] op_sel_hi:[1,1,0] neg_lo:[0,0,1] neg_hi:[0,0,1]
	v_pk_fma_f32 v[50:51], v[62:63], v[22:23], v[50:51] op_sel:[0,0,1] op_sel_hi:[1,0,0]
	ds_load_b128 v[60:63], v55 offset:48
	v_pk_add_f32 v[26:27], v[26:27], v[74:75]
	s_wait_dscnt 0x2
	v_pk_mul_f32 v[74:75], v[70:71], v[4:5] op_sel:[0,1]
	v_mov_b32_e32 v79, v83
	v_pk_mul_f32 v[82:83], v[64:65], v[18:19] op_sel:[0,1]
	v_mov_b32_e32 v73, v51
	v_pk_add_f32 v[76:77], v[26:27], v[76:77]
	v_pk_fma_f32 v[50:51], v[70:71], v[4:5], v[74:75] op_sel:[0,0,1] op_sel_hi:[1,0,0]
	v_pk_add_f32 v[78:79], v[24:25], v[78:79]
	v_pk_fma_f32 v[74:75], v[70:71], v[4:5], v[74:75] op_sel:[0,0,1] op_sel_hi:[1,1,0] neg_lo:[0,0,1] neg_hi:[0,0,1]
	ds_load_2addr_b64 v[24:27], v54 offset0:224 offset1:240
	v_mov_b32_e32 v75, v51
	v_pk_add_f32 v[50:51], v[76:77], v[80:81]
	v_pk_fma_f32 v[76:77], v[64:65], v[18:19], v[82:83] op_sel:[0,0,1] op_sel_hi:[1,0,0]
	v_pk_add_f32 v[72:73], v[78:79], v[72:73]
	v_pk_mul_f32 v[78:79], v[66:67], v[14:15] op_sel:[0,1]
	v_pk_fma_f32 v[64:65], v[64:65], v[18:19], v[82:83] op_sel:[0,0,1] op_sel_hi:[1,1,0] neg_lo:[0,0,1] neg_hi:[0,0,1]
	v_pk_add_f32 v[50:51], v[50:51], v[74:75]
	v_mov_b32_e32 v65, v77
	v_pk_mul_f32 v[82:83], v[68:69], v[10:11] op_sel:[0,1]
	v_pk_fma_f32 v[76:77], v[66:67], v[14:15], v[78:79] op_sel:[0,0,1] op_sel_hi:[1,0,0]
	v_pk_fma_f32 v[78:79], v[66:67], v[14:15], v[78:79] op_sel:[0,0,1] op_sel_hi:[1,1,0] neg_lo:[0,0,1] neg_hi:[0,0,1]
	s_delay_alu instid0(VALU_DEP_2)
	v_mov_b32_e32 v79, v77
	v_pk_add_f32 v[72:73], v[72:73], v[64:65]
	ds_load_b128 v[64:67], v55 offset:1024
	s_wait_dscnt 0x2
	v_pk_mul_f32 v[80:81], v[60:61], v[0:1] op_sel:[0,1]
	v_pk_add_f32 v[72:73], v[72:73], v[78:79]
	v_pk_mul_f32 v[78:79], v[70:71], v[6:7] op_sel:[0,1]
	s_delay_alu instid0(VALU_DEP_3) | instskip(SKIP_3) | instid1(VALU_DEP_3)
	v_pk_fma_f32 v[74:75], v[60:61], v[0:1], v[80:81] op_sel:[0,0,1] op_sel_hi:[1,0,0]
	v_pk_fma_f32 v[76:77], v[60:61], v[0:1], v[80:81] op_sel:[0,0,1] op_sel_hi:[1,1,0] neg_lo:[0,0,1] neg_hi:[0,0,1]
	s_wait_dscnt 0x1
	v_pk_mul_f32 v[80:81], v[62:63], v[24:25] op_sel:[0,1]
	v_mov_b32_e32 v77, v75
	v_pk_fma_f32 v[74:75], v[68:69], v[10:11], v[82:83] op_sel:[0,0,1] op_sel_hi:[1,0,0]
	v_pk_fma_f32 v[68:69], v[68:69], v[10:11], v[82:83] op_sel:[0,0,1] op_sel_hi:[1,1,0] neg_lo:[0,0,1] neg_hi:[0,0,1]
	s_delay_alu instid0(VALU_DEP_2)
	v_mov_b32_e32 v69, v75
	v_pk_fma_f32 v[74:75], v[62:63], v[24:25], v[80:81] op_sel:[0,0,1] op_sel_hi:[1,0,0]
	v_pk_fma_f32 v[80:81], v[62:63], v[24:25], v[80:81] op_sel:[0,0,1] op_sel_hi:[1,1,0] neg_lo:[0,0,1] neg_hi:[0,0,1]
	v_pk_add_f32 v[50:51], v[50:51], v[76:77]
	v_pk_fma_f32 v[76:77], v[70:71], v[6:7], v[78:79] op_sel:[0,0,1] op_sel_hi:[1,0,0]
	v_pk_add_f32 v[72:73], v[72:73], v[68:69]
	v_mov_b32_e32 v81, v75
	v_pk_fma_f32 v[74:75], v[70:71], v[6:7], v[78:79] op_sel:[0,0,1] op_sel_hi:[1,1,0] neg_lo:[0,0,1] neg_hi:[0,0,1]
	ds_load_b128 v[68:71], v55 offset:1040
	v_mov_b32_e32 v75, v77
	s_wait_dscnt 0x1
	v_pk_mul_f32 v[76:77], v[64:65], v[56:57] op_sel:[0,1]
	v_pk_mul_f32 v[78:79], v[60:61], v[2:3] op_sel:[0,1]
	v_pk_add_f32 v[50:51], v[50:51], v[80:81]
	v_pk_add_f32 v[72:73], v[72:73], v[74:75]
	s_delay_alu instid0(VALU_DEP_4) | instskip(NEXT) | instid1(VALU_DEP_4)
	v_pk_fma_f32 v[74:75], v[64:65], v[56:57], v[76:77] op_sel:[0,0,1] op_sel_hi:[1,0,0]
	v_pk_fma_f32 v[80:81], v[60:61], v[2:3], v[78:79] op_sel:[0,0,1] op_sel_hi:[1,1,0] neg_lo:[0,0,1] neg_hi:[0,0,1]
	v_pk_fma_f32 v[60:61], v[60:61], v[2:3], v[78:79] op_sel:[0,0,1] op_sel_hi:[1,0,0]
	v_pk_mul_f32 v[78:79], v[66:67], v[20:21] op_sel:[0,1]
	v_pk_fma_f32 v[56:57], v[64:65], v[56:57], v[76:77] op_sel:[0,0,1] op_sel_hi:[1,1,0] neg_lo:[0,0,1] neg_hi:[0,0,1]
	v_mov_b32_e32 v57, v75
	v_pk_mul_f32 v[74:75], v[62:63], v[26:27] op_sel:[0,1]
	v_mov_b32_e32 v81, v61
	v_pk_fma_f32 v[60:61], v[66:67], v[20:21], v[78:79] op_sel:[0,0,1] op_sel_hi:[1,0,0]
	v_pk_fma_f32 v[20:21], v[66:67], v[20:21], v[78:79] op_sel:[0,0,1] op_sel_hi:[1,1,0] neg_lo:[0,0,1] neg_hi:[0,0,1]
	v_pk_add_f32 v[48:49], v[48:49], v[56:57]
	v_pk_fma_f32 v[76:77], v[62:63], v[26:27], v[74:75] op_sel:[0,0,1] op_sel_hi:[1,1,0] neg_lo:[0,0,1] neg_hi:[0,0,1]
	v_pk_fma_f32 v[74:75], v[62:63], v[26:27], v[74:75] op_sel:[0,0,1] op_sel_hi:[1,0,0]
	v_mov_b32_e32 v21, v61
	ds_load_b128 v[60:63], v55 offset:1056
	s_wait_dscnt 0x1
	v_pk_mul_f32 v[56:57], v[68:69], v[16:17] op_sel:[0,1]
	v_mov_b32_e32 v77, v75
	v_pk_add_f32 v[20:21], v[48:49], v[20:21]
	s_delay_alu instid0(VALU_DEP_3) | instskip(SKIP_2) | instid1(VALU_DEP_3)
	v_pk_fma_f32 v[48:49], v[68:69], v[16:17], v[56:57] op_sel:[0,0,1] op_sel_hi:[1,0,0]
	v_pk_fma_f32 v[16:17], v[68:69], v[16:17], v[56:57] op_sel:[0,0,1] op_sel_hi:[1,1,0] neg_lo:[0,0,1] neg_hi:[0,0,1]
	v_pk_mul_f32 v[56:57], v[64:65], v[58:59] op_sel:[0,1]
	v_mov_b32_e32 v17, v49
	v_pk_mul_f32 v[48:49], v[70:71], v[12:13] op_sel:[0,1]
	s_delay_alu instid0(VALU_DEP_2) | instskip(NEXT) | instid1(VALU_DEP_2)
	v_pk_add_f32 v[16:17], v[20:21], v[16:17]
	v_pk_fma_f32 v[20:21], v[70:71], v[12:13], v[48:49] op_sel:[0,0,1] op_sel_hi:[1,0,0]
	v_pk_fma_f32 v[12:13], v[70:71], v[12:13], v[48:49] op_sel:[0,0,1] op_sel_hi:[1,1,0] neg_lo:[0,0,1] neg_hi:[0,0,1]
	v_pk_add_f32 v[48:49], v[72:73], v[80:81]
	s_delay_alu instid0(VALU_DEP_3) | instskip(SKIP_2) | instid1(VALU_DEP_2)
	v_mov_b32_e32 v13, v21
	s_wait_dscnt 0x0
	v_pk_mul_f32 v[20:21], v[60:61], v[8:9] op_sel:[0,1]
	v_pk_add_f32 v[12:13], v[16:17], v[12:13]
	s_delay_alu instid0(VALU_DEP_2) | instskip(SKIP_2) | instid1(VALU_DEP_3)
	v_pk_fma_f32 v[16:17], v[60:61], v[8:9], v[20:21] op_sel:[0,0,1] op_sel_hi:[1,0,0]
	v_pk_fma_f32 v[8:9], v[60:61], v[8:9], v[20:21] op_sel:[0,0,1] op_sel_hi:[1,1,0] neg_lo:[0,0,1] neg_hi:[0,0,1]
	v_pk_fma_f32 v[20:21], v[64:65], v[58:59], v[56:57] op_sel:[0,0,1] op_sel_hi:[1,1,0] neg_lo:[0,0,1] neg_hi:[0,0,1]
	v_mov_b32_e32 v9, v17
	v_pk_fma_f32 v[16:17], v[64:65], v[58:59], v[56:57] op_sel:[0,0,1] op_sel_hi:[1,0,0]
	ds_load_b128 v[56:59], v55 offset:1072
	s_wait_dscnt 0x0
	s_barrier_signal -1
	v_pk_add_f32 v[8:9], v[12:13], v[8:9]
	v_mov_b32_e32 v21, v17
	v_pk_mul_f32 v[16:17], v[66:67], v[22:23] op_sel:[0,1]
	v_pk_mul_f32 v[12:13], v[62:63], v[4:5] op_sel:[0,1]
	s_barrier_wait -1
	s_delay_alu instid0(VALU_DEP_3) | instskip(NEXT) | instid1(VALU_DEP_3)
	v_pk_add_f32 v[20:21], v[42:43], v[20:21]
	v_pk_fma_f32 v[64:65], v[66:67], v[22:23], v[16:17] op_sel:[0,0,1] op_sel_hi:[1,0,0]
	v_pk_mul_f32 v[42:43], v[68:69], v[18:19] op_sel:[0,1]
	v_pk_fma_f32 v[16:17], v[66:67], v[22:23], v[16:17] op_sel:[0,0,1] op_sel_hi:[1,1,0] neg_lo:[0,0,1] neg_hi:[0,0,1]
	v_pk_fma_f32 v[22:23], v[62:63], v[4:5], v[12:13] op_sel:[0,0,1] op_sel_hi:[1,1,0] neg_lo:[0,0,1] neg_hi:[0,0,1]
	v_pk_fma_f32 v[4:5], v[62:63], v[4:5], v[12:13] op_sel:[0,0,1] op_sel_hi:[1,0,0]
	v_mov_b32_e32 v17, v65
	v_pk_fma_f32 v[64:65], v[68:69], v[18:19], v[42:43] op_sel:[0,0,1] op_sel_hi:[1,0,0]
	v_pk_mul_f32 v[12:13], v[70:71], v[14:15] op_sel:[0,1]
	v_pk_fma_f32 v[18:19], v[68:69], v[18:19], v[42:43] op_sel:[0,0,1] op_sel_hi:[1,1,0] neg_lo:[0,0,1] neg_hi:[0,0,1]
	v_mov_b32_e32 v23, v5
	v_pk_mul_f32 v[42:43], v[60:61], v[10:11] op_sel:[0,1]
	v_mov_b32_e32 v19, v65
	v_pk_add_f32 v[16:17], v[20:21], v[16:17]
	v_pk_fma_f32 v[4:5], v[70:71], v[14:15], v[12:13] op_sel:[0,0,1] op_sel_hi:[1,0,0]
	v_pk_fma_f32 v[12:13], v[70:71], v[14:15], v[12:13] op_sel:[0,0,1] op_sel_hi:[1,1,0] neg_lo:[0,0,1] neg_hi:[0,0,1]
	v_pk_mul_f32 v[20:21], v[56:57], v[0:1] op_sel:[0,1]
	s_delay_alu instid0(VALU_DEP_4) | instskip(NEXT) | instid1(VALU_DEP_4)
	v_pk_add_f32 v[16:17], v[16:17], v[18:19]
	v_mov_b32_e32 v13, v5
	v_pk_add_f32 v[4:5], v[8:9], v[22:23]
	v_pk_fma_f32 v[8:9], v[60:61], v[10:11], v[42:43] op_sel:[0,0,1] op_sel_hi:[1,0,0]
	v_pk_mul_f32 v[18:19], v[62:63], v[6:7] op_sel:[0,1]
	v_pk_fma_f32 v[10:11], v[60:61], v[10:11], v[42:43] op_sel:[0,0,1] op_sel_hi:[1,1,0] neg_lo:[0,0,1] neg_hi:[0,0,1]
	v_pk_fma_f32 v[14:15], v[56:57], v[0:1], v[20:21] op_sel:[0,0,1] op_sel_hi:[1,1,0] neg_lo:[0,0,1] neg_hi:[0,0,1]
	v_pk_add_f32 v[12:13], v[16:17], v[12:13]
	v_mov_b32_e32 v11, v9
	v_pk_fma_f32 v[0:1], v[56:57], v[0:1], v[20:21] op_sel:[0,0,1] op_sel_hi:[1,0,0]
	v_pk_fma_f32 v[8:9], v[62:63], v[6:7], v[18:19] op_sel:[0,0,1] op_sel_hi:[1,0,0]
	v_pk_mul_f32 v[20:21], v[56:57], v[2:3] op_sel:[0,1]
	v_pk_fma_f32 v[6:7], v[62:63], v[6:7], v[18:19] op_sel:[0,0,1] op_sel_hi:[1,1,0] neg_lo:[0,0,1] neg_hi:[0,0,1]
	v_pk_mul_f32 v[16:17], v[58:59], v[24:25] op_sel:[0,1]
	s_delay_alu instid0(VALU_DEP_4)
	v_dual_mov_b32 v15, v1 :: v_dual_mov_b32 v7, v9
	v_pk_add_f32 v[10:11], v[12:13], v[10:11]
	v_pk_fma_f32 v[0:1], v[56:57], v[2:3], v[20:21] op_sel:[0,0,1] op_sel_hi:[1,0,0]
	v_pk_mul_f32 v[12:13], v[58:59], v[26:27] op_sel:[0,1]
	v_pk_fma_f32 v[2:3], v[56:57], v[2:3], v[20:21] op_sel:[0,0,1] op_sel_hi:[1,1,0] neg_lo:[0,0,1] neg_hi:[0,0,1]
	v_pk_fma_f32 v[8:9], v[58:59], v[24:25], v[16:17] op_sel:[0,0,1] op_sel_hi:[1,0,0]
	v_pk_add_f32 v[6:7], v[10:11], v[6:7]
	v_mov_b32_e32 v3, v1
	v_pk_add_f32 v[0:1], v[4:5], v[14:15]
	v_pk_fma_f32 v[4:5], v[58:59], v[26:27], v[12:13] op_sel:[0,0,1] op_sel_hi:[1,0,0]
	v_pk_fma_f32 v[10:11], v[58:59], v[24:25], v[16:17] op_sel:[0,0,1] op_sel_hi:[1,1,0] neg_lo:[0,0,1] neg_hi:[0,0,1]
	v_mov_b32_e32 v11, v9
	v_pk_add_f32 v[2:3], v[6:7], v[2:3]
	v_pk_fma_f32 v[6:7], v[58:59], v[26:27], v[12:13] op_sel:[0,0,1] op_sel_hi:[1,1,0] neg_lo:[0,0,1] neg_hi:[0,0,1]
	v_mov_b32_e32 v7, v5
	v_pk_add_f32 v[24:25], v[48:49], v[76:77]
	v_pk_add_f32 v[48:49], v[0:1], v[10:11]
	s_delay_alu instid0(VALU_DEP_3)
	v_pk_add_f32 v[42:43], v[2:3], v[6:7]
	s_cbranch_vccz .LBB521_11
.LBB521_7:                              ;   Parent Loop BB521_4 Depth=1
                                        ; =>  This Inner Loop Header: Depth=2
	v_add_nc_u64_e32 v[0:1], s[26:27], v[28:29]
	v_dual_mov_b32 v2, 0 :: v_dual_mov_b32 v3, 0
	s_delay_alu instid0(VALU_DEP_2) | instskip(SKIP_1) | instid1(SALU_CYCLE_1)
	v_cmp_gt_i64_e32 vcc_lo, s[8:9], v[0:1]
	s_and_b32 s37, s0, vcc_lo
	s_and_saveexec_b32 s36, s37
	s_cbranch_execz .LBB521_9
; %bb.8:                                ;   in Loop: Header=BB521_7 Depth=2
	global_load_b64 v[2:3], v[46:47], off
.LBB521_9:                              ;   in Loop: Header=BB521_7 Depth=2
	s_wait_xcnt 0x0
	s_or_b32 exec_lo, exec_lo, s36
	v_add_nc_u64_e32 v[0:1], s[26:27], v[30:31]
	s_wait_loadcnt 0x0
	ds_store_b64 v52, v[2:3]
	v_cmp_gt_i64_e32 vcc_lo, s[8:9], v[0:1]
	v_dual_mov_b32 v0, 0 :: v_dual_mov_b32 v1, 0
	s_and_b32 s37, vcc_lo, s1
	s_delay_alu instid0(SALU_CYCLE_1)
	s_and_saveexec_b32 s36, s37
	s_cbranch_execz .LBB521_6
; %bb.10:                               ;   in Loop: Header=BB521_7 Depth=2
	global_load_b64 v[0:1], v[44:45], off
	s_branch .LBB521_6
.LBB521_11:                             ;   in Loop: Header=BB521_4 Depth=1
	s_mul_u64 s[26:27], s[30:31], s[34:35]
	s_and_not1_b32 vcc_lo, exec_lo, s44
	s_lshl_b64 s[26:27], s[26:27], 3
	s_mov_b32 s36, -1
	s_add_nc_u64 s[26:27], s[18:19], s[26:27]
	s_cbranch_vccz .LBB521_13
; %bb.12:                               ;   in Loop: Header=BB521_4 Depth=1
	s_and_not1_b32 vcc_lo, exec_lo, s36
	s_cbranch_vccnz .LBB521_3
	s_branch .LBB521_24
.LBB521_13:                             ;   in Loop: Header=BB521_4 Depth=1
	s_and_saveexec_b32 s36, s2
	s_cbranch_execz .LBB521_23
; %bb.14:                               ;   in Loop: Header=BB521_4 Depth=1
	v_lshl_add_u64 v[0:1], v[34:35], 3, s[26:27]
	s_delay_alu instid0(VALU_DEP_1)
	v_lshl_add_u64 v[2:3], v[32:33], 3, v[0:1]
	s_and_saveexec_b32 s37, s3
	s_cbranch_execnz .LBB521_17
; %bb.15:                               ;   in Loop: Header=BB521_4 Depth=1
	s_or_b32 exec_lo, exec_lo, s37
	s_and_saveexec_b32 s37, s4
	s_cbranch_execnz .LBB521_18
.LBB521_16:                             ;   in Loop: Header=BB521_4 Depth=1
	s_or_b32 exec_lo, exec_lo, s37
	s_delay_alu instid0(SALU_CYCLE_1)
	s_and_b32 exec_lo, exec_lo, s5
	s_cbranch_execnz .LBB521_19
	s_branch .LBB521_23
.LBB521_17:                             ;   in Loop: Header=BB521_4 Depth=1
	v_mov_b64_e32 v[4:5], s[42:43]
	v_mov_b64_e32 v[6:7], s[10:11]
	s_delay_alu instid0(VALU_DEP_2) | instskip(NEXT) | instid1(VALU_DEP_1)
	v_pk_mul_f32 v[4:5], v[50:51], v[4:5] op_sel:[1,0] op_sel_hi:[0,1]
	v_pk_fma_f32 v[8:9], v[50:51], v[6:7], v[4:5]
	v_pk_fma_f32 v[4:5], v[50:51], v[6:7], v[4:5] neg_lo:[0,0,1] neg_hi:[0,0,1]
	s_delay_alu instid0(VALU_DEP_2)
	v_mov_b32_e32 v5, v9
	global_store_b64 v[2:3], v[4:5], off
	s_wait_xcnt 0x0
	s_or_b32 exec_lo, exec_lo, s37
	s_and_saveexec_b32 s37, s4
	s_cbranch_execz .LBB521_16
.LBB521_18:                             ;   in Loop: Header=BB521_4 Depth=1
	v_mov_b64_e32 v[4:5], s[42:43]
	v_mov_b64_e32 v[6:7], s[10:11]
	s_delay_alu instid0(VALU_DEP_2) | instskip(NEXT) | instid1(VALU_DEP_1)
	v_pk_mul_f32 v[4:5], v[24:25], v[4:5] op_sel:[1,0] op_sel_hi:[0,1]
	v_pk_fma_f32 v[8:9], v[24:25], v[6:7], v[4:5]
	v_pk_fma_f32 v[4:5], v[24:25], v[6:7], v[4:5] neg_lo:[0,0,1] neg_hi:[0,0,1]
	s_delay_alu instid0(VALU_DEP_2) | instskip(SKIP_3) | instid1(SALU_CYCLE_1)
	v_mov_b32_e32 v5, v9
	global_store_b64 v[2:3], v[4:5], off offset:128
	s_wait_xcnt 0x0
	s_or_b32 exec_lo, exec_lo, s37
	s_and_b32 exec_lo, exec_lo, s5
	s_cbranch_execz .LBB521_23
.LBB521_19:                             ;   in Loop: Header=BB521_4 Depth=1
	v_lshl_add_u64 v[0:1], s[6:7], 3, v[0:1]
	s_delay_alu instid0(VALU_DEP_1)
	v_lshl_add_u64 v[0:1], v[32:33], 3, v[0:1]
	s_and_saveexec_b32 s37, s3
	s_cbranch_execz .LBB521_21
; %bb.20:                               ;   in Loop: Header=BB521_4 Depth=1
	v_mov_b64_e32 v[2:3], s[42:43]
	v_mov_b64_e32 v[4:5], s[10:11]
	s_delay_alu instid0(VALU_DEP_2) | instskip(NEXT) | instid1(VALU_DEP_1)
	v_pk_mul_f32 v[2:3], v[48:49], v[2:3] op_sel:[1,0] op_sel_hi:[0,1]
	v_pk_fma_f32 v[6:7], v[48:49], v[4:5], v[2:3]
	v_pk_fma_f32 v[2:3], v[48:49], v[4:5], v[2:3] neg_lo:[0,0,1] neg_hi:[0,0,1]
	s_delay_alu instid0(VALU_DEP_2)
	v_mov_b32_e32 v3, v7
	global_store_b64 v[0:1], v[2:3], off
.LBB521_21:                             ;   in Loop: Header=BB521_4 Depth=1
	s_wait_xcnt 0x0
	s_or_b32 exec_lo, exec_lo, s37
	s_delay_alu instid0(SALU_CYCLE_1)
	s_and_b32 exec_lo, exec_lo, s4
	s_cbranch_execz .LBB521_23
; %bb.22:                               ;   in Loop: Header=BB521_4 Depth=1
	v_mov_b64_e32 v[2:3], s[42:43]
	v_mov_b64_e32 v[4:5], s[10:11]
	s_delay_alu instid0(VALU_DEP_2) | instskip(NEXT) | instid1(VALU_DEP_1)
	v_pk_mul_f32 v[2:3], v[42:43], v[2:3] op_sel:[1,0] op_sel_hi:[0,1]
	v_pk_fma_f32 v[6:7], v[42:43], v[4:5], v[2:3]
	v_pk_fma_f32 v[2:3], v[42:43], v[4:5], v[2:3] neg_lo:[0,0,1] neg_hi:[0,0,1]
	s_delay_alu instid0(VALU_DEP_2)
	v_mov_b32_e32 v3, v7
	global_store_b64 v[0:1], v[2:3], off offset:128
.LBB521_23:                             ;   in Loop: Header=BB521_4 Depth=1
	s_wait_xcnt 0x0
	s_or_b32 exec_lo, exec_lo, s36
	s_cbranch_execnz .LBB521_3
.LBB521_24:                             ;   in Loop: Header=BB521_4 Depth=1
	s_and_saveexec_b32 s36, s2
	s_cbranch_execz .LBB521_2
; %bb.25:                               ;   in Loop: Header=BB521_4 Depth=1
	s_mul_u64 s[46:47], s[16:17], s[34:35]
	v_lshlrev_b64_e32 v[0:1], 3, v[32:33]
	v_lshl_add_u64 v[2:3], s[46:47], 3, v[36:37]
	v_lshl_add_u64 v[4:5], v[34:35], 3, s[26:27]
	s_delay_alu instid0(VALU_DEP_2) | instskip(NEXT) | instid1(VALU_DEP_2)
	v_add_nc_u64_e32 v[8:9], v[2:3], v[0:1]
	v_add_nc_u64_e32 v[6:7], v[4:5], v[0:1]
	s_and_saveexec_b32 s26, s3
	s_cbranch_execnz .LBB521_28
; %bb.26:                               ;   in Loop: Header=BB521_4 Depth=1
	s_or_b32 exec_lo, exec_lo, s26
	s_and_saveexec_b32 s26, s4
	s_cbranch_execnz .LBB521_29
.LBB521_27:                             ;   in Loop: Header=BB521_4 Depth=1
	s_or_b32 exec_lo, exec_lo, s26
	s_delay_alu instid0(SALU_CYCLE_1)
	s_and_b32 exec_lo, exec_lo, s5
	s_cbranch_execz .LBB521_2
	s_branch .LBB521_30
.LBB521_28:                             ;   in Loop: Header=BB521_4 Depth=1
	global_load_b64 v[10:11], v[8:9], off
	v_mov_b64_e32 v[12:13], s[42:43]
	v_mov_b64_e32 v[14:15], s[28:29]
	;; [unrolled: 1-line block ×4, first 2 shown]
	s_delay_alu instid0(VALU_DEP_4) | instskip(NEXT) | instid1(VALU_DEP_1)
	v_pk_mul_f32 v[12:13], v[50:51], v[12:13] op_sel:[1,0] op_sel_hi:[0,1]
	v_pk_fma_f32 v[20:21], v[50:51], v[16:17], v[12:13]
	v_pk_fma_f32 v[12:13], v[50:51], v[16:17], v[12:13] neg_lo:[0,0,1] neg_hi:[0,0,1]
	s_wait_loadcnt 0x0
	v_pk_mul_f32 v[14:15], v[10:11], v[14:15] op_sel:[1,0] op_sel_hi:[0,1]
	s_delay_alu instid0(VALU_DEP_1) | instskip(SKIP_1) | instid1(VALU_DEP_2)
	v_pk_fma_f32 v[22:23], v[10:11], v[18:19], v[14:15]
	v_pk_fma_f32 v[10:11], v[10:11], v[18:19], v[14:15] neg_lo:[0,0,1] neg_hi:[0,0,1]
	v_dual_mov_b32 v13, v21 :: v_dual_mov_b32 v11, v23
	s_delay_alu instid0(VALU_DEP_1)
	v_pk_add_f32 v[10:11], v[12:13], v[10:11]
	global_store_b64 v[6:7], v[10:11], off
	s_wait_xcnt 0x0
	s_or_b32 exec_lo, exec_lo, s26
	s_and_saveexec_b32 s26, s4
	s_cbranch_execz .LBB521_27
.LBB521_29:                             ;   in Loop: Header=BB521_4 Depth=1
	global_load_b64 v[8:9], v[8:9], off offset:128
	v_mov_b64_e32 v[10:11], s[42:43]
	v_mov_b64_e32 v[12:13], s[28:29]
	;; [unrolled: 1-line block ×4, first 2 shown]
	s_delay_alu instid0(VALU_DEP_4) | instskip(NEXT) | instid1(VALU_DEP_1)
	v_pk_mul_f32 v[10:11], v[24:25], v[10:11] op_sel:[1,0] op_sel_hi:[0,1]
	v_pk_fma_f32 v[18:19], v[24:25], v[14:15], v[10:11]
	v_pk_fma_f32 v[10:11], v[24:25], v[14:15], v[10:11] neg_lo:[0,0,1] neg_hi:[0,0,1]
	s_wait_loadcnt 0x0
	v_pk_mul_f32 v[12:13], v[8:9], v[12:13] op_sel:[1,0] op_sel_hi:[0,1]
	s_delay_alu instid0(VALU_DEP_1) | instskip(SKIP_2) | instid1(VALU_DEP_2)
	v_pk_fma_f32 v[20:21], v[8:9], v[16:17], v[12:13]
	s_wait_xcnt 0x0
	v_pk_fma_f32 v[8:9], v[8:9], v[16:17], v[12:13] neg_lo:[0,0,1] neg_hi:[0,0,1]
	v_dual_mov_b32 v11, v19 :: v_dual_mov_b32 v9, v21
	s_delay_alu instid0(VALU_DEP_1) | instskip(SKIP_3) | instid1(SALU_CYCLE_1)
	v_pk_add_f32 v[8:9], v[10:11], v[8:9]
	global_store_b64 v[6:7], v[8:9], off offset:128
	s_wait_xcnt 0x0
	s_or_b32 exec_lo, exec_lo, s26
	s_and_b32 exec_lo, exec_lo, s5
	s_cbranch_execz .LBB521_2
.LBB521_30:                             ;   in Loop: Header=BB521_4 Depth=1
	v_lshl_add_u64 v[2:3], s[14:15], 3, v[2:3]
	v_lshl_add_u64 v[4:5], s[6:7], 3, v[4:5]
	s_delay_alu instid0(VALU_DEP_2) | instskip(NEXT) | instid1(VALU_DEP_2)
	v_add_nc_u64_e32 v[2:3], v[2:3], v[0:1]
	v_add_nc_u64_e32 v[0:1], v[4:5], v[0:1]
	s_and_saveexec_b32 s26, s3
	s_cbranch_execz .LBB521_32
; %bb.31:                               ;   in Loop: Header=BB521_4 Depth=1
	global_load_b64 v[4:5], v[2:3], off
	v_mov_b64_e32 v[6:7], s[42:43]
	v_mov_b64_e32 v[8:9], s[28:29]
	;; [unrolled: 1-line block ×4, first 2 shown]
	s_delay_alu instid0(VALU_DEP_4) | instskip(NEXT) | instid1(VALU_DEP_1)
	v_pk_mul_f32 v[6:7], v[48:49], v[6:7] op_sel:[1,0] op_sel_hi:[0,1]
	v_pk_fma_f32 v[14:15], v[48:49], v[10:11], v[6:7]
	v_pk_fma_f32 v[6:7], v[48:49], v[10:11], v[6:7] neg_lo:[0,0,1] neg_hi:[0,0,1]
	s_wait_loadcnt 0x0
	v_pk_mul_f32 v[8:9], v[4:5], v[8:9] op_sel:[1,0] op_sel_hi:[0,1]
	s_delay_alu instid0(VALU_DEP_1) | instskip(SKIP_1) | instid1(VALU_DEP_2)
	v_pk_fma_f32 v[16:17], v[4:5], v[12:13], v[8:9]
	v_pk_fma_f32 v[4:5], v[4:5], v[12:13], v[8:9] neg_lo:[0,0,1] neg_hi:[0,0,1]
	v_dual_mov_b32 v7, v15 :: v_dual_mov_b32 v5, v17
	s_delay_alu instid0(VALU_DEP_1)
	v_pk_add_f32 v[4:5], v[6:7], v[4:5]
	global_store_b64 v[0:1], v[4:5], off
.LBB521_32:                             ;   in Loop: Header=BB521_4 Depth=1
	s_wait_xcnt 0x0
	s_or_b32 exec_lo, exec_lo, s26
	s_delay_alu instid0(SALU_CYCLE_1)
	s_and_b32 exec_lo, exec_lo, s4
	s_cbranch_execz .LBB521_2
; %bb.33:                               ;   in Loop: Header=BB521_4 Depth=1
	global_load_b64 v[2:3], v[2:3], off offset:128
	v_mov_b64_e32 v[4:5], s[42:43]
	v_mov_b64_e32 v[6:7], s[28:29]
	;; [unrolled: 1-line block ×4, first 2 shown]
	s_delay_alu instid0(VALU_DEP_4) | instskip(NEXT) | instid1(VALU_DEP_1)
	v_pk_mul_f32 v[4:5], v[42:43], v[4:5] op_sel:[1,0] op_sel_hi:[0,1]
	v_pk_fma_f32 v[12:13], v[42:43], v[8:9], v[4:5]
	v_pk_fma_f32 v[4:5], v[42:43], v[8:9], v[4:5] neg_lo:[0,0,1] neg_hi:[0,0,1]
	s_wait_loadcnt 0x0
	v_pk_mul_f32 v[6:7], v[2:3], v[6:7] op_sel:[1,0] op_sel_hi:[0,1]
	s_delay_alu instid0(VALU_DEP_1) | instskip(SKIP_2) | instid1(VALU_DEP_2)
	v_pk_fma_f32 v[14:15], v[2:3], v[10:11], v[6:7]
	s_wait_xcnt 0x0
	v_pk_fma_f32 v[2:3], v[2:3], v[10:11], v[6:7] neg_lo:[0,0,1] neg_hi:[0,0,1]
	v_dual_mov_b32 v5, v13 :: v_dual_mov_b32 v3, v15
	s_delay_alu instid0(VALU_DEP_1)
	v_pk_add_f32 v[2:3], v[4:5], v[2:3]
	global_store_b64 v[0:1], v[2:3], off offset:128
	s_branch .LBB521_2
.LBB521_34:
	s_sendmsg sendmsg(MSG_DEALLOC_VGPRS)
	s_endpgm
	.section	.rodata,"a",@progbits
	.p2align	6, 0x0
	.amdhsa_kernel _ZN12_GLOBAL__N_135rocblas_gemm_batched_general_kernelI19rocblas_complex_numIfELi16ELi16ELi32ELi32ELi8ELi32ELi8ELi8ELi32ELc78ELc84EKS2_S3_S2_EEvlllT_PT11_llS6_llS4_PT12_llPT13_lli
		.amdhsa_group_segment_fixed_size 4096
		.amdhsa_private_segment_fixed_size 0
		.amdhsa_kernarg_size 140
		.amdhsa_user_sgpr_count 2
		.amdhsa_user_sgpr_dispatch_ptr 0
		.amdhsa_user_sgpr_queue_ptr 0
		.amdhsa_user_sgpr_kernarg_segment_ptr 1
		.amdhsa_user_sgpr_dispatch_id 0
		.amdhsa_user_sgpr_kernarg_preload_length 0
		.amdhsa_user_sgpr_kernarg_preload_offset 0
		.amdhsa_user_sgpr_private_segment_size 0
		.amdhsa_wavefront_size32 1
		.amdhsa_uses_dynamic_stack 0
		.amdhsa_enable_private_segment 0
		.amdhsa_system_sgpr_workgroup_id_x 1
		.amdhsa_system_sgpr_workgroup_id_y 1
		.amdhsa_system_sgpr_workgroup_id_z 1
		.amdhsa_system_sgpr_workgroup_info 0
		.amdhsa_system_vgpr_workitem_id 1
		.amdhsa_next_free_vgpr 84
		.amdhsa_next_free_sgpr 50
		.amdhsa_named_barrier_count 0
		.amdhsa_reserve_vcc 1
		.amdhsa_float_round_mode_32 0
		.amdhsa_float_round_mode_16_64 0
		.amdhsa_float_denorm_mode_32 3
		.amdhsa_float_denorm_mode_16_64 3
		.amdhsa_fp16_overflow 0
		.amdhsa_memory_ordered 1
		.amdhsa_forward_progress 1
		.amdhsa_inst_pref_size 27
		.amdhsa_round_robin_scheduling 0
		.amdhsa_exception_fp_ieee_invalid_op 0
		.amdhsa_exception_fp_denorm_src 0
		.amdhsa_exception_fp_ieee_div_zero 0
		.amdhsa_exception_fp_ieee_overflow 0
		.amdhsa_exception_fp_ieee_underflow 0
		.amdhsa_exception_fp_ieee_inexact 0
		.amdhsa_exception_int_div_zero 0
	.end_amdhsa_kernel
	.section	.text._ZN12_GLOBAL__N_135rocblas_gemm_batched_general_kernelI19rocblas_complex_numIfELi16ELi16ELi32ELi32ELi8ELi32ELi8ELi8ELi32ELc78ELc84EKS2_S3_S2_EEvlllT_PT11_llS6_llS4_PT12_llPT13_lli,"axG",@progbits,_ZN12_GLOBAL__N_135rocblas_gemm_batched_general_kernelI19rocblas_complex_numIfELi16ELi16ELi32ELi32ELi8ELi32ELi8ELi8ELi32ELc78ELc84EKS2_S3_S2_EEvlllT_PT11_llS6_llS4_PT12_llPT13_lli,comdat
.Lfunc_end521:
	.size	_ZN12_GLOBAL__N_135rocblas_gemm_batched_general_kernelI19rocblas_complex_numIfELi16ELi16ELi32ELi32ELi8ELi32ELi8ELi8ELi32ELc78ELc84EKS2_S3_S2_EEvlllT_PT11_llS6_llS4_PT12_llPT13_lli, .Lfunc_end521-_ZN12_GLOBAL__N_135rocblas_gemm_batched_general_kernelI19rocblas_complex_numIfELi16ELi16ELi32ELi32ELi8ELi32ELi8ELi8ELi32ELc78ELc84EKS2_S3_S2_EEvlllT_PT11_llS6_llS4_PT12_llPT13_lli
                                        ; -- End function
	.set _ZN12_GLOBAL__N_135rocblas_gemm_batched_general_kernelI19rocblas_complex_numIfELi16ELi16ELi32ELi32ELi8ELi32ELi8ELi8ELi32ELc78ELc84EKS2_S3_S2_EEvlllT_PT11_llS6_llS4_PT12_llPT13_lli.num_vgpr, 84
	.set _ZN12_GLOBAL__N_135rocblas_gemm_batched_general_kernelI19rocblas_complex_numIfELi16ELi16ELi32ELi32ELi8ELi32ELi8ELi8ELi32ELc78ELc84EKS2_S3_S2_EEvlllT_PT11_llS6_llS4_PT12_llPT13_lli.num_agpr, 0
	.set _ZN12_GLOBAL__N_135rocblas_gemm_batched_general_kernelI19rocblas_complex_numIfELi16ELi16ELi32ELi32ELi8ELi32ELi8ELi8ELi32ELc78ELc84EKS2_S3_S2_EEvlllT_PT11_llS6_llS4_PT12_llPT13_lli.numbered_sgpr, 50
	.set _ZN12_GLOBAL__N_135rocblas_gemm_batched_general_kernelI19rocblas_complex_numIfELi16ELi16ELi32ELi32ELi8ELi32ELi8ELi8ELi32ELc78ELc84EKS2_S3_S2_EEvlllT_PT11_llS6_llS4_PT12_llPT13_lli.num_named_barrier, 0
	.set _ZN12_GLOBAL__N_135rocblas_gemm_batched_general_kernelI19rocblas_complex_numIfELi16ELi16ELi32ELi32ELi8ELi32ELi8ELi8ELi32ELc78ELc84EKS2_S3_S2_EEvlllT_PT11_llS6_llS4_PT12_llPT13_lli.private_seg_size, 0
	.set _ZN12_GLOBAL__N_135rocblas_gemm_batched_general_kernelI19rocblas_complex_numIfELi16ELi16ELi32ELi32ELi8ELi32ELi8ELi8ELi32ELc78ELc84EKS2_S3_S2_EEvlllT_PT11_llS6_llS4_PT12_llPT13_lli.uses_vcc, 1
	.set _ZN12_GLOBAL__N_135rocblas_gemm_batched_general_kernelI19rocblas_complex_numIfELi16ELi16ELi32ELi32ELi8ELi32ELi8ELi8ELi32ELc78ELc84EKS2_S3_S2_EEvlllT_PT11_llS6_llS4_PT12_llPT13_lli.uses_flat_scratch, 0
	.set _ZN12_GLOBAL__N_135rocblas_gemm_batched_general_kernelI19rocblas_complex_numIfELi16ELi16ELi32ELi32ELi8ELi32ELi8ELi8ELi32ELc78ELc84EKS2_S3_S2_EEvlllT_PT11_llS6_llS4_PT12_llPT13_lli.has_dyn_sized_stack, 0
	.set _ZN12_GLOBAL__N_135rocblas_gemm_batched_general_kernelI19rocblas_complex_numIfELi16ELi16ELi32ELi32ELi8ELi32ELi8ELi8ELi32ELc78ELc84EKS2_S3_S2_EEvlllT_PT11_llS6_llS4_PT12_llPT13_lli.has_recursion, 0
	.set _ZN12_GLOBAL__N_135rocblas_gemm_batched_general_kernelI19rocblas_complex_numIfELi16ELi16ELi32ELi32ELi8ELi32ELi8ELi8ELi32ELc78ELc84EKS2_S3_S2_EEvlllT_PT11_llS6_llS4_PT12_llPT13_lli.has_indirect_call, 0
	.section	.AMDGPU.csdata,"",@progbits
; Kernel info:
; codeLenInByte = 3404
; TotalNumSgprs: 52
; NumVgprs: 84
; ScratchSize: 0
; MemoryBound: 0
; FloatMode: 240
; IeeeMode: 1
; LDSByteSize: 4096 bytes/workgroup (compile time only)
; SGPRBlocks: 0
; VGPRBlocks: 5
; NumSGPRsForWavesPerEU: 52
; NumVGPRsForWavesPerEU: 84
; NamedBarCnt: 0
; Occupancy: 10
; WaveLimiterHint : 0
; COMPUTE_PGM_RSRC2:SCRATCH_EN: 0
; COMPUTE_PGM_RSRC2:USER_SGPR: 2
; COMPUTE_PGM_RSRC2:TRAP_HANDLER: 0
; COMPUTE_PGM_RSRC2:TGID_X_EN: 1
; COMPUTE_PGM_RSRC2:TGID_Y_EN: 1
; COMPUTE_PGM_RSRC2:TGID_Z_EN: 1
; COMPUTE_PGM_RSRC2:TIDIG_COMP_CNT: 1
	.section	.text._ZN12_GLOBAL__N_135rocblas_gemm_batched_general_kernelI19rocblas_complex_numIfELi16ELi16ELi32ELi32ELi8ELi32ELi8ELi8ELi32ELc84ELc84EKS2_S3_S2_EEvlllT_PT11_llS6_llS4_PT12_llPT13_lli,"axG",@progbits,_ZN12_GLOBAL__N_135rocblas_gemm_batched_general_kernelI19rocblas_complex_numIfELi16ELi16ELi32ELi32ELi8ELi32ELi8ELi8ELi32ELc84ELc84EKS2_S3_S2_EEvlllT_PT11_llS6_llS4_PT12_llPT13_lli,comdat
	.globl	_ZN12_GLOBAL__N_135rocblas_gemm_batched_general_kernelI19rocblas_complex_numIfELi16ELi16ELi32ELi32ELi8ELi32ELi8ELi8ELi32ELc84ELc84EKS2_S3_S2_EEvlllT_PT11_llS6_llS4_PT12_llPT13_lli ; -- Begin function _ZN12_GLOBAL__N_135rocblas_gemm_batched_general_kernelI19rocblas_complex_numIfELi16ELi16ELi32ELi32ELi8ELi32ELi8ELi8ELi32ELc84ELc84EKS2_S3_S2_EEvlllT_PT11_llS6_llS4_PT12_llPT13_lli
	.p2align	8
	.type	_ZN12_GLOBAL__N_135rocblas_gemm_batched_general_kernelI19rocblas_complex_numIfELi16ELi16ELi32ELi32ELi8ELi32ELi8ELi8ELi32ELc84ELc84EKS2_S3_S2_EEvlllT_PT11_llS6_llS4_PT12_llPT13_lli,@function
_ZN12_GLOBAL__N_135rocblas_gemm_batched_general_kernelI19rocblas_complex_numIfELi16ELi16ELi32ELi32ELi8ELi32ELi8ELi8ELi32ELc84ELc84EKS2_S3_S2_EEvlllT_PT11_llS6_llS4_PT12_llPT13_lli: ; @_ZN12_GLOBAL__N_135rocblas_gemm_batched_general_kernelI19rocblas_complex_numIfELi16ELi16ELi32ELi32ELi8ELi32ELi8ELi8ELi32ELc84ELc84EKS2_S3_S2_EEvlllT_PT11_llS6_llS4_PT12_llPT13_lli
; %bb.0:
	s_load_b32 s33, s[0:1], 0x88
	s_bfe_u32 s2, ttmp6, 0x40014
	s_lshr_b32 s3, ttmp7, 16
	s_add_co_i32 s2, s2, 1
	s_bfe_u32 s5, ttmp6, 0x40008
	s_mul_i32 s4, s3, s2
	s_getreg_b32 s2, hwreg(HW_REG_IB_STS2, 6, 4)
	s_add_co_i32 s5, s5, s4
	s_cmp_eq_u32 s2, 0
	s_mov_b32 s35, 0
	s_cselect_b32 s34, s3, s5
	s_wait_kmcnt 0x0
	s_cmp_ge_i32 s34, s33
	s_cbranch_scc1 .LBB522_34
; %bb.1:
	s_clause 0x3
	s_load_b256 s[20:27], s[0:1], 0x20
	s_load_b128 s[28:31], s[0:1], 0x78
	s_load_b128 s[36:39], s[0:1], 0x40
	s_load_b64 s[40:41], s[0:1], 0x50
	v_bfe_u32 v2, v0, 10, 10
	v_and_b32_e32 v4, 0x3ff, v0
	s_clause 0x1
	s_load_b256 s[4:11], s[0:1], 0x0
	s_load_b256 s[12:19], s[0:1], 0x58
	s_wait_xcnt 0x0
	s_bfe_u32 s0, ttmp6, 0x4000c
	s_bfe_u32 s3, ttmp6, 0x40010
	v_lshl_add_u32 v14, v2, 4, v4
	v_mov_b32_e32 v3, 0
	s_add_co_i32 s0, s0, 1
	s_and_b32 s42, ttmp7, 0xffff
	s_add_co_i32 s3, s3, 1
	s_and_b32 s1, ttmp6, 15
	s_mul_i32 s0, ttmp9, s0
	s_mul_i32 s3, s42, s3
	s_bfe_u32 s43, ttmp6, 0x40004
	v_and_b32_e32 v15, 31, v14
	v_dual_mov_b32 v31, v3 :: v_dual_bitop2_b32 v30, 7, v0 bitop3:0x40
	s_add_co_i32 s1, s1, s0
	s_add_co_i32 s43, s43, s3
	s_cmp_eq_u32 s2, 0
	v_dual_mov_b32 v1, v3 :: v_dual_lshrrev_b32 v0, 3, v14
	s_cselect_b32 s0, ttmp9, s1
	s_wait_kmcnt 0x0
	v_mul_u64_e32 v[6:7], s[36:37], v[30:31]
	s_cselect_b32 s43, s42, s43
	s_ashr_i32 s1, s0, 31
	v_lshlrev_b32_e32 v16, 3, v30
	s_lshl_b64 s[2:3], s[0:1], 5
	s_lshl_b32 s0, s43, 5
	v_dual_mov_b32 v9, s3 :: v_dual_bitop2_b32 v8, s2, v15 bitop3:0x54
	s_mov_b32 s1, s35
	v_lshlrev_b32_e32 v15, 3, v15
	v_add_nc_u64_e32 v[10:11], s[0:1], v[0:1]
	v_add_nc_u64_e32 v[12:13], s[0:1], v[2:3]
	v_lshl_or_b32 v16, v0, 6, v16
	v_mul_u64_e32 v[0:1], s[22:23], v[8:9]
	v_cmp_gt_i64_e64 s0, s[4:5], v[8:9]
	v_dual_mov_b32 v5, v3 :: v_dual_lshrrev_b32 v28, 5, v14
	s_or_b32 s22, s40, s41
	v_mul_u64_e32 v[8:9], s[14:15], v[12:13]
	v_mul_u64_e32 v[34:35], s[28:29], v[12:13]
	s_delay_alu instid0(VALU_DEP_3)
	v_add_nc_u64_e32 v[32:33], s[2:3], v[4:5]
	s_bitset0_b32 s22, 31
	v_dual_mov_b32 v29, v3 :: v_dual_lshlrev_b32 v54, 3, v4
	s_cmp_eq_u32 s22, 0
	s_mov_b32 s23, s35
	s_cselect_b32 s42, -1, 0
	s_delay_alu instid0(VALU_DEP_2)
	v_add_nc_u64_e32 v[4:5], 16, v[32:33]
	s_lshl_b32 s22, s43, 8
	v_lshl_add_u32 v55, v2, 6, 0x800
	v_and_b32_e32 v2, 0x1ff8, v14
	v_cmp_gt_i64_e64 s3, s[4:5], v[32:33]
	v_lshl_add_u64 v[6:7], v[6:7], 3, s[22:23]
	v_cmp_gt_i64_e64 s1, s[6:7], v[10:11]
	v_cmp_gt_i64_e64 s4, s[4:5], v[4:5]
	v_add_nc_u64_e32 v[10:11], 16, v[12:13]
	v_cmp_gt_i64_e64 s2, s[6:7], v[12:13]
	v_add_nc_u64_e32 v[4:5], v[6:7], v[2:3]
	v_lshlrev_b32_e32 v2, 3, v28
	v_cmp_gt_i64_e64 s43, s[8:9], 0
	v_lshl_or_b32 v52, v28, 8, v15
	v_add_nc_u32_e32 v53, 0x800, v16
	v_cmp_gt_i64_e64 s5, s[6:7], v[10:11]
	s_mov_b32 s22, s11
	v_add_nc_u64_e32 v[38:39], s[26:27], v[4:5]
	v_lshl_add_u64 v[0:1], v[0:1], 3, v[2:3]
	s_mov_b32 s23, s11
	s_mov_b32 s11, s10
	s_lshl_b64 s[6:7], s[28:29], 4
	s_mov_b32 s28, s41
	v_add_nc_u64_e32 v[40:41], s[20:21], v[0:1]
	v_lshl_add_u64 v[36:37], v[8:9], 3, s[12:13]
	s_mov_b32 s29, s41
	s_mov_b32 s41, s40
	s_lshl_b64 s[14:15], s[14:15], 4
	s_lshl_b64 s[12:13], s[38:39], 3
	;; [unrolled: 1-line block ×4, first 2 shown]
	s_branch .LBB522_4
.LBB522_2:                              ;   in Loop: Header=BB522_4 Depth=1
	s_wait_xcnt 0x0
	s_or_b32 exec_lo, exec_lo, s36
.LBB522_3:                              ;   in Loop: Header=BB522_4 Depth=1
	s_add_co_i32 s34, s34, 0x10000
	s_delay_alu instid0(SALU_CYCLE_1)
	s_cmp_lt_i32 s34, s33
	s_cbranch_scc0 .LBB522_34
.LBB522_4:                              ; =>This Loop Header: Depth=1
                                        ;     Child Loop BB522_7 Depth 2
	v_dual_mov_b32 v51, 0 :: v_dual_mov_b32 v50, 0
	v_dual_mov_b32 v25, 0 :: v_dual_mov_b32 v24, 0
	v_dual_mov_b32 v49, 0 :: v_dual_mov_b32 v48, 0
	v_dual_mov_b32 v43, 0 :: v_dual_mov_b32 v42, 0
	s_and_not1_b32 vcc_lo, exec_lo, s43
	s_cbranch_vccnz .LBB522_11
; %bb.5:                                ;   in Loop: Header=BB522_4 Depth=1
	v_mad_nc_u64_u32 v[44:45], s12, s34, v[38:39]
	v_mad_nc_u64_u32 v[46:47], s24, s34, v[40:41]
	v_mov_b32_e32 v42, 0
	s_mov_b64 s[26:27], 0
	s_delay_alu instid0(VALU_DEP_1)
	v_dual_mov_b32 v43, v42 :: v_dual_mov_b32 v48, v42
	v_dual_mov_b32 v49, v42 :: v_dual_mov_b32 v24, v42
	v_mad_u32 v45, s13, s34, v45
	v_mad_u32 v47, s25, s34, v47
	v_dual_mov_b32 v25, v42 :: v_dual_mov_b32 v50, v42
	v_mov_b32_e32 v51, v42
	s_branch .LBB522_7
.LBB522_6:                              ;   in Loop: Header=BB522_7 Depth=2
	s_wait_xcnt 0x0
	s_or_b32 exec_lo, exec_lo, s36
	s_wait_loadcnt 0x0
	ds_store_b64 v53, v[0:1]
	s_wait_dscnt 0x0
	s_barrier_signal -1
	s_barrier_wait -1
	ds_load_2addr_b64 v[56:59], v54 offset1:16
	ds_load_b128 v[60:63], v55
	ds_load_2addr_b64 v[20:23], v54 offset0:32 offset1:48
	ds_load_2addr_b64 v[16:19], v54 offset0:64 offset1:80
	ds_load_b128 v[64:67], v55 offset:16
	ds_load_2addr_b64 v[12:15], v54 offset0:96 offset1:112
	ds_load_2addr_b64 v[8:11], v54 offset0:128 offset1:144
	ds_load_b128 v[68:71], v55 offset:32
	ds_load_2addr_b64 v[4:7], v54 offset0:160 offset1:176
	ds_load_2addr_b64 v[0:3], v54 offset0:192 offset1:208
	s_add_nc_u64 s[26:27], s[26:27], 8
	v_add_nc_u64_e32 v[44:45], s[20:21], v[44:45]
	v_cmp_lt_i64_e64 s36, s[26:27], s[8:9]
	v_add_nc_u64_e32 v[46:47], 64, v[46:47]
	s_and_b32 vcc_lo, exec_lo, s36
	s_wait_dscnt 0x8
	v_pk_mul_f32 v[26:27], v[60:61], v[56:57] op_sel:[0,1]
	s_wait_dscnt 0x7
	v_pk_mul_f32 v[72:73], v[62:63], v[20:21] op_sel:[0,1]
	;; [unrolled: 2-line block ×4, first 2 shown]
	v_pk_fma_f32 v[78:79], v[60:61], v[56:57], v[26:27] op_sel:[0,0,1] op_sel_hi:[1,0,0]
	v_pk_fma_f32 v[82:83], v[62:63], v[20:21], v[72:73] op_sel:[0,0,1] op_sel_hi:[1,0,0]
	v_pk_fma_f32 v[26:27], v[60:61], v[56:57], v[26:27] op_sel:[0,0,1] op_sel_hi:[1,1,0] neg_lo:[0,0,1] neg_hi:[0,0,1]
	v_pk_fma_f32 v[72:73], v[62:63], v[20:21], v[72:73] op_sel:[0,0,1] op_sel_hi:[1,1,0] neg_lo:[0,0,1] neg_hi:[0,0,1]
	s_wait_dscnt 0x2
	v_pk_mul_f32 v[80:81], v[68:69], v[8:9] op_sel:[0,1]
	v_dual_mov_b32 v27, v79 :: v_dual_mov_b32 v73, v83
	v_pk_fma_f32 v[78:79], v[64:65], v[16:17], v[74:75] op_sel:[0,0,1] op_sel_hi:[1,0,0]
	v_pk_fma_f32 v[82:83], v[66:67], v[12:13], v[76:77] op_sel:[0,0,1] op_sel_hi:[1,0,0]
	v_pk_fma_f32 v[74:75], v[64:65], v[16:17], v[74:75] op_sel:[0,0,1] op_sel_hi:[1,1,0] neg_lo:[0,0,1] neg_hi:[0,0,1]
	v_pk_fma_f32 v[76:77], v[66:67], v[12:13], v[76:77] op_sel:[0,0,1] op_sel_hi:[1,1,0] neg_lo:[0,0,1] neg_hi:[0,0,1]
	v_pk_add_f32 v[26:27], v[50:51], v[26:27]
	s_delay_alu instid0(VALU_DEP_4)
	v_dual_mov_b32 v75, v79 :: v_dual_mov_b32 v77, v83
	v_pk_fma_f32 v[78:79], v[68:69], v[8:9], v[80:81] op_sel:[0,0,1] op_sel_hi:[1,0,0]
	v_pk_mul_f32 v[82:83], v[60:61], v[58:59] op_sel:[0,1]
	v_pk_fma_f32 v[80:81], v[68:69], v[8:9], v[80:81] op_sel:[0,0,1] op_sel_hi:[1,1,0] neg_lo:[0,0,1] neg_hi:[0,0,1]
	v_pk_mul_f32 v[50:51], v[62:63], v[22:23] op_sel:[0,1]
	v_pk_add_f32 v[26:27], v[26:27], v[72:73]
	v_mov_b32_e32 v81, v79
	v_pk_fma_f32 v[78:79], v[60:61], v[58:59], v[82:83] op_sel:[0,0,1] op_sel_hi:[1,1,0] neg_lo:[0,0,1] neg_hi:[0,0,1]
	v_pk_fma_f32 v[82:83], v[60:61], v[58:59], v[82:83] op_sel:[0,0,1] op_sel_hi:[1,0,0]
	v_pk_fma_f32 v[72:73], v[62:63], v[22:23], v[50:51] op_sel:[0,0,1] op_sel_hi:[1,1,0] neg_lo:[0,0,1] neg_hi:[0,0,1]
	v_pk_fma_f32 v[50:51], v[62:63], v[22:23], v[50:51] op_sel:[0,0,1] op_sel_hi:[1,0,0]
	ds_load_b128 v[60:63], v55 offset:48
	v_pk_add_f32 v[26:27], v[26:27], v[74:75]
	s_wait_dscnt 0x2
	v_pk_mul_f32 v[74:75], v[70:71], v[4:5] op_sel:[0,1]
	v_mov_b32_e32 v79, v83
	v_pk_mul_f32 v[82:83], v[64:65], v[18:19] op_sel:[0,1]
	v_mov_b32_e32 v73, v51
	v_pk_add_f32 v[76:77], v[26:27], v[76:77]
	v_pk_fma_f32 v[50:51], v[70:71], v[4:5], v[74:75] op_sel:[0,0,1] op_sel_hi:[1,0,0]
	v_pk_add_f32 v[78:79], v[24:25], v[78:79]
	v_pk_fma_f32 v[74:75], v[70:71], v[4:5], v[74:75] op_sel:[0,0,1] op_sel_hi:[1,1,0] neg_lo:[0,0,1] neg_hi:[0,0,1]
	ds_load_2addr_b64 v[24:27], v54 offset0:224 offset1:240
	v_mov_b32_e32 v75, v51
	v_pk_add_f32 v[50:51], v[76:77], v[80:81]
	v_pk_fma_f32 v[76:77], v[64:65], v[18:19], v[82:83] op_sel:[0,0,1] op_sel_hi:[1,0,0]
	v_pk_add_f32 v[72:73], v[78:79], v[72:73]
	v_pk_mul_f32 v[78:79], v[66:67], v[14:15] op_sel:[0,1]
	v_pk_fma_f32 v[64:65], v[64:65], v[18:19], v[82:83] op_sel:[0,0,1] op_sel_hi:[1,1,0] neg_lo:[0,0,1] neg_hi:[0,0,1]
	v_pk_add_f32 v[50:51], v[50:51], v[74:75]
	v_mov_b32_e32 v65, v77
	v_pk_mul_f32 v[82:83], v[68:69], v[10:11] op_sel:[0,1]
	v_pk_fma_f32 v[76:77], v[66:67], v[14:15], v[78:79] op_sel:[0,0,1] op_sel_hi:[1,0,0]
	v_pk_fma_f32 v[78:79], v[66:67], v[14:15], v[78:79] op_sel:[0,0,1] op_sel_hi:[1,1,0] neg_lo:[0,0,1] neg_hi:[0,0,1]
	s_delay_alu instid0(VALU_DEP_2)
	v_mov_b32_e32 v79, v77
	v_pk_add_f32 v[72:73], v[72:73], v[64:65]
	ds_load_b128 v[64:67], v55 offset:1024
	s_wait_dscnt 0x2
	v_pk_mul_f32 v[80:81], v[60:61], v[0:1] op_sel:[0,1]
	v_pk_add_f32 v[72:73], v[72:73], v[78:79]
	v_pk_mul_f32 v[78:79], v[70:71], v[6:7] op_sel:[0,1]
	s_delay_alu instid0(VALU_DEP_3) | instskip(SKIP_3) | instid1(VALU_DEP_3)
	v_pk_fma_f32 v[74:75], v[60:61], v[0:1], v[80:81] op_sel:[0,0,1] op_sel_hi:[1,0,0]
	v_pk_fma_f32 v[76:77], v[60:61], v[0:1], v[80:81] op_sel:[0,0,1] op_sel_hi:[1,1,0] neg_lo:[0,0,1] neg_hi:[0,0,1]
	s_wait_dscnt 0x1
	v_pk_mul_f32 v[80:81], v[62:63], v[24:25] op_sel:[0,1]
	v_mov_b32_e32 v77, v75
	v_pk_fma_f32 v[74:75], v[68:69], v[10:11], v[82:83] op_sel:[0,0,1] op_sel_hi:[1,0,0]
	v_pk_fma_f32 v[68:69], v[68:69], v[10:11], v[82:83] op_sel:[0,0,1] op_sel_hi:[1,1,0] neg_lo:[0,0,1] neg_hi:[0,0,1]
	s_delay_alu instid0(VALU_DEP_2)
	v_mov_b32_e32 v69, v75
	v_pk_fma_f32 v[74:75], v[62:63], v[24:25], v[80:81] op_sel:[0,0,1] op_sel_hi:[1,0,0]
	v_pk_fma_f32 v[80:81], v[62:63], v[24:25], v[80:81] op_sel:[0,0,1] op_sel_hi:[1,1,0] neg_lo:[0,0,1] neg_hi:[0,0,1]
	v_pk_add_f32 v[50:51], v[50:51], v[76:77]
	v_pk_fma_f32 v[76:77], v[70:71], v[6:7], v[78:79] op_sel:[0,0,1] op_sel_hi:[1,0,0]
	v_pk_add_f32 v[72:73], v[72:73], v[68:69]
	v_mov_b32_e32 v81, v75
	v_pk_fma_f32 v[74:75], v[70:71], v[6:7], v[78:79] op_sel:[0,0,1] op_sel_hi:[1,1,0] neg_lo:[0,0,1] neg_hi:[0,0,1]
	ds_load_b128 v[68:71], v55 offset:1040
	v_mov_b32_e32 v75, v77
	s_wait_dscnt 0x1
	v_pk_mul_f32 v[76:77], v[64:65], v[56:57] op_sel:[0,1]
	v_pk_mul_f32 v[78:79], v[60:61], v[2:3] op_sel:[0,1]
	v_pk_add_f32 v[50:51], v[50:51], v[80:81]
	v_pk_add_f32 v[72:73], v[72:73], v[74:75]
	s_delay_alu instid0(VALU_DEP_4) | instskip(NEXT) | instid1(VALU_DEP_4)
	v_pk_fma_f32 v[74:75], v[64:65], v[56:57], v[76:77] op_sel:[0,0,1] op_sel_hi:[1,0,0]
	v_pk_fma_f32 v[80:81], v[60:61], v[2:3], v[78:79] op_sel:[0,0,1] op_sel_hi:[1,1,0] neg_lo:[0,0,1] neg_hi:[0,0,1]
	v_pk_fma_f32 v[60:61], v[60:61], v[2:3], v[78:79] op_sel:[0,0,1] op_sel_hi:[1,0,0]
	v_pk_mul_f32 v[78:79], v[66:67], v[20:21] op_sel:[0,1]
	v_pk_fma_f32 v[56:57], v[64:65], v[56:57], v[76:77] op_sel:[0,0,1] op_sel_hi:[1,1,0] neg_lo:[0,0,1] neg_hi:[0,0,1]
	v_mov_b32_e32 v57, v75
	v_pk_mul_f32 v[74:75], v[62:63], v[26:27] op_sel:[0,1]
	v_mov_b32_e32 v81, v61
	v_pk_fma_f32 v[60:61], v[66:67], v[20:21], v[78:79] op_sel:[0,0,1] op_sel_hi:[1,0,0]
	v_pk_fma_f32 v[20:21], v[66:67], v[20:21], v[78:79] op_sel:[0,0,1] op_sel_hi:[1,1,0] neg_lo:[0,0,1] neg_hi:[0,0,1]
	v_pk_add_f32 v[48:49], v[48:49], v[56:57]
	v_pk_fma_f32 v[76:77], v[62:63], v[26:27], v[74:75] op_sel:[0,0,1] op_sel_hi:[1,1,0] neg_lo:[0,0,1] neg_hi:[0,0,1]
	v_pk_fma_f32 v[74:75], v[62:63], v[26:27], v[74:75] op_sel:[0,0,1] op_sel_hi:[1,0,0]
	v_mov_b32_e32 v21, v61
	ds_load_b128 v[60:63], v55 offset:1056
	s_wait_dscnt 0x1
	v_pk_mul_f32 v[56:57], v[68:69], v[16:17] op_sel:[0,1]
	v_mov_b32_e32 v77, v75
	v_pk_add_f32 v[20:21], v[48:49], v[20:21]
	s_delay_alu instid0(VALU_DEP_3) | instskip(SKIP_2) | instid1(VALU_DEP_3)
	v_pk_fma_f32 v[48:49], v[68:69], v[16:17], v[56:57] op_sel:[0,0,1] op_sel_hi:[1,0,0]
	v_pk_fma_f32 v[16:17], v[68:69], v[16:17], v[56:57] op_sel:[0,0,1] op_sel_hi:[1,1,0] neg_lo:[0,0,1] neg_hi:[0,0,1]
	v_pk_mul_f32 v[56:57], v[64:65], v[58:59] op_sel:[0,1]
	v_mov_b32_e32 v17, v49
	v_pk_mul_f32 v[48:49], v[70:71], v[12:13] op_sel:[0,1]
	s_delay_alu instid0(VALU_DEP_2) | instskip(NEXT) | instid1(VALU_DEP_2)
	v_pk_add_f32 v[16:17], v[20:21], v[16:17]
	v_pk_fma_f32 v[20:21], v[70:71], v[12:13], v[48:49] op_sel:[0,0,1] op_sel_hi:[1,0,0]
	v_pk_fma_f32 v[12:13], v[70:71], v[12:13], v[48:49] op_sel:[0,0,1] op_sel_hi:[1,1,0] neg_lo:[0,0,1] neg_hi:[0,0,1]
	v_pk_add_f32 v[48:49], v[72:73], v[80:81]
	s_delay_alu instid0(VALU_DEP_3) | instskip(SKIP_2) | instid1(VALU_DEP_2)
	v_mov_b32_e32 v13, v21
	s_wait_dscnt 0x0
	v_pk_mul_f32 v[20:21], v[60:61], v[8:9] op_sel:[0,1]
	v_pk_add_f32 v[12:13], v[16:17], v[12:13]
	s_delay_alu instid0(VALU_DEP_2) | instskip(SKIP_2) | instid1(VALU_DEP_3)
	v_pk_fma_f32 v[16:17], v[60:61], v[8:9], v[20:21] op_sel:[0,0,1] op_sel_hi:[1,0,0]
	v_pk_fma_f32 v[8:9], v[60:61], v[8:9], v[20:21] op_sel:[0,0,1] op_sel_hi:[1,1,0] neg_lo:[0,0,1] neg_hi:[0,0,1]
	v_pk_fma_f32 v[20:21], v[64:65], v[58:59], v[56:57] op_sel:[0,0,1] op_sel_hi:[1,1,0] neg_lo:[0,0,1] neg_hi:[0,0,1]
	v_mov_b32_e32 v9, v17
	v_pk_fma_f32 v[16:17], v[64:65], v[58:59], v[56:57] op_sel:[0,0,1] op_sel_hi:[1,0,0]
	ds_load_b128 v[56:59], v55 offset:1072
	s_wait_dscnt 0x0
	s_barrier_signal -1
	v_pk_add_f32 v[8:9], v[12:13], v[8:9]
	v_mov_b32_e32 v21, v17
	v_pk_mul_f32 v[16:17], v[66:67], v[22:23] op_sel:[0,1]
	v_pk_mul_f32 v[12:13], v[62:63], v[4:5] op_sel:[0,1]
	s_barrier_wait -1
	s_delay_alu instid0(VALU_DEP_3) | instskip(NEXT) | instid1(VALU_DEP_3)
	v_pk_add_f32 v[20:21], v[42:43], v[20:21]
	v_pk_fma_f32 v[64:65], v[66:67], v[22:23], v[16:17] op_sel:[0,0,1] op_sel_hi:[1,0,0]
	v_pk_mul_f32 v[42:43], v[68:69], v[18:19] op_sel:[0,1]
	v_pk_fma_f32 v[16:17], v[66:67], v[22:23], v[16:17] op_sel:[0,0,1] op_sel_hi:[1,1,0] neg_lo:[0,0,1] neg_hi:[0,0,1]
	v_pk_fma_f32 v[22:23], v[62:63], v[4:5], v[12:13] op_sel:[0,0,1] op_sel_hi:[1,1,0] neg_lo:[0,0,1] neg_hi:[0,0,1]
	v_pk_fma_f32 v[4:5], v[62:63], v[4:5], v[12:13] op_sel:[0,0,1] op_sel_hi:[1,0,0]
	v_mov_b32_e32 v17, v65
	v_pk_fma_f32 v[64:65], v[68:69], v[18:19], v[42:43] op_sel:[0,0,1] op_sel_hi:[1,0,0]
	v_pk_mul_f32 v[12:13], v[70:71], v[14:15] op_sel:[0,1]
	v_pk_fma_f32 v[18:19], v[68:69], v[18:19], v[42:43] op_sel:[0,0,1] op_sel_hi:[1,1,0] neg_lo:[0,0,1] neg_hi:[0,0,1]
	v_mov_b32_e32 v23, v5
	v_pk_mul_f32 v[42:43], v[60:61], v[10:11] op_sel:[0,1]
	v_mov_b32_e32 v19, v65
	v_pk_add_f32 v[16:17], v[20:21], v[16:17]
	v_pk_fma_f32 v[4:5], v[70:71], v[14:15], v[12:13] op_sel:[0,0,1] op_sel_hi:[1,0,0]
	v_pk_fma_f32 v[12:13], v[70:71], v[14:15], v[12:13] op_sel:[0,0,1] op_sel_hi:[1,1,0] neg_lo:[0,0,1] neg_hi:[0,0,1]
	v_pk_mul_f32 v[20:21], v[56:57], v[0:1] op_sel:[0,1]
	s_delay_alu instid0(VALU_DEP_4) | instskip(NEXT) | instid1(VALU_DEP_4)
	v_pk_add_f32 v[16:17], v[16:17], v[18:19]
	v_mov_b32_e32 v13, v5
	v_pk_add_f32 v[4:5], v[8:9], v[22:23]
	v_pk_fma_f32 v[8:9], v[60:61], v[10:11], v[42:43] op_sel:[0,0,1] op_sel_hi:[1,0,0]
	v_pk_mul_f32 v[18:19], v[62:63], v[6:7] op_sel:[0,1]
	v_pk_fma_f32 v[10:11], v[60:61], v[10:11], v[42:43] op_sel:[0,0,1] op_sel_hi:[1,1,0] neg_lo:[0,0,1] neg_hi:[0,0,1]
	v_pk_fma_f32 v[14:15], v[56:57], v[0:1], v[20:21] op_sel:[0,0,1] op_sel_hi:[1,1,0] neg_lo:[0,0,1] neg_hi:[0,0,1]
	v_pk_add_f32 v[12:13], v[16:17], v[12:13]
	v_mov_b32_e32 v11, v9
	v_pk_fma_f32 v[0:1], v[56:57], v[0:1], v[20:21] op_sel:[0,0,1] op_sel_hi:[1,0,0]
	v_pk_fma_f32 v[8:9], v[62:63], v[6:7], v[18:19] op_sel:[0,0,1] op_sel_hi:[1,0,0]
	v_pk_mul_f32 v[20:21], v[56:57], v[2:3] op_sel:[0,1]
	v_pk_fma_f32 v[6:7], v[62:63], v[6:7], v[18:19] op_sel:[0,0,1] op_sel_hi:[1,1,0] neg_lo:[0,0,1] neg_hi:[0,0,1]
	v_pk_mul_f32 v[16:17], v[58:59], v[24:25] op_sel:[0,1]
	s_delay_alu instid0(VALU_DEP_4)
	v_dual_mov_b32 v15, v1 :: v_dual_mov_b32 v7, v9
	v_pk_add_f32 v[10:11], v[12:13], v[10:11]
	v_pk_fma_f32 v[0:1], v[56:57], v[2:3], v[20:21] op_sel:[0,0,1] op_sel_hi:[1,0,0]
	v_pk_mul_f32 v[12:13], v[58:59], v[26:27] op_sel:[0,1]
	v_pk_fma_f32 v[2:3], v[56:57], v[2:3], v[20:21] op_sel:[0,0,1] op_sel_hi:[1,1,0] neg_lo:[0,0,1] neg_hi:[0,0,1]
	v_pk_fma_f32 v[8:9], v[58:59], v[24:25], v[16:17] op_sel:[0,0,1] op_sel_hi:[1,0,0]
	v_pk_add_f32 v[6:7], v[10:11], v[6:7]
	v_mov_b32_e32 v3, v1
	v_pk_add_f32 v[0:1], v[4:5], v[14:15]
	v_pk_fma_f32 v[4:5], v[58:59], v[26:27], v[12:13] op_sel:[0,0,1] op_sel_hi:[1,0,0]
	v_pk_fma_f32 v[10:11], v[58:59], v[24:25], v[16:17] op_sel:[0,0,1] op_sel_hi:[1,1,0] neg_lo:[0,0,1] neg_hi:[0,0,1]
	v_mov_b32_e32 v11, v9
	v_pk_add_f32 v[2:3], v[6:7], v[2:3]
	v_pk_fma_f32 v[6:7], v[58:59], v[26:27], v[12:13] op_sel:[0,0,1] op_sel_hi:[1,1,0] neg_lo:[0,0,1] neg_hi:[0,0,1]
	v_mov_b32_e32 v7, v5
	v_pk_add_f32 v[24:25], v[48:49], v[76:77]
	v_pk_add_f32 v[48:49], v[0:1], v[10:11]
	s_delay_alu instid0(VALU_DEP_3)
	v_pk_add_f32 v[42:43], v[2:3], v[6:7]
	s_cbranch_vccz .LBB522_11
.LBB522_7:                              ;   Parent Loop BB522_4 Depth=1
                                        ; =>  This Inner Loop Header: Depth=2
	v_add_nc_u64_e32 v[0:1], s[26:27], v[28:29]
	v_dual_mov_b32 v2, 0 :: v_dual_mov_b32 v3, 0
	s_delay_alu instid0(VALU_DEP_2) | instskip(SKIP_1) | instid1(SALU_CYCLE_1)
	v_cmp_gt_i64_e32 vcc_lo, s[8:9], v[0:1]
	s_and_b32 s37, s0, vcc_lo
	s_and_saveexec_b32 s36, s37
	s_cbranch_execz .LBB522_9
; %bb.8:                                ;   in Loop: Header=BB522_7 Depth=2
	global_load_b64 v[2:3], v[46:47], off
.LBB522_9:                              ;   in Loop: Header=BB522_7 Depth=2
	s_wait_xcnt 0x0
	s_or_b32 exec_lo, exec_lo, s36
	v_add_nc_u64_e32 v[0:1], s[26:27], v[30:31]
	s_wait_loadcnt 0x0
	ds_store_b64 v52, v[2:3]
	v_cmp_gt_i64_e32 vcc_lo, s[8:9], v[0:1]
	v_dual_mov_b32 v0, 0 :: v_dual_mov_b32 v1, 0
	s_and_b32 s37, vcc_lo, s1
	s_delay_alu instid0(SALU_CYCLE_1)
	s_and_saveexec_b32 s36, s37
	s_cbranch_execz .LBB522_6
; %bb.10:                               ;   in Loop: Header=BB522_7 Depth=2
	global_load_b64 v[0:1], v[44:45], off
	s_branch .LBB522_6
.LBB522_11:                             ;   in Loop: Header=BB522_4 Depth=1
	s_mul_u64 s[26:27], s[30:31], s[34:35]
	s_and_not1_b32 vcc_lo, exec_lo, s42
	s_lshl_b64 s[26:27], s[26:27], 3
	s_mov_b32 s36, -1
	s_add_nc_u64 s[26:27], s[18:19], s[26:27]
	s_cbranch_vccz .LBB522_13
; %bb.12:                               ;   in Loop: Header=BB522_4 Depth=1
	s_and_not1_b32 vcc_lo, exec_lo, s36
	s_cbranch_vccnz .LBB522_3
	s_branch .LBB522_24
.LBB522_13:                             ;   in Loop: Header=BB522_4 Depth=1
	s_and_saveexec_b32 s36, s2
	s_cbranch_execz .LBB522_23
; %bb.14:                               ;   in Loop: Header=BB522_4 Depth=1
	v_lshl_add_u64 v[0:1], v[34:35], 3, s[26:27]
	s_delay_alu instid0(VALU_DEP_1)
	v_lshl_add_u64 v[2:3], v[32:33], 3, v[0:1]
	s_and_saveexec_b32 s37, s3
	s_cbranch_execnz .LBB522_17
; %bb.15:                               ;   in Loop: Header=BB522_4 Depth=1
	s_or_b32 exec_lo, exec_lo, s37
	s_and_saveexec_b32 s37, s4
	s_cbranch_execnz .LBB522_18
.LBB522_16:                             ;   in Loop: Header=BB522_4 Depth=1
	s_or_b32 exec_lo, exec_lo, s37
	s_delay_alu instid0(SALU_CYCLE_1)
	s_and_b32 exec_lo, exec_lo, s5
	s_cbranch_execnz .LBB522_19
	s_branch .LBB522_23
.LBB522_17:                             ;   in Loop: Header=BB522_4 Depth=1
	v_mov_b64_e32 v[4:5], s[22:23]
	v_mov_b64_e32 v[6:7], s[10:11]
	s_delay_alu instid0(VALU_DEP_2) | instskip(NEXT) | instid1(VALU_DEP_1)
	v_pk_mul_f32 v[4:5], v[50:51], v[4:5] op_sel:[1,0] op_sel_hi:[0,1]
	v_pk_fma_f32 v[8:9], v[50:51], v[6:7], v[4:5]
	v_pk_fma_f32 v[4:5], v[50:51], v[6:7], v[4:5] neg_lo:[0,0,1] neg_hi:[0,0,1]
	s_delay_alu instid0(VALU_DEP_2)
	v_mov_b32_e32 v5, v9
	global_store_b64 v[2:3], v[4:5], off
	s_wait_xcnt 0x0
	s_or_b32 exec_lo, exec_lo, s37
	s_and_saveexec_b32 s37, s4
	s_cbranch_execz .LBB522_16
.LBB522_18:                             ;   in Loop: Header=BB522_4 Depth=1
	v_mov_b64_e32 v[4:5], s[22:23]
	v_mov_b64_e32 v[6:7], s[10:11]
	s_delay_alu instid0(VALU_DEP_2) | instskip(NEXT) | instid1(VALU_DEP_1)
	v_pk_mul_f32 v[4:5], v[24:25], v[4:5] op_sel:[1,0] op_sel_hi:[0,1]
	v_pk_fma_f32 v[8:9], v[24:25], v[6:7], v[4:5]
	v_pk_fma_f32 v[4:5], v[24:25], v[6:7], v[4:5] neg_lo:[0,0,1] neg_hi:[0,0,1]
	s_delay_alu instid0(VALU_DEP_2) | instskip(SKIP_3) | instid1(SALU_CYCLE_1)
	v_mov_b32_e32 v5, v9
	global_store_b64 v[2:3], v[4:5], off offset:128
	s_wait_xcnt 0x0
	s_or_b32 exec_lo, exec_lo, s37
	s_and_b32 exec_lo, exec_lo, s5
	s_cbranch_execz .LBB522_23
.LBB522_19:                             ;   in Loop: Header=BB522_4 Depth=1
	v_lshl_add_u64 v[0:1], s[6:7], 3, v[0:1]
	s_delay_alu instid0(VALU_DEP_1)
	v_lshl_add_u64 v[0:1], v[32:33], 3, v[0:1]
	s_and_saveexec_b32 s37, s3
	s_cbranch_execz .LBB522_21
; %bb.20:                               ;   in Loop: Header=BB522_4 Depth=1
	v_mov_b64_e32 v[2:3], s[22:23]
	v_mov_b64_e32 v[4:5], s[10:11]
	s_delay_alu instid0(VALU_DEP_2) | instskip(NEXT) | instid1(VALU_DEP_1)
	v_pk_mul_f32 v[2:3], v[48:49], v[2:3] op_sel:[1,0] op_sel_hi:[0,1]
	v_pk_fma_f32 v[6:7], v[48:49], v[4:5], v[2:3]
	v_pk_fma_f32 v[2:3], v[48:49], v[4:5], v[2:3] neg_lo:[0,0,1] neg_hi:[0,0,1]
	s_delay_alu instid0(VALU_DEP_2)
	v_mov_b32_e32 v3, v7
	global_store_b64 v[0:1], v[2:3], off
.LBB522_21:                             ;   in Loop: Header=BB522_4 Depth=1
	s_wait_xcnt 0x0
	s_or_b32 exec_lo, exec_lo, s37
	s_delay_alu instid0(SALU_CYCLE_1)
	s_and_b32 exec_lo, exec_lo, s4
	s_cbranch_execz .LBB522_23
; %bb.22:                               ;   in Loop: Header=BB522_4 Depth=1
	v_mov_b64_e32 v[2:3], s[22:23]
	v_mov_b64_e32 v[4:5], s[10:11]
	s_delay_alu instid0(VALU_DEP_2) | instskip(NEXT) | instid1(VALU_DEP_1)
	v_pk_mul_f32 v[2:3], v[42:43], v[2:3] op_sel:[1,0] op_sel_hi:[0,1]
	v_pk_fma_f32 v[6:7], v[42:43], v[4:5], v[2:3]
	v_pk_fma_f32 v[2:3], v[42:43], v[4:5], v[2:3] neg_lo:[0,0,1] neg_hi:[0,0,1]
	s_delay_alu instid0(VALU_DEP_2)
	v_mov_b32_e32 v3, v7
	global_store_b64 v[0:1], v[2:3], off offset:128
.LBB522_23:                             ;   in Loop: Header=BB522_4 Depth=1
	s_wait_xcnt 0x0
	s_or_b32 exec_lo, exec_lo, s36
	s_cbranch_execnz .LBB522_3
.LBB522_24:                             ;   in Loop: Header=BB522_4 Depth=1
	s_and_saveexec_b32 s36, s2
	s_cbranch_execz .LBB522_2
; %bb.25:                               ;   in Loop: Header=BB522_4 Depth=1
	s_mul_u64 s[38:39], s[16:17], s[34:35]
	v_lshlrev_b64_e32 v[0:1], 3, v[32:33]
	v_lshl_add_u64 v[2:3], s[38:39], 3, v[36:37]
	v_lshl_add_u64 v[4:5], v[34:35], 3, s[26:27]
	s_delay_alu instid0(VALU_DEP_2) | instskip(NEXT) | instid1(VALU_DEP_2)
	v_add_nc_u64_e32 v[8:9], v[2:3], v[0:1]
	v_add_nc_u64_e32 v[6:7], v[4:5], v[0:1]
	s_and_saveexec_b32 s26, s3
	s_cbranch_execnz .LBB522_28
; %bb.26:                               ;   in Loop: Header=BB522_4 Depth=1
	s_or_b32 exec_lo, exec_lo, s26
	s_and_saveexec_b32 s26, s4
	s_cbranch_execnz .LBB522_29
.LBB522_27:                             ;   in Loop: Header=BB522_4 Depth=1
	s_or_b32 exec_lo, exec_lo, s26
	s_delay_alu instid0(SALU_CYCLE_1)
	s_and_b32 exec_lo, exec_lo, s5
	s_cbranch_execz .LBB522_2
	s_branch .LBB522_30
.LBB522_28:                             ;   in Loop: Header=BB522_4 Depth=1
	global_load_b64 v[10:11], v[8:9], off
	v_mov_b64_e32 v[12:13], s[22:23]
	v_mov_b64_e32 v[14:15], s[28:29]
	;; [unrolled: 1-line block ×4, first 2 shown]
	s_delay_alu instid0(VALU_DEP_4) | instskip(NEXT) | instid1(VALU_DEP_1)
	v_pk_mul_f32 v[12:13], v[50:51], v[12:13] op_sel:[1,0] op_sel_hi:[0,1]
	v_pk_fma_f32 v[20:21], v[50:51], v[16:17], v[12:13]
	v_pk_fma_f32 v[12:13], v[50:51], v[16:17], v[12:13] neg_lo:[0,0,1] neg_hi:[0,0,1]
	s_wait_loadcnt 0x0
	v_pk_mul_f32 v[14:15], v[10:11], v[14:15] op_sel:[1,0] op_sel_hi:[0,1]
	s_delay_alu instid0(VALU_DEP_1) | instskip(SKIP_1) | instid1(VALU_DEP_2)
	v_pk_fma_f32 v[22:23], v[10:11], v[18:19], v[14:15]
	v_pk_fma_f32 v[10:11], v[10:11], v[18:19], v[14:15] neg_lo:[0,0,1] neg_hi:[0,0,1]
	v_dual_mov_b32 v13, v21 :: v_dual_mov_b32 v11, v23
	s_delay_alu instid0(VALU_DEP_1)
	v_pk_add_f32 v[10:11], v[12:13], v[10:11]
	global_store_b64 v[6:7], v[10:11], off
	s_wait_xcnt 0x0
	s_or_b32 exec_lo, exec_lo, s26
	s_and_saveexec_b32 s26, s4
	s_cbranch_execz .LBB522_27
.LBB522_29:                             ;   in Loop: Header=BB522_4 Depth=1
	global_load_b64 v[8:9], v[8:9], off offset:128
	v_mov_b64_e32 v[10:11], s[22:23]
	v_mov_b64_e32 v[12:13], s[28:29]
	;; [unrolled: 1-line block ×4, first 2 shown]
	s_delay_alu instid0(VALU_DEP_4) | instskip(NEXT) | instid1(VALU_DEP_1)
	v_pk_mul_f32 v[10:11], v[24:25], v[10:11] op_sel:[1,0] op_sel_hi:[0,1]
	v_pk_fma_f32 v[18:19], v[24:25], v[14:15], v[10:11]
	v_pk_fma_f32 v[10:11], v[24:25], v[14:15], v[10:11] neg_lo:[0,0,1] neg_hi:[0,0,1]
	s_wait_loadcnt 0x0
	v_pk_mul_f32 v[12:13], v[8:9], v[12:13] op_sel:[1,0] op_sel_hi:[0,1]
	s_delay_alu instid0(VALU_DEP_1) | instskip(SKIP_2) | instid1(VALU_DEP_2)
	v_pk_fma_f32 v[20:21], v[8:9], v[16:17], v[12:13]
	s_wait_xcnt 0x0
	v_pk_fma_f32 v[8:9], v[8:9], v[16:17], v[12:13] neg_lo:[0,0,1] neg_hi:[0,0,1]
	v_dual_mov_b32 v11, v19 :: v_dual_mov_b32 v9, v21
	s_delay_alu instid0(VALU_DEP_1) | instskip(SKIP_3) | instid1(SALU_CYCLE_1)
	v_pk_add_f32 v[8:9], v[10:11], v[8:9]
	global_store_b64 v[6:7], v[8:9], off offset:128
	s_wait_xcnt 0x0
	s_or_b32 exec_lo, exec_lo, s26
	s_and_b32 exec_lo, exec_lo, s5
	s_cbranch_execz .LBB522_2
.LBB522_30:                             ;   in Loop: Header=BB522_4 Depth=1
	v_lshl_add_u64 v[2:3], s[14:15], 3, v[2:3]
	v_lshl_add_u64 v[4:5], s[6:7], 3, v[4:5]
	s_delay_alu instid0(VALU_DEP_2) | instskip(NEXT) | instid1(VALU_DEP_2)
	v_add_nc_u64_e32 v[2:3], v[2:3], v[0:1]
	v_add_nc_u64_e32 v[0:1], v[4:5], v[0:1]
	s_and_saveexec_b32 s26, s3
	s_cbranch_execz .LBB522_32
; %bb.31:                               ;   in Loop: Header=BB522_4 Depth=1
	global_load_b64 v[4:5], v[2:3], off
	v_mov_b64_e32 v[6:7], s[22:23]
	v_mov_b64_e32 v[8:9], s[28:29]
	;; [unrolled: 1-line block ×4, first 2 shown]
	s_delay_alu instid0(VALU_DEP_4) | instskip(NEXT) | instid1(VALU_DEP_1)
	v_pk_mul_f32 v[6:7], v[48:49], v[6:7] op_sel:[1,0] op_sel_hi:[0,1]
	v_pk_fma_f32 v[14:15], v[48:49], v[10:11], v[6:7]
	v_pk_fma_f32 v[6:7], v[48:49], v[10:11], v[6:7] neg_lo:[0,0,1] neg_hi:[0,0,1]
	s_wait_loadcnt 0x0
	v_pk_mul_f32 v[8:9], v[4:5], v[8:9] op_sel:[1,0] op_sel_hi:[0,1]
	s_delay_alu instid0(VALU_DEP_1) | instskip(SKIP_1) | instid1(VALU_DEP_2)
	v_pk_fma_f32 v[16:17], v[4:5], v[12:13], v[8:9]
	v_pk_fma_f32 v[4:5], v[4:5], v[12:13], v[8:9] neg_lo:[0,0,1] neg_hi:[0,0,1]
	v_dual_mov_b32 v7, v15 :: v_dual_mov_b32 v5, v17
	s_delay_alu instid0(VALU_DEP_1)
	v_pk_add_f32 v[4:5], v[6:7], v[4:5]
	global_store_b64 v[0:1], v[4:5], off
.LBB522_32:                             ;   in Loop: Header=BB522_4 Depth=1
	s_wait_xcnt 0x0
	s_or_b32 exec_lo, exec_lo, s26
	s_delay_alu instid0(SALU_CYCLE_1)
	s_and_b32 exec_lo, exec_lo, s4
	s_cbranch_execz .LBB522_2
; %bb.33:                               ;   in Loop: Header=BB522_4 Depth=1
	global_load_b64 v[2:3], v[2:3], off offset:128
	v_mov_b64_e32 v[4:5], s[22:23]
	v_mov_b64_e32 v[6:7], s[28:29]
	;; [unrolled: 1-line block ×4, first 2 shown]
	s_delay_alu instid0(VALU_DEP_4) | instskip(NEXT) | instid1(VALU_DEP_1)
	v_pk_mul_f32 v[4:5], v[42:43], v[4:5] op_sel:[1,0] op_sel_hi:[0,1]
	v_pk_fma_f32 v[12:13], v[42:43], v[8:9], v[4:5]
	v_pk_fma_f32 v[4:5], v[42:43], v[8:9], v[4:5] neg_lo:[0,0,1] neg_hi:[0,0,1]
	s_wait_loadcnt 0x0
	v_pk_mul_f32 v[6:7], v[2:3], v[6:7] op_sel:[1,0] op_sel_hi:[0,1]
	s_delay_alu instid0(VALU_DEP_1) | instskip(SKIP_2) | instid1(VALU_DEP_2)
	v_pk_fma_f32 v[14:15], v[2:3], v[10:11], v[6:7]
	s_wait_xcnt 0x0
	v_pk_fma_f32 v[2:3], v[2:3], v[10:11], v[6:7] neg_lo:[0,0,1] neg_hi:[0,0,1]
	v_dual_mov_b32 v5, v13 :: v_dual_mov_b32 v3, v15
	s_delay_alu instid0(VALU_DEP_1)
	v_pk_add_f32 v[2:3], v[4:5], v[2:3]
	global_store_b64 v[0:1], v[2:3], off offset:128
	s_branch .LBB522_2
.LBB522_34:
	s_sendmsg sendmsg(MSG_DEALLOC_VGPRS)
	s_endpgm
	.section	.rodata,"a",@progbits
	.p2align	6, 0x0
	.amdhsa_kernel _ZN12_GLOBAL__N_135rocblas_gemm_batched_general_kernelI19rocblas_complex_numIfELi16ELi16ELi32ELi32ELi8ELi32ELi8ELi8ELi32ELc84ELc84EKS2_S3_S2_EEvlllT_PT11_llS6_llS4_PT12_llPT13_lli
		.amdhsa_group_segment_fixed_size 4096
		.amdhsa_private_segment_fixed_size 0
		.amdhsa_kernarg_size 140
		.amdhsa_user_sgpr_count 2
		.amdhsa_user_sgpr_dispatch_ptr 0
		.amdhsa_user_sgpr_queue_ptr 0
		.amdhsa_user_sgpr_kernarg_segment_ptr 1
		.amdhsa_user_sgpr_dispatch_id 0
		.amdhsa_user_sgpr_kernarg_preload_length 0
		.amdhsa_user_sgpr_kernarg_preload_offset 0
		.amdhsa_user_sgpr_private_segment_size 0
		.amdhsa_wavefront_size32 1
		.amdhsa_uses_dynamic_stack 0
		.amdhsa_enable_private_segment 0
		.amdhsa_system_sgpr_workgroup_id_x 1
		.amdhsa_system_sgpr_workgroup_id_y 1
		.amdhsa_system_sgpr_workgroup_id_z 1
		.amdhsa_system_sgpr_workgroup_info 0
		.amdhsa_system_vgpr_workitem_id 1
		.amdhsa_next_free_vgpr 84
		.amdhsa_next_free_sgpr 44
		.amdhsa_named_barrier_count 0
		.amdhsa_reserve_vcc 1
		.amdhsa_float_round_mode_32 0
		.amdhsa_float_round_mode_16_64 0
		.amdhsa_float_denorm_mode_32 3
		.amdhsa_float_denorm_mode_16_64 3
		.amdhsa_fp16_overflow 0
		.amdhsa_memory_ordered 1
		.amdhsa_forward_progress 1
		.amdhsa_inst_pref_size 27
		.amdhsa_round_robin_scheduling 0
		.amdhsa_exception_fp_ieee_invalid_op 0
		.amdhsa_exception_fp_denorm_src 0
		.amdhsa_exception_fp_ieee_div_zero 0
		.amdhsa_exception_fp_ieee_overflow 0
		.amdhsa_exception_fp_ieee_underflow 0
		.amdhsa_exception_fp_ieee_inexact 0
		.amdhsa_exception_int_div_zero 0
	.end_amdhsa_kernel
	.section	.text._ZN12_GLOBAL__N_135rocblas_gemm_batched_general_kernelI19rocblas_complex_numIfELi16ELi16ELi32ELi32ELi8ELi32ELi8ELi8ELi32ELc84ELc84EKS2_S3_S2_EEvlllT_PT11_llS6_llS4_PT12_llPT13_lli,"axG",@progbits,_ZN12_GLOBAL__N_135rocblas_gemm_batched_general_kernelI19rocblas_complex_numIfELi16ELi16ELi32ELi32ELi8ELi32ELi8ELi8ELi32ELc84ELc84EKS2_S3_S2_EEvlllT_PT11_llS6_llS4_PT12_llPT13_lli,comdat
.Lfunc_end522:
	.size	_ZN12_GLOBAL__N_135rocblas_gemm_batched_general_kernelI19rocblas_complex_numIfELi16ELi16ELi32ELi32ELi8ELi32ELi8ELi8ELi32ELc84ELc84EKS2_S3_S2_EEvlllT_PT11_llS6_llS4_PT12_llPT13_lli, .Lfunc_end522-_ZN12_GLOBAL__N_135rocblas_gemm_batched_general_kernelI19rocblas_complex_numIfELi16ELi16ELi32ELi32ELi8ELi32ELi8ELi8ELi32ELc84ELc84EKS2_S3_S2_EEvlllT_PT11_llS6_llS4_PT12_llPT13_lli
                                        ; -- End function
	.set _ZN12_GLOBAL__N_135rocblas_gemm_batched_general_kernelI19rocblas_complex_numIfELi16ELi16ELi32ELi32ELi8ELi32ELi8ELi8ELi32ELc84ELc84EKS2_S3_S2_EEvlllT_PT11_llS6_llS4_PT12_llPT13_lli.num_vgpr, 84
	.set _ZN12_GLOBAL__N_135rocblas_gemm_batched_general_kernelI19rocblas_complex_numIfELi16ELi16ELi32ELi32ELi8ELi32ELi8ELi8ELi32ELc84ELc84EKS2_S3_S2_EEvlllT_PT11_llS6_llS4_PT12_llPT13_lli.num_agpr, 0
	.set _ZN12_GLOBAL__N_135rocblas_gemm_batched_general_kernelI19rocblas_complex_numIfELi16ELi16ELi32ELi32ELi8ELi32ELi8ELi8ELi32ELc84ELc84EKS2_S3_S2_EEvlllT_PT11_llS6_llS4_PT12_llPT13_lli.numbered_sgpr, 44
	.set _ZN12_GLOBAL__N_135rocblas_gemm_batched_general_kernelI19rocblas_complex_numIfELi16ELi16ELi32ELi32ELi8ELi32ELi8ELi8ELi32ELc84ELc84EKS2_S3_S2_EEvlllT_PT11_llS6_llS4_PT12_llPT13_lli.num_named_barrier, 0
	.set _ZN12_GLOBAL__N_135rocblas_gemm_batched_general_kernelI19rocblas_complex_numIfELi16ELi16ELi32ELi32ELi8ELi32ELi8ELi8ELi32ELc84ELc84EKS2_S3_S2_EEvlllT_PT11_llS6_llS4_PT12_llPT13_lli.private_seg_size, 0
	.set _ZN12_GLOBAL__N_135rocblas_gemm_batched_general_kernelI19rocblas_complex_numIfELi16ELi16ELi32ELi32ELi8ELi32ELi8ELi8ELi32ELc84ELc84EKS2_S3_S2_EEvlllT_PT11_llS6_llS4_PT12_llPT13_lli.uses_vcc, 1
	.set _ZN12_GLOBAL__N_135rocblas_gemm_batched_general_kernelI19rocblas_complex_numIfELi16ELi16ELi32ELi32ELi8ELi32ELi8ELi8ELi32ELc84ELc84EKS2_S3_S2_EEvlllT_PT11_llS6_llS4_PT12_llPT13_lli.uses_flat_scratch, 0
	.set _ZN12_GLOBAL__N_135rocblas_gemm_batched_general_kernelI19rocblas_complex_numIfELi16ELi16ELi32ELi32ELi8ELi32ELi8ELi8ELi32ELc84ELc84EKS2_S3_S2_EEvlllT_PT11_llS6_llS4_PT12_llPT13_lli.has_dyn_sized_stack, 0
	.set _ZN12_GLOBAL__N_135rocblas_gemm_batched_general_kernelI19rocblas_complex_numIfELi16ELi16ELi32ELi32ELi8ELi32ELi8ELi8ELi32ELc84ELc84EKS2_S3_S2_EEvlllT_PT11_llS6_llS4_PT12_llPT13_lli.has_recursion, 0
	.set _ZN12_GLOBAL__N_135rocblas_gemm_batched_general_kernelI19rocblas_complex_numIfELi16ELi16ELi32ELi32ELi8ELi32ELi8ELi8ELi32ELc84ELc84EKS2_S3_S2_EEvlllT_PT11_llS6_llS4_PT12_llPT13_lli.has_indirect_call, 0
	.section	.AMDGPU.csdata,"",@progbits
; Kernel info:
; codeLenInByte = 3388
; TotalNumSgprs: 46
; NumVgprs: 84
; ScratchSize: 0
; MemoryBound: 0
; FloatMode: 240
; IeeeMode: 1
; LDSByteSize: 4096 bytes/workgroup (compile time only)
; SGPRBlocks: 0
; VGPRBlocks: 5
; NumSGPRsForWavesPerEU: 46
; NumVGPRsForWavesPerEU: 84
; NamedBarCnt: 0
; Occupancy: 10
; WaveLimiterHint : 0
; COMPUTE_PGM_RSRC2:SCRATCH_EN: 0
; COMPUTE_PGM_RSRC2:USER_SGPR: 2
; COMPUTE_PGM_RSRC2:TRAP_HANDLER: 0
; COMPUTE_PGM_RSRC2:TGID_X_EN: 1
; COMPUTE_PGM_RSRC2:TGID_Y_EN: 1
; COMPUTE_PGM_RSRC2:TGID_Z_EN: 1
; COMPUTE_PGM_RSRC2:TIDIG_COMP_CNT: 1
	.section	.text._ZN12_GLOBAL__N_135rocblas_gemm_batched_general_kernelI19rocblas_complex_numIfELi16ELi16ELi32ELi32ELi8ELi32ELi8ELi8ELi32ELc67ELc67EKS2_S3_S2_EEvlllT_PT11_llS6_llS4_PT12_llPT13_lli,"axG",@progbits,_ZN12_GLOBAL__N_135rocblas_gemm_batched_general_kernelI19rocblas_complex_numIfELi16ELi16ELi32ELi32ELi8ELi32ELi8ELi8ELi32ELc67ELc67EKS2_S3_S2_EEvlllT_PT11_llS6_llS4_PT12_llPT13_lli,comdat
	.globl	_ZN12_GLOBAL__N_135rocblas_gemm_batched_general_kernelI19rocblas_complex_numIfELi16ELi16ELi32ELi32ELi8ELi32ELi8ELi8ELi32ELc67ELc67EKS2_S3_S2_EEvlllT_PT11_llS6_llS4_PT12_llPT13_lli ; -- Begin function _ZN12_GLOBAL__N_135rocblas_gemm_batched_general_kernelI19rocblas_complex_numIfELi16ELi16ELi32ELi32ELi8ELi32ELi8ELi8ELi32ELc67ELc67EKS2_S3_S2_EEvlllT_PT11_llS6_llS4_PT12_llPT13_lli
	.p2align	8
	.type	_ZN12_GLOBAL__N_135rocblas_gemm_batched_general_kernelI19rocblas_complex_numIfELi16ELi16ELi32ELi32ELi8ELi32ELi8ELi8ELi32ELc67ELc67EKS2_S3_S2_EEvlllT_PT11_llS6_llS4_PT12_llPT13_lli,@function
_ZN12_GLOBAL__N_135rocblas_gemm_batched_general_kernelI19rocblas_complex_numIfELi16ELi16ELi32ELi32ELi8ELi32ELi8ELi8ELi32ELc67ELc67EKS2_S3_S2_EEvlllT_PT11_llS6_llS4_PT12_llPT13_lli: ; @_ZN12_GLOBAL__N_135rocblas_gemm_batched_general_kernelI19rocblas_complex_numIfELi16ELi16ELi32ELi32ELi8ELi32ELi8ELi8ELi32ELc67ELc67EKS2_S3_S2_EEvlllT_PT11_llS6_llS4_PT12_llPT13_lli
; %bb.0:
	s_load_b32 s33, s[0:1], 0x88
	s_bfe_u32 s2, ttmp6, 0x40014
	s_lshr_b32 s3, ttmp7, 16
	s_add_co_i32 s2, s2, 1
	s_bfe_u32 s5, ttmp6, 0x40008
	s_mul_i32 s4, s3, s2
	s_getreg_b32 s2, hwreg(HW_REG_IB_STS2, 6, 4)
	s_add_co_i32 s5, s5, s4
	s_cmp_eq_u32 s2, 0
	s_mov_b32 s7, 0
	s_cselect_b32 s6, s3, s5
	s_wait_kmcnt 0x0
	s_cmp_ge_i32 s6, s33
	s_cbranch_scc1 .LBB523_38
; %bb.1:
	s_clause 0x2
	s_load_b256 s[8:15], s[0:1], 0x0
	s_load_b256 s[24:31], s[0:1], 0x20
	s_load_b128 s[40:43], s[0:1], 0x40
	v_dual_mov_b32 v29, 0 :: v_dual_bitop2_b32 v30, 7, v0 bitop3:0x40
	v_bfe_u32 v2, v0, 10, 10
	v_and_b32_e32 v4, 0x3ff, v0
	s_clause 0x2
	s_load_b128 s[36:39], s[0:1], 0x78
	s_load_b256 s[16:23], s[0:1], 0x58
	s_load_b64 s[34:35], s[0:1], 0x50
	s_wait_xcnt 0x0
	s_bfe_u32 s0, ttmp6, 0x4000c
	s_bfe_u32 s3, ttmp6, 0x40010
	s_add_co_i32 s0, s0, 1
	s_and_b32 s4, ttmp7, 0xffff
	s_add_co_i32 s3, s3, 1
	s_and_b32 s1, ttmp6, 15
	s_mul_i32 s0, ttmp9, s0
	s_mul_i32 s3, s4, s3
	s_bfe_u32 s5, ttmp6, 0x40004
	v_lshl_add_u32 v14, v2, 4, v4
	v_mov_b32_e32 v31, v29
	s_add_co_i32 s1, s1, s0
	s_add_co_i32 s5, s5, s3
	s_cmp_eq_u32 s2, 0
	v_and_b32_e32 v12, 31, v14
	s_cselect_b32 s0, ttmp9, s1
	s_wait_kmcnt 0x0
	v_mul_u64_e32 v[0:1], s[40:41], v[30:31]
	s_cselect_b32 s5, s4, s5
	s_ashr_i32 s1, s0, 31
	v_dual_mov_b32 v7, v29 :: v_dual_lshrrev_b32 v6, 3, v14
	s_lshl_b64 s[0:1], s[0:1], 5
	v_dual_lshlrev_b32 v13, 3, v30 :: v_dual_lshlrev_b32 v15, 3, v12
	v_dual_mov_b32 v9, s1 :: v_dual_bitop2_b32 v8, s0, v12 bitop3:0x54
	s_lshl_b32 s2, s5, 5
	s_mov_b32 s3, s7
	s_delay_alu instid0(VALU_DEP_2)
	v_lshl_or_b32 v16, v6, 6, v13
	v_add_nc_u64_e32 v[10:11], s[2:3], v[6:7]
	v_mul_u64_e32 v[6:7], s[26:27], v[8:9]
	v_dual_mov_b32 v3, v29 :: v_dual_mov_b32 v5, v29
	v_cmp_gt_i64_e32 vcc_lo, s[8:9], v[8:9]
	v_lshl_add_u32 v55, v2, 6, 0x800
	v_dual_lshrrev_b32 v28, 5, v14 :: v_dual_lshlrev_b32 v54, 3, v4
	s_delay_alu instid0(VALU_DEP_4)
	v_add_nc_u64_e32 v[12:13], s[2:3], v[2:3]
	v_add_nc_u64_e32 v[32:33], s[0:1], v[4:5]
	s_or_b32 s2, s34, s35
	s_mov_b32 s1, s7
	s_bitset0_b32 s2, 31
	v_and_b32_e32 v4, 0x1ff8, v14
	s_cmp_eq_u32 s2, 0
	v_mul_u64_e32 v[8:9], s[18:19], v[12:13]
	v_add_nc_u64_e32 v[2:3], 16, v[32:33]
	v_mul_u64_e32 v[34:35], s[36:37], v[12:13]
	s_cselect_b32 s44, -1, 0
	s_lshl_b32 s0, s5, 8
	v_cmp_gt_i64_e64 s4, s[10:11], v[10:11]
	v_lshl_add_u64 v[0:1], v[0:1], 3, s[0:1]
	v_cmp_gt_i64_e64 s0, s[10:11], v[12:13]
	v_cmp_gt_i64_e64 s2, s[8:9], v[2:3]
	v_add_nc_u64_e32 v[2:3], 16, v[12:13]
	v_cmp_gt_i64_e64 s1, s[8:9], v[32:33]
	v_add_nc_u64_e32 v[0:1], v[0:1], v[4:5]
	v_lshlrev_b32_e32 v4, 3, v28
	v_lshl_or_b32 v52, v28, 8, v15
	v_add_nc_u32_e32 v53, 0x800, v16
	s_mov_b32 s8, s15
	v_cmp_gt_i64_e64 s3, s[10:11], v[2:3]
	s_mov_b32 s9, s15
	v_lshl_add_u64 v[2:3], v[6:7], 3, v[4:5]
	v_add_nc_u64_e32 v[0:1], s[30:31], v[0:1]
	v_cmp_gt_i64_e64 s30, s[12:13], 0
	s_mov_b32 s15, s14
	s_lshl_b64 s[10:11], s[36:37], 4
	v_add_nc_u64_e32 v[2:3], s[24:25], v[2:3]
	s_mov_b32 s26, s35
	s_mov_b32 s27, s35
	v_add_nc_u64_e32 v[38:39], 4, v[0:1]
	s_mov_b32 s35, s34
	s_lshl_b64 s[18:19], s[18:19], 4
	s_lshl_b64 s[24:25], s[40:41], 6
	v_add_nc_u64_e32 v[40:41], 4, v[2:3]
	s_lshl_b64 s[28:29], s[28:29], 3
	v_lshl_add_u64 v[36:37], v[8:9], 3, s[16:17]
	s_lshl_b64 s[16:17], s[42:43], 3
	s_xor_b32 s31, vcc_lo, -1
	s_xor_b32 s36, s4, -1
	s_branch .LBB523_4
.LBB523_2:                              ;   in Loop: Header=BB523_4 Depth=1
	s_wait_xcnt 0x0
	s_or_b32 exec_lo, exec_lo, s37
.LBB523_3:                              ;   in Loop: Header=BB523_4 Depth=1
	s_add_co_i32 s6, s6, 0x10000
	s_delay_alu instid0(SALU_CYCLE_1)
	s_cmp_lt_i32 s6, s33
	s_cbranch_scc0 .LBB523_38
.LBB523_4:                              ; =>This Loop Header: Depth=1
                                        ;     Child Loop BB523_7 Depth 2
	v_dual_mov_b32 v51, 0 :: v_dual_mov_b32 v50, 0
	v_dual_mov_b32 v25, 0 :: v_dual_mov_b32 v24, 0
	v_dual_mov_b32 v49, 0 :: v_dual_mov_b32 v48, 0
	v_dual_mov_b32 v43, 0 :: v_dual_mov_b32 v42, 0
	s_and_not1_b32 vcc_lo, exec_lo, s30
	s_cbranch_vccnz .LBB523_15
; %bb.5:                                ;   in Loop: Header=BB523_4 Depth=1
	v_mad_nc_u64_u32 v[44:45], s16, s6, v[38:39]
	v_mad_nc_u64_u32 v[46:47], s28, s6, v[40:41]
	v_mov_b32_e32 v42, 0
	s_mov_b64 s[4:5], 0
	s_delay_alu instid0(VALU_DEP_1)
	v_dual_mov_b32 v43, v42 :: v_dual_mov_b32 v48, v42
	v_dual_mov_b32 v49, v42 :: v_dual_mov_b32 v24, v42
	v_mad_u32 v45, s17, s6, v45
	v_mad_u32 v47, s29, s6, v47
	v_dual_mov_b32 v25, v42 :: v_dual_mov_b32 v50, v42
	v_mov_b32_e32 v51, v42
	s_branch .LBB523_7
.LBB523_6:                              ;   in Loop: Header=BB523_7 Depth=2
	s_wait_xcnt 0x0
	s_or_b32 exec_lo, exec_lo, s37
	ds_store_b32 v53, v0 offset:4
	s_wait_dscnt 0x0
	s_barrier_signal -1
	s_barrier_wait -1
	ds_load_2addr_b64 v[56:59], v54 offset1:16
	ds_load_b128 v[60:63], v55
	ds_load_2addr_b64 v[20:23], v54 offset0:32 offset1:48
	ds_load_2addr_b64 v[16:19], v54 offset0:64 offset1:80
	ds_load_b128 v[64:67], v55 offset:16
	ds_load_2addr_b64 v[12:15], v54 offset0:96 offset1:112
	ds_load_2addr_b64 v[8:11], v54 offset0:128 offset1:144
	ds_load_b128 v[68:71], v55 offset:32
	ds_load_2addr_b64 v[4:7], v54 offset0:160 offset1:176
	ds_load_2addr_b64 v[0:3], v54 offset0:192 offset1:208
	s_add_nc_u64 s[4:5], s[4:5], 8
	v_add_nc_u64_e32 v[44:45], s[24:25], v[44:45]
	v_cmp_lt_i64_e64 s37, s[4:5], s[12:13]
	v_add_nc_u64_e32 v[46:47], 64, v[46:47]
	s_and_b32 vcc_lo, exec_lo, s37
	s_wait_dscnt 0x8
	v_pk_mul_f32 v[26:27], v[60:61], v[56:57] op_sel:[0,1]
	s_wait_dscnt 0x7
	v_pk_mul_f32 v[72:73], v[62:63], v[20:21] op_sel:[0,1]
	;; [unrolled: 2-line block ×4, first 2 shown]
	v_pk_fma_f32 v[78:79], v[60:61], v[56:57], v[26:27] op_sel:[0,0,1] op_sel_hi:[1,0,0]
	v_pk_fma_f32 v[82:83], v[62:63], v[20:21], v[72:73] op_sel:[0,0,1] op_sel_hi:[1,0,0]
	v_pk_fma_f32 v[26:27], v[60:61], v[56:57], v[26:27] op_sel:[0,0,1] op_sel_hi:[1,1,0] neg_lo:[0,0,1] neg_hi:[0,0,1]
	v_pk_fma_f32 v[72:73], v[62:63], v[20:21], v[72:73] op_sel:[0,0,1] op_sel_hi:[1,1,0] neg_lo:[0,0,1] neg_hi:[0,0,1]
	s_wait_dscnt 0x2
	v_pk_mul_f32 v[80:81], v[68:69], v[8:9] op_sel:[0,1]
	v_dual_mov_b32 v27, v79 :: v_dual_mov_b32 v73, v83
	v_pk_fma_f32 v[78:79], v[64:65], v[16:17], v[74:75] op_sel:[0,0,1] op_sel_hi:[1,0,0]
	v_pk_fma_f32 v[82:83], v[66:67], v[12:13], v[76:77] op_sel:[0,0,1] op_sel_hi:[1,0,0]
	v_pk_fma_f32 v[74:75], v[64:65], v[16:17], v[74:75] op_sel:[0,0,1] op_sel_hi:[1,1,0] neg_lo:[0,0,1] neg_hi:[0,0,1]
	v_pk_fma_f32 v[76:77], v[66:67], v[12:13], v[76:77] op_sel:[0,0,1] op_sel_hi:[1,1,0] neg_lo:[0,0,1] neg_hi:[0,0,1]
	v_pk_add_f32 v[26:27], v[50:51], v[26:27]
	s_delay_alu instid0(VALU_DEP_4)
	v_dual_mov_b32 v75, v79 :: v_dual_mov_b32 v77, v83
	v_pk_fma_f32 v[78:79], v[68:69], v[8:9], v[80:81] op_sel:[0,0,1] op_sel_hi:[1,0,0]
	v_pk_mul_f32 v[82:83], v[60:61], v[58:59] op_sel:[0,1]
	v_pk_fma_f32 v[80:81], v[68:69], v[8:9], v[80:81] op_sel:[0,0,1] op_sel_hi:[1,1,0] neg_lo:[0,0,1] neg_hi:[0,0,1]
	v_pk_mul_f32 v[50:51], v[62:63], v[22:23] op_sel:[0,1]
	v_pk_add_f32 v[26:27], v[26:27], v[72:73]
	v_mov_b32_e32 v81, v79
	v_pk_fma_f32 v[78:79], v[60:61], v[58:59], v[82:83] op_sel:[0,0,1] op_sel_hi:[1,1,0] neg_lo:[0,0,1] neg_hi:[0,0,1]
	v_pk_fma_f32 v[82:83], v[60:61], v[58:59], v[82:83] op_sel:[0,0,1] op_sel_hi:[1,0,0]
	v_pk_fma_f32 v[72:73], v[62:63], v[22:23], v[50:51] op_sel:[0,0,1] op_sel_hi:[1,1,0] neg_lo:[0,0,1] neg_hi:[0,0,1]
	v_pk_fma_f32 v[50:51], v[62:63], v[22:23], v[50:51] op_sel:[0,0,1] op_sel_hi:[1,0,0]
	ds_load_b128 v[60:63], v55 offset:48
	v_pk_add_f32 v[26:27], v[26:27], v[74:75]
	s_wait_dscnt 0x2
	v_pk_mul_f32 v[74:75], v[70:71], v[4:5] op_sel:[0,1]
	v_mov_b32_e32 v79, v83
	v_pk_mul_f32 v[82:83], v[64:65], v[18:19] op_sel:[0,1]
	v_mov_b32_e32 v73, v51
	v_pk_add_f32 v[76:77], v[26:27], v[76:77]
	v_pk_fma_f32 v[50:51], v[70:71], v[4:5], v[74:75] op_sel:[0,0,1] op_sel_hi:[1,0,0]
	v_pk_add_f32 v[78:79], v[24:25], v[78:79]
	v_pk_fma_f32 v[74:75], v[70:71], v[4:5], v[74:75] op_sel:[0,0,1] op_sel_hi:[1,1,0] neg_lo:[0,0,1] neg_hi:[0,0,1]
	ds_load_2addr_b64 v[24:27], v54 offset0:224 offset1:240
	v_mov_b32_e32 v75, v51
	v_pk_add_f32 v[50:51], v[76:77], v[80:81]
	v_pk_fma_f32 v[76:77], v[64:65], v[18:19], v[82:83] op_sel:[0,0,1] op_sel_hi:[1,0,0]
	v_pk_add_f32 v[72:73], v[78:79], v[72:73]
	v_pk_mul_f32 v[78:79], v[66:67], v[14:15] op_sel:[0,1]
	v_pk_fma_f32 v[64:65], v[64:65], v[18:19], v[82:83] op_sel:[0,0,1] op_sel_hi:[1,1,0] neg_lo:[0,0,1] neg_hi:[0,0,1]
	v_pk_add_f32 v[50:51], v[50:51], v[74:75]
	v_mov_b32_e32 v65, v77
	v_pk_mul_f32 v[82:83], v[68:69], v[10:11] op_sel:[0,1]
	v_pk_fma_f32 v[76:77], v[66:67], v[14:15], v[78:79] op_sel:[0,0,1] op_sel_hi:[1,0,0]
	v_pk_fma_f32 v[78:79], v[66:67], v[14:15], v[78:79] op_sel:[0,0,1] op_sel_hi:[1,1,0] neg_lo:[0,0,1] neg_hi:[0,0,1]
	s_delay_alu instid0(VALU_DEP_2)
	v_mov_b32_e32 v79, v77
	v_pk_add_f32 v[72:73], v[72:73], v[64:65]
	ds_load_b128 v[64:67], v55 offset:1024
	s_wait_dscnt 0x2
	v_pk_mul_f32 v[80:81], v[60:61], v[0:1] op_sel:[0,1]
	v_pk_add_f32 v[72:73], v[72:73], v[78:79]
	v_pk_mul_f32 v[78:79], v[70:71], v[6:7] op_sel:[0,1]
	s_delay_alu instid0(VALU_DEP_3) | instskip(SKIP_3) | instid1(VALU_DEP_3)
	v_pk_fma_f32 v[74:75], v[60:61], v[0:1], v[80:81] op_sel:[0,0,1] op_sel_hi:[1,0,0]
	v_pk_fma_f32 v[76:77], v[60:61], v[0:1], v[80:81] op_sel:[0,0,1] op_sel_hi:[1,1,0] neg_lo:[0,0,1] neg_hi:[0,0,1]
	s_wait_dscnt 0x1
	v_pk_mul_f32 v[80:81], v[62:63], v[24:25] op_sel:[0,1]
	v_mov_b32_e32 v77, v75
	v_pk_fma_f32 v[74:75], v[68:69], v[10:11], v[82:83] op_sel:[0,0,1] op_sel_hi:[1,0,0]
	v_pk_fma_f32 v[68:69], v[68:69], v[10:11], v[82:83] op_sel:[0,0,1] op_sel_hi:[1,1,0] neg_lo:[0,0,1] neg_hi:[0,0,1]
	s_delay_alu instid0(VALU_DEP_2)
	v_mov_b32_e32 v69, v75
	v_pk_fma_f32 v[74:75], v[62:63], v[24:25], v[80:81] op_sel:[0,0,1] op_sel_hi:[1,0,0]
	v_pk_fma_f32 v[80:81], v[62:63], v[24:25], v[80:81] op_sel:[0,0,1] op_sel_hi:[1,1,0] neg_lo:[0,0,1] neg_hi:[0,0,1]
	v_pk_add_f32 v[50:51], v[50:51], v[76:77]
	v_pk_fma_f32 v[76:77], v[70:71], v[6:7], v[78:79] op_sel:[0,0,1] op_sel_hi:[1,0,0]
	v_pk_add_f32 v[72:73], v[72:73], v[68:69]
	v_mov_b32_e32 v81, v75
	v_pk_fma_f32 v[74:75], v[70:71], v[6:7], v[78:79] op_sel:[0,0,1] op_sel_hi:[1,1,0] neg_lo:[0,0,1] neg_hi:[0,0,1]
	ds_load_b128 v[68:71], v55 offset:1040
	v_mov_b32_e32 v75, v77
	s_wait_dscnt 0x1
	v_pk_mul_f32 v[76:77], v[64:65], v[56:57] op_sel:[0,1]
	v_pk_mul_f32 v[78:79], v[60:61], v[2:3] op_sel:[0,1]
	v_pk_add_f32 v[50:51], v[50:51], v[80:81]
	v_pk_add_f32 v[72:73], v[72:73], v[74:75]
	s_delay_alu instid0(VALU_DEP_4) | instskip(NEXT) | instid1(VALU_DEP_4)
	v_pk_fma_f32 v[74:75], v[64:65], v[56:57], v[76:77] op_sel:[0,0,1] op_sel_hi:[1,0,0]
	v_pk_fma_f32 v[80:81], v[60:61], v[2:3], v[78:79] op_sel:[0,0,1] op_sel_hi:[1,1,0] neg_lo:[0,0,1] neg_hi:[0,0,1]
	v_pk_fma_f32 v[60:61], v[60:61], v[2:3], v[78:79] op_sel:[0,0,1] op_sel_hi:[1,0,0]
	v_pk_mul_f32 v[78:79], v[66:67], v[20:21] op_sel:[0,1]
	v_pk_fma_f32 v[56:57], v[64:65], v[56:57], v[76:77] op_sel:[0,0,1] op_sel_hi:[1,1,0] neg_lo:[0,0,1] neg_hi:[0,0,1]
	v_mov_b32_e32 v57, v75
	v_pk_mul_f32 v[74:75], v[62:63], v[26:27] op_sel:[0,1]
	v_mov_b32_e32 v81, v61
	v_pk_fma_f32 v[60:61], v[66:67], v[20:21], v[78:79] op_sel:[0,0,1] op_sel_hi:[1,0,0]
	v_pk_fma_f32 v[20:21], v[66:67], v[20:21], v[78:79] op_sel:[0,0,1] op_sel_hi:[1,1,0] neg_lo:[0,0,1] neg_hi:[0,0,1]
	v_pk_add_f32 v[48:49], v[48:49], v[56:57]
	v_pk_fma_f32 v[76:77], v[62:63], v[26:27], v[74:75] op_sel:[0,0,1] op_sel_hi:[1,1,0] neg_lo:[0,0,1] neg_hi:[0,0,1]
	v_pk_fma_f32 v[74:75], v[62:63], v[26:27], v[74:75] op_sel:[0,0,1] op_sel_hi:[1,0,0]
	v_mov_b32_e32 v21, v61
	ds_load_b128 v[60:63], v55 offset:1056
	s_wait_dscnt 0x1
	v_pk_mul_f32 v[56:57], v[68:69], v[16:17] op_sel:[0,1]
	v_mov_b32_e32 v77, v75
	v_pk_add_f32 v[20:21], v[48:49], v[20:21]
	s_delay_alu instid0(VALU_DEP_3) | instskip(SKIP_2) | instid1(VALU_DEP_3)
	v_pk_fma_f32 v[48:49], v[68:69], v[16:17], v[56:57] op_sel:[0,0,1] op_sel_hi:[1,0,0]
	v_pk_fma_f32 v[16:17], v[68:69], v[16:17], v[56:57] op_sel:[0,0,1] op_sel_hi:[1,1,0] neg_lo:[0,0,1] neg_hi:[0,0,1]
	v_pk_mul_f32 v[56:57], v[64:65], v[58:59] op_sel:[0,1]
	v_mov_b32_e32 v17, v49
	v_pk_mul_f32 v[48:49], v[70:71], v[12:13] op_sel:[0,1]
	s_delay_alu instid0(VALU_DEP_2) | instskip(NEXT) | instid1(VALU_DEP_2)
	v_pk_add_f32 v[16:17], v[20:21], v[16:17]
	v_pk_fma_f32 v[20:21], v[70:71], v[12:13], v[48:49] op_sel:[0,0,1] op_sel_hi:[1,0,0]
	v_pk_fma_f32 v[12:13], v[70:71], v[12:13], v[48:49] op_sel:[0,0,1] op_sel_hi:[1,1,0] neg_lo:[0,0,1] neg_hi:[0,0,1]
	v_pk_add_f32 v[48:49], v[72:73], v[80:81]
	s_delay_alu instid0(VALU_DEP_3) | instskip(SKIP_2) | instid1(VALU_DEP_2)
	v_mov_b32_e32 v13, v21
	s_wait_dscnt 0x0
	v_pk_mul_f32 v[20:21], v[60:61], v[8:9] op_sel:[0,1]
	v_pk_add_f32 v[12:13], v[16:17], v[12:13]
	s_delay_alu instid0(VALU_DEP_2) | instskip(SKIP_2) | instid1(VALU_DEP_3)
	v_pk_fma_f32 v[16:17], v[60:61], v[8:9], v[20:21] op_sel:[0,0,1] op_sel_hi:[1,0,0]
	v_pk_fma_f32 v[8:9], v[60:61], v[8:9], v[20:21] op_sel:[0,0,1] op_sel_hi:[1,1,0] neg_lo:[0,0,1] neg_hi:[0,0,1]
	v_pk_fma_f32 v[20:21], v[64:65], v[58:59], v[56:57] op_sel:[0,0,1] op_sel_hi:[1,1,0] neg_lo:[0,0,1] neg_hi:[0,0,1]
	v_mov_b32_e32 v9, v17
	v_pk_fma_f32 v[16:17], v[64:65], v[58:59], v[56:57] op_sel:[0,0,1] op_sel_hi:[1,0,0]
	ds_load_b128 v[56:59], v55 offset:1072
	s_wait_dscnt 0x0
	s_barrier_signal -1
	v_pk_add_f32 v[8:9], v[12:13], v[8:9]
	v_mov_b32_e32 v21, v17
	v_pk_mul_f32 v[16:17], v[66:67], v[22:23] op_sel:[0,1]
	v_pk_mul_f32 v[12:13], v[62:63], v[4:5] op_sel:[0,1]
	s_barrier_wait -1
	s_delay_alu instid0(VALU_DEP_3) | instskip(NEXT) | instid1(VALU_DEP_3)
	v_pk_add_f32 v[20:21], v[42:43], v[20:21]
	v_pk_fma_f32 v[64:65], v[66:67], v[22:23], v[16:17] op_sel:[0,0,1] op_sel_hi:[1,0,0]
	v_pk_mul_f32 v[42:43], v[68:69], v[18:19] op_sel:[0,1]
	v_pk_fma_f32 v[16:17], v[66:67], v[22:23], v[16:17] op_sel:[0,0,1] op_sel_hi:[1,1,0] neg_lo:[0,0,1] neg_hi:[0,0,1]
	v_pk_fma_f32 v[22:23], v[62:63], v[4:5], v[12:13] op_sel:[0,0,1] op_sel_hi:[1,1,0] neg_lo:[0,0,1] neg_hi:[0,0,1]
	v_pk_fma_f32 v[4:5], v[62:63], v[4:5], v[12:13] op_sel:[0,0,1] op_sel_hi:[1,0,0]
	v_mov_b32_e32 v17, v65
	v_pk_fma_f32 v[64:65], v[68:69], v[18:19], v[42:43] op_sel:[0,0,1] op_sel_hi:[1,0,0]
	v_pk_mul_f32 v[12:13], v[70:71], v[14:15] op_sel:[0,1]
	v_pk_fma_f32 v[18:19], v[68:69], v[18:19], v[42:43] op_sel:[0,0,1] op_sel_hi:[1,1,0] neg_lo:[0,0,1] neg_hi:[0,0,1]
	v_mov_b32_e32 v23, v5
	v_pk_mul_f32 v[42:43], v[60:61], v[10:11] op_sel:[0,1]
	v_mov_b32_e32 v19, v65
	v_pk_add_f32 v[16:17], v[20:21], v[16:17]
	v_pk_fma_f32 v[4:5], v[70:71], v[14:15], v[12:13] op_sel:[0,0,1] op_sel_hi:[1,0,0]
	v_pk_fma_f32 v[12:13], v[70:71], v[14:15], v[12:13] op_sel:[0,0,1] op_sel_hi:[1,1,0] neg_lo:[0,0,1] neg_hi:[0,0,1]
	v_pk_mul_f32 v[20:21], v[56:57], v[0:1] op_sel:[0,1]
	s_delay_alu instid0(VALU_DEP_4) | instskip(NEXT) | instid1(VALU_DEP_4)
	v_pk_add_f32 v[16:17], v[16:17], v[18:19]
	v_mov_b32_e32 v13, v5
	v_pk_add_f32 v[4:5], v[8:9], v[22:23]
	v_pk_fma_f32 v[8:9], v[60:61], v[10:11], v[42:43] op_sel:[0,0,1] op_sel_hi:[1,0,0]
	v_pk_mul_f32 v[18:19], v[62:63], v[6:7] op_sel:[0,1]
	v_pk_fma_f32 v[10:11], v[60:61], v[10:11], v[42:43] op_sel:[0,0,1] op_sel_hi:[1,1,0] neg_lo:[0,0,1] neg_hi:[0,0,1]
	v_pk_fma_f32 v[14:15], v[56:57], v[0:1], v[20:21] op_sel:[0,0,1] op_sel_hi:[1,1,0] neg_lo:[0,0,1] neg_hi:[0,0,1]
	v_pk_add_f32 v[12:13], v[16:17], v[12:13]
	v_mov_b32_e32 v11, v9
	v_pk_fma_f32 v[0:1], v[56:57], v[0:1], v[20:21] op_sel:[0,0,1] op_sel_hi:[1,0,0]
	v_pk_fma_f32 v[8:9], v[62:63], v[6:7], v[18:19] op_sel:[0,0,1] op_sel_hi:[1,0,0]
	v_pk_mul_f32 v[20:21], v[56:57], v[2:3] op_sel:[0,1]
	v_pk_fma_f32 v[6:7], v[62:63], v[6:7], v[18:19] op_sel:[0,0,1] op_sel_hi:[1,1,0] neg_lo:[0,0,1] neg_hi:[0,0,1]
	v_pk_mul_f32 v[16:17], v[58:59], v[24:25] op_sel:[0,1]
	s_delay_alu instid0(VALU_DEP_4)
	v_dual_mov_b32 v15, v1 :: v_dual_mov_b32 v7, v9
	v_pk_add_f32 v[10:11], v[12:13], v[10:11]
	v_pk_fma_f32 v[0:1], v[56:57], v[2:3], v[20:21] op_sel:[0,0,1] op_sel_hi:[1,0,0]
	v_pk_mul_f32 v[12:13], v[58:59], v[26:27] op_sel:[0,1]
	v_pk_fma_f32 v[2:3], v[56:57], v[2:3], v[20:21] op_sel:[0,0,1] op_sel_hi:[1,1,0] neg_lo:[0,0,1] neg_hi:[0,0,1]
	v_pk_fma_f32 v[8:9], v[58:59], v[24:25], v[16:17] op_sel:[0,0,1] op_sel_hi:[1,0,0]
	v_pk_add_f32 v[6:7], v[10:11], v[6:7]
	v_mov_b32_e32 v3, v1
	v_pk_add_f32 v[0:1], v[4:5], v[14:15]
	v_pk_fma_f32 v[4:5], v[58:59], v[26:27], v[12:13] op_sel:[0,0,1] op_sel_hi:[1,0,0]
	v_pk_fma_f32 v[10:11], v[58:59], v[24:25], v[16:17] op_sel:[0,0,1] op_sel_hi:[1,1,0] neg_lo:[0,0,1] neg_hi:[0,0,1]
	v_mov_b32_e32 v11, v9
	v_pk_add_f32 v[2:3], v[6:7], v[2:3]
	v_pk_fma_f32 v[6:7], v[58:59], v[26:27], v[12:13] op_sel:[0,0,1] op_sel_hi:[1,1,0] neg_lo:[0,0,1] neg_hi:[0,0,1]
	v_mov_b32_e32 v7, v5
	v_pk_add_f32 v[24:25], v[48:49], v[76:77]
	v_pk_add_f32 v[48:49], v[0:1], v[10:11]
	s_delay_alu instid0(VALU_DEP_3)
	v_pk_add_f32 v[42:43], v[2:3], v[6:7]
	s_cbranch_vccz .LBB523_15
.LBB523_7:                              ;   Parent Loop BB523_4 Depth=1
                                        ; =>  This Inner Loop Header: Depth=2
	v_add_nc_u64_e32 v[0:1], s[4:5], v[28:29]
	s_delay_alu instid0(VALU_DEP_1) | instskip(SKIP_1) | instid1(SALU_CYCLE_1)
	v_cmp_le_i64_e32 vcc_lo, s[12:13], v[0:1]
	s_or_b32 s37, s31, vcc_lo
	s_and_saveexec_b32 s40, s37
	s_delay_alu instid0(SALU_CYCLE_1)
	s_xor_b32 s37, exec_lo, s40
; %bb.8:                                ;   in Loop: Header=BB523_7 Depth=2
	ds_store_b32 v52, v29
; %bb.9:                                ;   in Loop: Header=BB523_7 Depth=2
	s_or_saveexec_b32 s37, s37
	v_mov_b32_e32 v0, 0
	s_xor_b32 exec_lo, exec_lo, s37
	s_cbranch_execz .LBB523_11
; %bb.10:                               ;   in Loop: Header=BB523_7 Depth=2
	global_load_b64 v[2:3], v[46:47], off offset:-4
	s_wait_loadcnt 0x0
	v_xor_b32_e32 v0, 0x80000000, v3
	ds_store_b32 v52, v2
.LBB523_11:                             ;   in Loop: Header=BB523_7 Depth=2
	s_wait_xcnt 0x0
	s_or_b32 exec_lo, exec_lo, s37
	v_add_nc_u64_e32 v[2:3], s[4:5], v[30:31]
	ds_store_b32 v52, v0 offset:4
	v_cmp_le_i64_e32 vcc_lo, s[12:13], v[2:3]
	s_or_b32 s37, vcc_lo, s36
	s_delay_alu instid0(SALU_CYCLE_1) | instskip(NEXT) | instid1(SALU_CYCLE_1)
	s_and_saveexec_b32 s40, s37
	s_xor_b32 s37, exec_lo, s40
; %bb.12:                               ;   in Loop: Header=BB523_7 Depth=2
	ds_store_b32 v53, v29
; %bb.13:                               ;   in Loop: Header=BB523_7 Depth=2
	s_or_saveexec_b32 s37, s37
	v_mov_b32_e32 v0, 0
	s_xor_b32 exec_lo, exec_lo, s37
	s_cbranch_execz .LBB523_6
; %bb.14:                               ;   in Loop: Header=BB523_7 Depth=2
	global_load_b64 v[2:3], v[44:45], off offset:-4
	s_wait_loadcnt 0x0
	v_xor_b32_e32 v0, 0x80000000, v3
	ds_store_b32 v53, v2
	s_branch .LBB523_6
.LBB523_15:                             ;   in Loop: Header=BB523_4 Depth=1
	s_mul_u64 s[4:5], s[38:39], s[6:7]
	s_and_not1_b32 vcc_lo, exec_lo, s44
	s_lshl_b64 s[4:5], s[4:5], 3
	s_mov_b32 s37, -1
	s_add_nc_u64 s[4:5], s[22:23], s[4:5]
	s_cbranch_vccz .LBB523_17
; %bb.16:                               ;   in Loop: Header=BB523_4 Depth=1
	s_and_not1_b32 vcc_lo, exec_lo, s37
	s_cbranch_vccnz .LBB523_3
	s_branch .LBB523_28
.LBB523_17:                             ;   in Loop: Header=BB523_4 Depth=1
	s_and_saveexec_b32 s37, s0
	s_cbranch_execz .LBB523_27
; %bb.18:                               ;   in Loop: Header=BB523_4 Depth=1
	v_lshl_add_u64 v[0:1], v[34:35], 3, s[4:5]
	s_delay_alu instid0(VALU_DEP_1)
	v_lshl_add_u64 v[2:3], v[32:33], 3, v[0:1]
	s_and_saveexec_b32 s40, s1
	s_cbranch_execnz .LBB523_21
; %bb.19:                               ;   in Loop: Header=BB523_4 Depth=1
	s_or_b32 exec_lo, exec_lo, s40
	s_and_saveexec_b32 s40, s2
	s_cbranch_execnz .LBB523_22
.LBB523_20:                             ;   in Loop: Header=BB523_4 Depth=1
	s_or_b32 exec_lo, exec_lo, s40
	s_delay_alu instid0(SALU_CYCLE_1)
	s_and_b32 exec_lo, exec_lo, s3
	s_cbranch_execnz .LBB523_23
	s_branch .LBB523_27
.LBB523_21:                             ;   in Loop: Header=BB523_4 Depth=1
	v_mov_b64_e32 v[4:5], s[8:9]
	v_mov_b64_e32 v[6:7], s[14:15]
	s_delay_alu instid0(VALU_DEP_2) | instskip(NEXT) | instid1(VALU_DEP_1)
	v_pk_mul_f32 v[4:5], v[50:51], v[4:5] op_sel:[1,0] op_sel_hi:[0,1]
	v_pk_fma_f32 v[8:9], v[50:51], v[6:7], v[4:5]
	v_pk_fma_f32 v[4:5], v[50:51], v[6:7], v[4:5] neg_lo:[0,0,1] neg_hi:[0,0,1]
	s_delay_alu instid0(VALU_DEP_2)
	v_mov_b32_e32 v5, v9
	global_store_b64 v[2:3], v[4:5], off
	s_wait_xcnt 0x0
	s_or_b32 exec_lo, exec_lo, s40
	s_and_saveexec_b32 s40, s2
	s_cbranch_execz .LBB523_20
.LBB523_22:                             ;   in Loop: Header=BB523_4 Depth=1
	v_mov_b64_e32 v[4:5], s[8:9]
	v_mov_b64_e32 v[6:7], s[14:15]
	s_delay_alu instid0(VALU_DEP_2) | instskip(NEXT) | instid1(VALU_DEP_1)
	v_pk_mul_f32 v[4:5], v[24:25], v[4:5] op_sel:[1,0] op_sel_hi:[0,1]
	v_pk_fma_f32 v[8:9], v[24:25], v[6:7], v[4:5]
	v_pk_fma_f32 v[4:5], v[24:25], v[6:7], v[4:5] neg_lo:[0,0,1] neg_hi:[0,0,1]
	s_delay_alu instid0(VALU_DEP_2) | instskip(SKIP_3) | instid1(SALU_CYCLE_1)
	v_mov_b32_e32 v5, v9
	global_store_b64 v[2:3], v[4:5], off offset:128
	s_wait_xcnt 0x0
	s_or_b32 exec_lo, exec_lo, s40
	s_and_b32 exec_lo, exec_lo, s3
	s_cbranch_execz .LBB523_27
.LBB523_23:                             ;   in Loop: Header=BB523_4 Depth=1
	v_lshl_add_u64 v[0:1], s[10:11], 3, v[0:1]
	s_delay_alu instid0(VALU_DEP_1)
	v_lshl_add_u64 v[0:1], v[32:33], 3, v[0:1]
	s_and_saveexec_b32 s40, s1
	s_cbranch_execz .LBB523_25
; %bb.24:                               ;   in Loop: Header=BB523_4 Depth=1
	v_mov_b64_e32 v[2:3], s[8:9]
	v_mov_b64_e32 v[4:5], s[14:15]
	s_delay_alu instid0(VALU_DEP_2) | instskip(NEXT) | instid1(VALU_DEP_1)
	v_pk_mul_f32 v[2:3], v[48:49], v[2:3] op_sel:[1,0] op_sel_hi:[0,1]
	v_pk_fma_f32 v[6:7], v[48:49], v[4:5], v[2:3]
	v_pk_fma_f32 v[2:3], v[48:49], v[4:5], v[2:3] neg_lo:[0,0,1] neg_hi:[0,0,1]
	s_delay_alu instid0(VALU_DEP_2)
	v_mov_b32_e32 v3, v7
	global_store_b64 v[0:1], v[2:3], off
.LBB523_25:                             ;   in Loop: Header=BB523_4 Depth=1
	s_wait_xcnt 0x0
	s_or_b32 exec_lo, exec_lo, s40
	s_delay_alu instid0(SALU_CYCLE_1)
	s_and_b32 exec_lo, exec_lo, s2
	s_cbranch_execz .LBB523_27
; %bb.26:                               ;   in Loop: Header=BB523_4 Depth=1
	v_mov_b64_e32 v[2:3], s[8:9]
	v_mov_b64_e32 v[4:5], s[14:15]
	s_delay_alu instid0(VALU_DEP_2) | instskip(NEXT) | instid1(VALU_DEP_1)
	v_pk_mul_f32 v[2:3], v[42:43], v[2:3] op_sel:[1,0] op_sel_hi:[0,1]
	v_pk_fma_f32 v[6:7], v[42:43], v[4:5], v[2:3]
	v_pk_fma_f32 v[2:3], v[42:43], v[4:5], v[2:3] neg_lo:[0,0,1] neg_hi:[0,0,1]
	s_delay_alu instid0(VALU_DEP_2)
	v_mov_b32_e32 v3, v7
	global_store_b64 v[0:1], v[2:3], off offset:128
.LBB523_27:                             ;   in Loop: Header=BB523_4 Depth=1
	s_wait_xcnt 0x0
	s_or_b32 exec_lo, exec_lo, s37
	s_cbranch_execnz .LBB523_3
.LBB523_28:                             ;   in Loop: Header=BB523_4 Depth=1
	s_and_saveexec_b32 s37, s0
	s_cbranch_execz .LBB523_2
; %bb.29:                               ;   in Loop: Header=BB523_4 Depth=1
	s_mul_u64 s[40:41], s[20:21], s[6:7]
	v_lshlrev_b64_e32 v[0:1], 3, v[32:33]
	v_lshl_add_u64 v[2:3], s[40:41], 3, v[36:37]
	v_lshl_add_u64 v[4:5], v[34:35], 3, s[4:5]
	s_delay_alu instid0(VALU_DEP_2) | instskip(NEXT) | instid1(VALU_DEP_2)
	v_add_nc_u64_e32 v[8:9], v[2:3], v[0:1]
	v_add_nc_u64_e32 v[6:7], v[4:5], v[0:1]
	s_and_saveexec_b32 s4, s1
	s_cbranch_execnz .LBB523_32
; %bb.30:                               ;   in Loop: Header=BB523_4 Depth=1
	s_or_b32 exec_lo, exec_lo, s4
	s_and_saveexec_b32 s4, s2
	s_cbranch_execnz .LBB523_33
.LBB523_31:                             ;   in Loop: Header=BB523_4 Depth=1
	s_or_b32 exec_lo, exec_lo, s4
	s_delay_alu instid0(SALU_CYCLE_1)
	s_and_b32 exec_lo, exec_lo, s3
	s_cbranch_execz .LBB523_2
	s_branch .LBB523_34
.LBB523_32:                             ;   in Loop: Header=BB523_4 Depth=1
	global_load_b64 v[10:11], v[8:9], off
	v_mov_b64_e32 v[12:13], s[8:9]
	v_mov_b64_e32 v[14:15], s[26:27]
	;; [unrolled: 1-line block ×4, first 2 shown]
	s_delay_alu instid0(VALU_DEP_4) | instskip(NEXT) | instid1(VALU_DEP_1)
	v_pk_mul_f32 v[12:13], v[50:51], v[12:13] op_sel:[1,0] op_sel_hi:[0,1]
	v_pk_fma_f32 v[20:21], v[50:51], v[16:17], v[12:13]
	v_pk_fma_f32 v[12:13], v[50:51], v[16:17], v[12:13] neg_lo:[0,0,1] neg_hi:[0,0,1]
	s_wait_loadcnt 0x0
	v_pk_mul_f32 v[14:15], v[10:11], v[14:15] op_sel:[1,0] op_sel_hi:[0,1]
	s_delay_alu instid0(VALU_DEP_1) | instskip(SKIP_1) | instid1(VALU_DEP_2)
	v_pk_fma_f32 v[22:23], v[10:11], v[18:19], v[14:15]
	v_pk_fma_f32 v[10:11], v[10:11], v[18:19], v[14:15] neg_lo:[0,0,1] neg_hi:[0,0,1]
	v_dual_mov_b32 v13, v21 :: v_dual_mov_b32 v11, v23
	s_delay_alu instid0(VALU_DEP_1)
	v_pk_add_f32 v[10:11], v[12:13], v[10:11]
	global_store_b64 v[6:7], v[10:11], off
	s_wait_xcnt 0x0
	s_or_b32 exec_lo, exec_lo, s4
	s_and_saveexec_b32 s4, s2
	s_cbranch_execz .LBB523_31
.LBB523_33:                             ;   in Loop: Header=BB523_4 Depth=1
	global_load_b64 v[8:9], v[8:9], off offset:128
	v_mov_b64_e32 v[10:11], s[8:9]
	v_mov_b64_e32 v[12:13], s[26:27]
	;; [unrolled: 1-line block ×4, first 2 shown]
	s_delay_alu instid0(VALU_DEP_4) | instskip(NEXT) | instid1(VALU_DEP_1)
	v_pk_mul_f32 v[10:11], v[24:25], v[10:11] op_sel:[1,0] op_sel_hi:[0,1]
	v_pk_fma_f32 v[18:19], v[24:25], v[14:15], v[10:11]
	v_pk_fma_f32 v[10:11], v[24:25], v[14:15], v[10:11] neg_lo:[0,0,1] neg_hi:[0,0,1]
	s_wait_loadcnt 0x0
	v_pk_mul_f32 v[12:13], v[8:9], v[12:13] op_sel:[1,0] op_sel_hi:[0,1]
	s_delay_alu instid0(VALU_DEP_1) | instskip(SKIP_2) | instid1(VALU_DEP_2)
	v_pk_fma_f32 v[20:21], v[8:9], v[16:17], v[12:13]
	s_wait_xcnt 0x0
	v_pk_fma_f32 v[8:9], v[8:9], v[16:17], v[12:13] neg_lo:[0,0,1] neg_hi:[0,0,1]
	v_dual_mov_b32 v11, v19 :: v_dual_mov_b32 v9, v21
	s_delay_alu instid0(VALU_DEP_1) | instskip(SKIP_3) | instid1(SALU_CYCLE_1)
	v_pk_add_f32 v[8:9], v[10:11], v[8:9]
	global_store_b64 v[6:7], v[8:9], off offset:128
	s_wait_xcnt 0x0
	s_or_b32 exec_lo, exec_lo, s4
	s_and_b32 exec_lo, exec_lo, s3
	s_cbranch_execz .LBB523_2
.LBB523_34:                             ;   in Loop: Header=BB523_4 Depth=1
	v_lshl_add_u64 v[2:3], s[18:19], 3, v[2:3]
	v_lshl_add_u64 v[4:5], s[10:11], 3, v[4:5]
	s_delay_alu instid0(VALU_DEP_2) | instskip(NEXT) | instid1(VALU_DEP_2)
	v_add_nc_u64_e32 v[2:3], v[2:3], v[0:1]
	v_add_nc_u64_e32 v[0:1], v[4:5], v[0:1]
	s_and_saveexec_b32 s4, s1
	s_cbranch_execz .LBB523_36
; %bb.35:                               ;   in Loop: Header=BB523_4 Depth=1
	global_load_b64 v[4:5], v[2:3], off
	v_mov_b64_e32 v[6:7], s[8:9]
	v_mov_b64_e32 v[8:9], s[26:27]
	;; [unrolled: 1-line block ×4, first 2 shown]
	s_delay_alu instid0(VALU_DEP_4) | instskip(NEXT) | instid1(VALU_DEP_1)
	v_pk_mul_f32 v[6:7], v[48:49], v[6:7] op_sel:[1,0] op_sel_hi:[0,1]
	v_pk_fma_f32 v[14:15], v[48:49], v[10:11], v[6:7]
	v_pk_fma_f32 v[6:7], v[48:49], v[10:11], v[6:7] neg_lo:[0,0,1] neg_hi:[0,0,1]
	s_wait_loadcnt 0x0
	v_pk_mul_f32 v[8:9], v[4:5], v[8:9] op_sel:[1,0] op_sel_hi:[0,1]
	s_delay_alu instid0(VALU_DEP_1) | instskip(SKIP_1) | instid1(VALU_DEP_2)
	v_pk_fma_f32 v[16:17], v[4:5], v[12:13], v[8:9]
	v_pk_fma_f32 v[4:5], v[4:5], v[12:13], v[8:9] neg_lo:[0,0,1] neg_hi:[0,0,1]
	v_dual_mov_b32 v7, v15 :: v_dual_mov_b32 v5, v17
	s_delay_alu instid0(VALU_DEP_1)
	v_pk_add_f32 v[4:5], v[6:7], v[4:5]
	global_store_b64 v[0:1], v[4:5], off
.LBB523_36:                             ;   in Loop: Header=BB523_4 Depth=1
	s_wait_xcnt 0x0
	s_or_b32 exec_lo, exec_lo, s4
	s_delay_alu instid0(SALU_CYCLE_1)
	s_and_b32 exec_lo, exec_lo, s2
	s_cbranch_execz .LBB523_2
; %bb.37:                               ;   in Loop: Header=BB523_4 Depth=1
	global_load_b64 v[2:3], v[2:3], off offset:128
	v_mov_b64_e32 v[4:5], s[8:9]
	v_mov_b64_e32 v[6:7], s[26:27]
	;; [unrolled: 1-line block ×4, first 2 shown]
	s_delay_alu instid0(VALU_DEP_4) | instskip(NEXT) | instid1(VALU_DEP_1)
	v_pk_mul_f32 v[4:5], v[42:43], v[4:5] op_sel:[1,0] op_sel_hi:[0,1]
	v_pk_fma_f32 v[12:13], v[42:43], v[8:9], v[4:5]
	v_pk_fma_f32 v[4:5], v[42:43], v[8:9], v[4:5] neg_lo:[0,0,1] neg_hi:[0,0,1]
	s_wait_loadcnt 0x0
	v_pk_mul_f32 v[6:7], v[2:3], v[6:7] op_sel:[1,0] op_sel_hi:[0,1]
	s_delay_alu instid0(VALU_DEP_1) | instskip(SKIP_2) | instid1(VALU_DEP_2)
	v_pk_fma_f32 v[14:15], v[2:3], v[10:11], v[6:7]
	s_wait_xcnt 0x0
	v_pk_fma_f32 v[2:3], v[2:3], v[10:11], v[6:7] neg_lo:[0,0,1] neg_hi:[0,0,1]
	v_dual_mov_b32 v5, v13 :: v_dual_mov_b32 v3, v15
	s_delay_alu instid0(VALU_DEP_1)
	v_pk_add_f32 v[2:3], v[4:5], v[2:3]
	global_store_b64 v[0:1], v[2:3], off offset:128
	s_branch .LBB523_2
.LBB523_38:
	s_sendmsg sendmsg(MSG_DEALLOC_VGPRS)
	s_endpgm
	.section	.rodata,"a",@progbits
	.p2align	6, 0x0
	.amdhsa_kernel _ZN12_GLOBAL__N_135rocblas_gemm_batched_general_kernelI19rocblas_complex_numIfELi16ELi16ELi32ELi32ELi8ELi32ELi8ELi8ELi32ELc67ELc67EKS2_S3_S2_EEvlllT_PT11_llS6_llS4_PT12_llPT13_lli
		.amdhsa_group_segment_fixed_size 4096
		.amdhsa_private_segment_fixed_size 0
		.amdhsa_kernarg_size 140
		.amdhsa_user_sgpr_count 2
		.amdhsa_user_sgpr_dispatch_ptr 0
		.amdhsa_user_sgpr_queue_ptr 0
		.amdhsa_user_sgpr_kernarg_segment_ptr 1
		.amdhsa_user_sgpr_dispatch_id 0
		.amdhsa_user_sgpr_kernarg_preload_length 0
		.amdhsa_user_sgpr_kernarg_preload_offset 0
		.amdhsa_user_sgpr_private_segment_size 0
		.amdhsa_wavefront_size32 1
		.amdhsa_uses_dynamic_stack 0
		.amdhsa_enable_private_segment 0
		.amdhsa_system_sgpr_workgroup_id_x 1
		.amdhsa_system_sgpr_workgroup_id_y 1
		.amdhsa_system_sgpr_workgroup_id_z 1
		.amdhsa_system_sgpr_workgroup_info 0
		.amdhsa_system_vgpr_workitem_id 1
		.amdhsa_next_free_vgpr 84
		.amdhsa_next_free_sgpr 45
		.amdhsa_named_barrier_count 0
		.amdhsa_reserve_vcc 1
		.amdhsa_float_round_mode_32 0
		.amdhsa_float_round_mode_16_64 0
		.amdhsa_float_denorm_mode_32 3
		.amdhsa_float_denorm_mode_16_64 3
		.amdhsa_fp16_overflow 0
		.amdhsa_memory_ordered 1
		.amdhsa_forward_progress 1
		.amdhsa_inst_pref_size 28
		.amdhsa_round_robin_scheduling 0
		.amdhsa_exception_fp_ieee_invalid_op 0
		.amdhsa_exception_fp_denorm_src 0
		.amdhsa_exception_fp_ieee_div_zero 0
		.amdhsa_exception_fp_ieee_overflow 0
		.amdhsa_exception_fp_ieee_underflow 0
		.amdhsa_exception_fp_ieee_inexact 0
		.amdhsa_exception_int_div_zero 0
	.end_amdhsa_kernel
	.section	.text._ZN12_GLOBAL__N_135rocblas_gemm_batched_general_kernelI19rocblas_complex_numIfELi16ELi16ELi32ELi32ELi8ELi32ELi8ELi8ELi32ELc67ELc67EKS2_S3_S2_EEvlllT_PT11_llS6_llS4_PT12_llPT13_lli,"axG",@progbits,_ZN12_GLOBAL__N_135rocblas_gemm_batched_general_kernelI19rocblas_complex_numIfELi16ELi16ELi32ELi32ELi8ELi32ELi8ELi8ELi32ELc67ELc67EKS2_S3_S2_EEvlllT_PT11_llS6_llS4_PT12_llPT13_lli,comdat
.Lfunc_end523:
	.size	_ZN12_GLOBAL__N_135rocblas_gemm_batched_general_kernelI19rocblas_complex_numIfELi16ELi16ELi32ELi32ELi8ELi32ELi8ELi8ELi32ELc67ELc67EKS2_S3_S2_EEvlllT_PT11_llS6_llS4_PT12_llPT13_lli, .Lfunc_end523-_ZN12_GLOBAL__N_135rocblas_gemm_batched_general_kernelI19rocblas_complex_numIfELi16ELi16ELi32ELi32ELi8ELi32ELi8ELi8ELi32ELc67ELc67EKS2_S3_S2_EEvlllT_PT11_llS6_llS4_PT12_llPT13_lli
                                        ; -- End function
	.set _ZN12_GLOBAL__N_135rocblas_gemm_batched_general_kernelI19rocblas_complex_numIfELi16ELi16ELi32ELi32ELi8ELi32ELi8ELi8ELi32ELc67ELc67EKS2_S3_S2_EEvlllT_PT11_llS6_llS4_PT12_llPT13_lli.num_vgpr, 84
	.set _ZN12_GLOBAL__N_135rocblas_gemm_batched_general_kernelI19rocblas_complex_numIfELi16ELi16ELi32ELi32ELi8ELi32ELi8ELi8ELi32ELc67ELc67EKS2_S3_S2_EEvlllT_PT11_llS6_llS4_PT12_llPT13_lli.num_agpr, 0
	.set _ZN12_GLOBAL__N_135rocblas_gemm_batched_general_kernelI19rocblas_complex_numIfELi16ELi16ELi32ELi32ELi8ELi32ELi8ELi8ELi32ELc67ELc67EKS2_S3_S2_EEvlllT_PT11_llS6_llS4_PT12_llPT13_lli.numbered_sgpr, 45
	.set _ZN12_GLOBAL__N_135rocblas_gemm_batched_general_kernelI19rocblas_complex_numIfELi16ELi16ELi32ELi32ELi8ELi32ELi8ELi8ELi32ELc67ELc67EKS2_S3_S2_EEvlllT_PT11_llS6_llS4_PT12_llPT13_lli.num_named_barrier, 0
	.set _ZN12_GLOBAL__N_135rocblas_gemm_batched_general_kernelI19rocblas_complex_numIfELi16ELi16ELi32ELi32ELi8ELi32ELi8ELi8ELi32ELc67ELc67EKS2_S3_S2_EEvlllT_PT11_llS6_llS4_PT12_llPT13_lli.private_seg_size, 0
	.set _ZN12_GLOBAL__N_135rocblas_gemm_batched_general_kernelI19rocblas_complex_numIfELi16ELi16ELi32ELi32ELi8ELi32ELi8ELi8ELi32ELc67ELc67EKS2_S3_S2_EEvlllT_PT11_llS6_llS4_PT12_llPT13_lli.uses_vcc, 1
	.set _ZN12_GLOBAL__N_135rocblas_gemm_batched_general_kernelI19rocblas_complex_numIfELi16ELi16ELi32ELi32ELi8ELi32ELi8ELi8ELi32ELc67ELc67EKS2_S3_S2_EEvlllT_PT11_llS6_llS4_PT12_llPT13_lli.uses_flat_scratch, 0
	.set _ZN12_GLOBAL__N_135rocblas_gemm_batched_general_kernelI19rocblas_complex_numIfELi16ELi16ELi32ELi32ELi8ELi32ELi8ELi8ELi32ELc67ELc67EKS2_S3_S2_EEvlllT_PT11_llS6_llS4_PT12_llPT13_lli.has_dyn_sized_stack, 0
	.set _ZN12_GLOBAL__N_135rocblas_gemm_batched_general_kernelI19rocblas_complex_numIfELi16ELi16ELi32ELi32ELi8ELi32ELi8ELi8ELi32ELc67ELc67EKS2_S3_S2_EEvlllT_PT11_llS6_llS4_PT12_llPT13_lli.has_recursion, 0
	.set _ZN12_GLOBAL__N_135rocblas_gemm_batched_general_kernelI19rocblas_complex_numIfELi16ELi16ELi32ELi32ELi8ELi32ELi8ELi8ELi32ELc67ELc67EKS2_S3_S2_EEvlllT_PT11_llS6_llS4_PT12_llPT13_lli.has_indirect_call, 0
	.section	.AMDGPU.csdata,"",@progbits
; Kernel info:
; codeLenInByte = 3480
; TotalNumSgprs: 47
; NumVgprs: 84
; ScratchSize: 0
; MemoryBound: 0
; FloatMode: 240
; IeeeMode: 1
; LDSByteSize: 4096 bytes/workgroup (compile time only)
; SGPRBlocks: 0
; VGPRBlocks: 5
; NumSGPRsForWavesPerEU: 47
; NumVGPRsForWavesPerEU: 84
; NamedBarCnt: 0
; Occupancy: 10
; WaveLimiterHint : 0
; COMPUTE_PGM_RSRC2:SCRATCH_EN: 0
; COMPUTE_PGM_RSRC2:USER_SGPR: 2
; COMPUTE_PGM_RSRC2:TRAP_HANDLER: 0
; COMPUTE_PGM_RSRC2:TGID_X_EN: 1
; COMPUTE_PGM_RSRC2:TGID_Y_EN: 1
; COMPUTE_PGM_RSRC2:TGID_Z_EN: 1
; COMPUTE_PGM_RSRC2:TIDIG_COMP_CNT: 1
	.section	.text._ZN12_GLOBAL__N_135rocblas_gemm_batched_general_kernelI19rocblas_complex_numIfELi16ELi16ELi32ELi32ELi8ELi32ELi8ELi8ELi32ELc67ELc78EKS2_S3_S2_EEvlllT_PT11_llS6_llS4_PT12_llPT13_lli,"axG",@progbits,_ZN12_GLOBAL__N_135rocblas_gemm_batched_general_kernelI19rocblas_complex_numIfELi16ELi16ELi32ELi32ELi8ELi32ELi8ELi8ELi32ELc67ELc78EKS2_S3_S2_EEvlllT_PT11_llS6_llS4_PT12_llPT13_lli,comdat
	.globl	_ZN12_GLOBAL__N_135rocblas_gemm_batched_general_kernelI19rocblas_complex_numIfELi16ELi16ELi32ELi32ELi8ELi32ELi8ELi8ELi32ELc67ELc78EKS2_S3_S2_EEvlllT_PT11_llS6_llS4_PT12_llPT13_lli ; -- Begin function _ZN12_GLOBAL__N_135rocblas_gemm_batched_general_kernelI19rocblas_complex_numIfELi16ELi16ELi32ELi32ELi8ELi32ELi8ELi8ELi32ELc67ELc78EKS2_S3_S2_EEvlllT_PT11_llS6_llS4_PT12_llPT13_lli
	.p2align	8
	.type	_ZN12_GLOBAL__N_135rocblas_gemm_batched_general_kernelI19rocblas_complex_numIfELi16ELi16ELi32ELi32ELi8ELi32ELi8ELi8ELi32ELc67ELc78EKS2_S3_S2_EEvlllT_PT11_llS6_llS4_PT12_llPT13_lli,@function
_ZN12_GLOBAL__N_135rocblas_gemm_batched_general_kernelI19rocblas_complex_numIfELi16ELi16ELi32ELi32ELi8ELi32ELi8ELi8ELi32ELc67ELc78EKS2_S3_S2_EEvlllT_PT11_llS6_llS4_PT12_llPT13_lli: ; @_ZN12_GLOBAL__N_135rocblas_gemm_batched_general_kernelI19rocblas_complex_numIfELi16ELi16ELi32ELi32ELi8ELi32ELi8ELi8ELi32ELc67ELc78EKS2_S3_S2_EEvlllT_PT11_llS6_llS4_PT12_llPT13_lli
; %bb.0:
	s_load_b32 s33, s[0:1], 0x88
	s_bfe_u32 s2, ttmp6, 0x40014
	s_lshr_b32 s3, ttmp7, 16
	s_add_co_i32 s2, s2, 1
	s_bfe_u32 s5, ttmp6, 0x40008
	s_mul_i32 s4, s3, s2
	s_getreg_b32 s2, hwreg(HW_REG_IB_STS2, 6, 4)
	s_add_co_i32 s5, s5, s4
	s_cmp_eq_u32 s2, 0
	s_mov_b32 s35, 0
	s_cselect_b32 s34, s3, s5
	s_wait_kmcnt 0x0
	s_cmp_ge_i32 s34, s33
	s_cbranch_scc1 .LBB524_36
; %bb.1:
	v_bfe_u32 v2, v0, 10, 10
	v_and_b32_e32 v4, 0x3ff, v0
	s_clause 0x5
	s_load_b256 s[4:11], s[0:1], 0x0
	s_load_b256 s[20:27], s[0:1], 0x20
	s_load_b128 s[28:31], s[0:1], 0x78
	s_load_b256 s[12:19], s[0:1], 0x58
	s_load_b128 s[36:39], s[0:1], 0x40
	s_load_b64 s[40:41], s[0:1], 0x50
	s_wait_xcnt 0x0
	s_bfe_u32 s0, ttmp6, 0x4000c
	s_bfe_u32 s3, ttmp6, 0x40010
	s_add_co_i32 s0, s0, 1
	s_and_b32 s42, ttmp7, 0xffff
	s_add_co_i32 s3, s3, 1
	s_and_b32 s1, ttmp6, 15
	s_mul_i32 s0, ttmp9, s0
	s_mul_i32 s3, s42, s3
	s_bfe_u32 s43, ttmp6, 0x40004
	v_lshl_add_u32 v13, v2, 4, v4
	s_add_co_i32 s1, s1, s0
	s_add_co_i32 s43, s43, s3
	s_cmp_eq_u32 s2, 0
	s_delay_alu instid0(VALU_DEP_1)
	v_dual_mov_b32 v29, 0 :: v_dual_bitop2_b32 v16, 31, v13 bitop3:0x40
	s_cselect_b32 s0, ttmp9, s1
	s_cselect_b32 s42, s42, s43
	s_ashr_i32 s1, s0, 31
	v_dual_lshrrev_b32 v0, 3, v13 :: v_dual_bitop2_b32 v30, 7, v0 bitop3:0x40
	s_lshl_b64 s[2:3], s[0:1], 5
	s_delay_alu instid0(SALU_CYCLE_1)
	v_dual_mov_b32 v1, v29 :: v_dual_bitop2_b32 v6, s2, v16 bitop3:0x54
	v_dual_mov_b32 v7, s3 :: v_dual_mov_b32 v3, v29
	s_lshl_b32 s0, s42, 5
	s_mov_b32 s1, s35
	v_lshrrev_b32_e32 v28, 5, v13
	v_add_nc_u64_e32 v[8:9], s[0:1], v[0:1]
	s_wait_kmcnt 0x0
	v_mul_u64_e32 v[10:11], s[22:23], v[6:7]
	v_add_nc_u64_e32 v[14:15], s[0:1], v[2:3]
	v_dual_lshlrev_b32 v3, 3, v16 :: v_dual_mov_b32 v5, v29
	v_lshlrev_b32_e32 v12, 3, v30
	v_lshl_add_u32 v55, v2, 6, 0x800
	v_mul_u64_e32 v[16:17], s[36:37], v[8:9]
	s_delay_alu instid0(VALU_DEP_4)
	v_lshl_or_b32 v52, v28, 8, v3
	v_add_nc_u64_e32 v[32:33], s[2:3], v[4:5]
	v_lshl_or_b32 v13, v0, 6, v12
	v_mul_u64_e32 v[0:1], s[14:15], v[14:15]
	v_mul_u64_e32 v[34:35], s[28:29], v[14:15]
	v_cmp_gt_i64_e32 vcc_lo, s[4:5], v[6:7]
	v_dual_mov_b32 v7, v29 :: v_dual_lshlrev_b32 v6, 3, v28
	v_add_nc_u64_e32 v[2:3], 16, v[32:33]
	v_dual_mov_b32 v31, v29 :: v_dual_lshlrev_b32 v54, 3, v4
	v_add_nc_u64_e32 v[4:5], 16, v[14:15]
	v_add_nc_u32_e32 v53, 0x800, v13
	v_mov_b32_e32 v13, v29
	v_cmp_gt_i64_e64 s2, s[4:5], v[32:33]
	v_cmp_gt_i64_e64 s3, s[4:5], v[2:3]
	s_or_b32 s1, s40, s41
	v_cmp_gt_i64_e64 s0, s[6:7], v[8:9]
	v_cmp_gt_i64_e64 s4, s[6:7], v[4:5]
	s_bitset0_b32 s1, 31
	v_cmp_gt_i64_e64 s5, s[8:9], 0
	s_cmp_eq_u32 s1, 0
	v_cmp_gt_i64_e64 s1, s[6:7], v[14:15]
	s_cselect_b32 s36, -1, 0
	s_mov_b32 s22, s11
	v_lshl_add_u64 v[2:3], v[10:11], 3, v[6:7]
	s_mov_b32 s23, s11
	s_mov_b32 s11, s10
	s_lshl_b64 s[6:7], s[28:29], 4
	s_mov_b32 s28, s41
	v_add_nc_u64_e32 v[2:3], s[20:21], v[2:3]
	v_lshl_add_u64 v[4:5], v[16:17], 3, v[12:13]
	s_mov_b32 s29, s41
	s_mov_b32 s41, s40
	s_lshl_b64 s[14:15], s[14:15], 4
	v_lshl_add_u64 v[36:37], v[0:1], 3, s[12:13]
	v_add_nc_u64_e32 v[38:39], s[26:27], v[4:5]
	v_add_nc_u64_e32 v[40:41], 4, v[2:3]
	s_lshl_b64 s[12:13], s[38:39], 3
	s_lshl_b64 s[20:21], s[24:25], 3
	s_xor_b32 s26, vcc_lo, -1
	s_branch .LBB524_4
.LBB524_2:                              ;   in Loop: Header=BB524_4 Depth=1
	s_wait_xcnt 0x0
	s_or_b32 exec_lo, exec_lo, s27
.LBB524_3:                              ;   in Loop: Header=BB524_4 Depth=1
	s_add_co_i32 s34, s34, 0x10000
	s_delay_alu instid0(SALU_CYCLE_1)
	s_cmp_lt_i32 s34, s33
	s_cbranch_scc0 .LBB524_36
.LBB524_4:                              ; =>This Loop Header: Depth=1
                                        ;     Child Loop BB524_7 Depth 2
	v_dual_mov_b32 v51, 0 :: v_dual_mov_b32 v50, 0
	v_dual_mov_b32 v25, 0 :: v_dual_mov_b32 v24, 0
	;; [unrolled: 1-line block ×4, first 2 shown]
	s_and_not1_b32 vcc_lo, exec_lo, s5
	s_cbranch_vccnz .LBB524_13
; %bb.5:                                ;   in Loop: Header=BB524_4 Depth=1
	v_mad_nc_u64_u32 v[44:45], s12, s34, v[38:39]
	v_mad_nc_u64_u32 v[46:47], s20, s34, v[40:41]
	v_mov_b32_e32 v42, 0
	s_mov_b64 s[24:25], 0
	s_delay_alu instid0(VALU_DEP_1)
	v_dual_mov_b32 v43, v42 :: v_dual_mov_b32 v48, v42
	v_dual_mov_b32 v49, v42 :: v_dual_mov_b32 v24, v42
	v_mad_u32 v45, s13, s34, v45
	v_mad_u32 v47, s21, s34, v47
	v_dual_mov_b32 v25, v42 :: v_dual_mov_b32 v50, v42
	v_mov_b32_e32 v51, v42
	s_branch .LBB524_7
.LBB524_6:                              ;   in Loop: Header=BB524_7 Depth=2
	s_wait_xcnt 0x0
	s_or_b32 exec_lo, exec_lo, s27
	s_wait_loadcnt 0x0
	ds_store_b64 v53, v[0:1]
	s_wait_dscnt 0x0
	s_barrier_signal -1
	s_barrier_wait -1
	ds_load_2addr_b64 v[56:59], v54 offset1:16
	ds_load_b128 v[60:63], v55
	ds_load_2addr_b64 v[20:23], v54 offset0:32 offset1:48
	ds_load_2addr_b64 v[16:19], v54 offset0:64 offset1:80
	ds_load_b128 v[64:67], v55 offset:16
	ds_load_2addr_b64 v[12:15], v54 offset0:96 offset1:112
	ds_load_2addr_b64 v[8:11], v54 offset0:128 offset1:144
	ds_load_b128 v[68:71], v55 offset:32
	ds_load_2addr_b64 v[4:7], v54 offset0:160 offset1:176
	ds_load_2addr_b64 v[0:3], v54 offset0:192 offset1:208
	s_add_nc_u64 s[24:25], s[24:25], 8
	v_add_nc_u64_e32 v[44:45], 64, v[44:45]
	v_cmp_lt_i64_e64 s27, s[24:25], s[8:9]
	v_add_nc_u64_e32 v[46:47], 64, v[46:47]
	s_and_b32 vcc_lo, exec_lo, s27
	s_wait_dscnt 0x8
	v_pk_mul_f32 v[26:27], v[60:61], v[56:57] op_sel:[0,1]
	s_wait_dscnt 0x7
	v_pk_mul_f32 v[72:73], v[62:63], v[20:21] op_sel:[0,1]
	;; [unrolled: 2-line block ×4, first 2 shown]
	v_pk_fma_f32 v[78:79], v[60:61], v[56:57], v[26:27] op_sel:[0,0,1] op_sel_hi:[1,0,0]
	v_pk_fma_f32 v[82:83], v[62:63], v[20:21], v[72:73] op_sel:[0,0,1] op_sel_hi:[1,0,0]
	v_pk_fma_f32 v[26:27], v[60:61], v[56:57], v[26:27] op_sel:[0,0,1] op_sel_hi:[1,1,0] neg_lo:[0,0,1] neg_hi:[0,0,1]
	v_pk_fma_f32 v[72:73], v[62:63], v[20:21], v[72:73] op_sel:[0,0,1] op_sel_hi:[1,1,0] neg_lo:[0,0,1] neg_hi:[0,0,1]
	s_wait_dscnt 0x2
	v_pk_mul_f32 v[80:81], v[68:69], v[8:9] op_sel:[0,1]
	v_dual_mov_b32 v27, v79 :: v_dual_mov_b32 v73, v83
	v_pk_fma_f32 v[78:79], v[64:65], v[16:17], v[74:75] op_sel:[0,0,1] op_sel_hi:[1,0,0]
	v_pk_fma_f32 v[82:83], v[66:67], v[12:13], v[76:77] op_sel:[0,0,1] op_sel_hi:[1,0,0]
	v_pk_fma_f32 v[74:75], v[64:65], v[16:17], v[74:75] op_sel:[0,0,1] op_sel_hi:[1,1,0] neg_lo:[0,0,1] neg_hi:[0,0,1]
	v_pk_fma_f32 v[76:77], v[66:67], v[12:13], v[76:77] op_sel:[0,0,1] op_sel_hi:[1,1,0] neg_lo:[0,0,1] neg_hi:[0,0,1]
	v_pk_add_f32 v[26:27], v[50:51], v[26:27]
	s_delay_alu instid0(VALU_DEP_4)
	v_dual_mov_b32 v75, v79 :: v_dual_mov_b32 v77, v83
	v_pk_fma_f32 v[78:79], v[68:69], v[8:9], v[80:81] op_sel:[0,0,1] op_sel_hi:[1,0,0]
	v_pk_mul_f32 v[82:83], v[60:61], v[58:59] op_sel:[0,1]
	v_pk_fma_f32 v[80:81], v[68:69], v[8:9], v[80:81] op_sel:[0,0,1] op_sel_hi:[1,1,0] neg_lo:[0,0,1] neg_hi:[0,0,1]
	v_pk_mul_f32 v[50:51], v[62:63], v[22:23] op_sel:[0,1]
	v_pk_add_f32 v[26:27], v[26:27], v[72:73]
	v_mov_b32_e32 v81, v79
	v_pk_fma_f32 v[78:79], v[60:61], v[58:59], v[82:83] op_sel:[0,0,1] op_sel_hi:[1,1,0] neg_lo:[0,0,1] neg_hi:[0,0,1]
	v_pk_fma_f32 v[82:83], v[60:61], v[58:59], v[82:83] op_sel:[0,0,1] op_sel_hi:[1,0,0]
	v_pk_fma_f32 v[72:73], v[62:63], v[22:23], v[50:51] op_sel:[0,0,1] op_sel_hi:[1,1,0] neg_lo:[0,0,1] neg_hi:[0,0,1]
	v_pk_fma_f32 v[50:51], v[62:63], v[22:23], v[50:51] op_sel:[0,0,1] op_sel_hi:[1,0,0]
	ds_load_b128 v[60:63], v55 offset:48
	v_pk_add_f32 v[26:27], v[26:27], v[74:75]
	s_wait_dscnt 0x2
	v_pk_mul_f32 v[74:75], v[70:71], v[4:5] op_sel:[0,1]
	v_mov_b32_e32 v79, v83
	v_pk_mul_f32 v[82:83], v[64:65], v[18:19] op_sel:[0,1]
	v_mov_b32_e32 v73, v51
	v_pk_add_f32 v[76:77], v[26:27], v[76:77]
	v_pk_fma_f32 v[50:51], v[70:71], v[4:5], v[74:75] op_sel:[0,0,1] op_sel_hi:[1,0,0]
	v_pk_add_f32 v[78:79], v[24:25], v[78:79]
	v_pk_fma_f32 v[74:75], v[70:71], v[4:5], v[74:75] op_sel:[0,0,1] op_sel_hi:[1,1,0] neg_lo:[0,0,1] neg_hi:[0,0,1]
	ds_load_2addr_b64 v[24:27], v54 offset0:224 offset1:240
	v_mov_b32_e32 v75, v51
	v_pk_add_f32 v[50:51], v[76:77], v[80:81]
	v_pk_fma_f32 v[76:77], v[64:65], v[18:19], v[82:83] op_sel:[0,0,1] op_sel_hi:[1,0,0]
	v_pk_add_f32 v[72:73], v[78:79], v[72:73]
	v_pk_mul_f32 v[78:79], v[66:67], v[14:15] op_sel:[0,1]
	v_pk_fma_f32 v[64:65], v[64:65], v[18:19], v[82:83] op_sel:[0,0,1] op_sel_hi:[1,1,0] neg_lo:[0,0,1] neg_hi:[0,0,1]
	v_pk_add_f32 v[50:51], v[50:51], v[74:75]
	v_mov_b32_e32 v65, v77
	v_pk_mul_f32 v[82:83], v[68:69], v[10:11] op_sel:[0,1]
	v_pk_fma_f32 v[76:77], v[66:67], v[14:15], v[78:79] op_sel:[0,0,1] op_sel_hi:[1,0,0]
	v_pk_fma_f32 v[78:79], v[66:67], v[14:15], v[78:79] op_sel:[0,0,1] op_sel_hi:[1,1,0] neg_lo:[0,0,1] neg_hi:[0,0,1]
	s_delay_alu instid0(VALU_DEP_2)
	v_mov_b32_e32 v79, v77
	v_pk_add_f32 v[72:73], v[72:73], v[64:65]
	ds_load_b128 v[64:67], v55 offset:1024
	s_wait_dscnt 0x2
	v_pk_mul_f32 v[80:81], v[60:61], v[0:1] op_sel:[0,1]
	v_pk_add_f32 v[72:73], v[72:73], v[78:79]
	v_pk_mul_f32 v[78:79], v[70:71], v[6:7] op_sel:[0,1]
	s_delay_alu instid0(VALU_DEP_3) | instskip(SKIP_3) | instid1(VALU_DEP_3)
	v_pk_fma_f32 v[74:75], v[60:61], v[0:1], v[80:81] op_sel:[0,0,1] op_sel_hi:[1,0,0]
	v_pk_fma_f32 v[76:77], v[60:61], v[0:1], v[80:81] op_sel:[0,0,1] op_sel_hi:[1,1,0] neg_lo:[0,0,1] neg_hi:[0,0,1]
	s_wait_dscnt 0x1
	v_pk_mul_f32 v[80:81], v[62:63], v[24:25] op_sel:[0,1]
	v_mov_b32_e32 v77, v75
	v_pk_fma_f32 v[74:75], v[68:69], v[10:11], v[82:83] op_sel:[0,0,1] op_sel_hi:[1,0,0]
	v_pk_fma_f32 v[68:69], v[68:69], v[10:11], v[82:83] op_sel:[0,0,1] op_sel_hi:[1,1,0] neg_lo:[0,0,1] neg_hi:[0,0,1]
	s_delay_alu instid0(VALU_DEP_2)
	v_mov_b32_e32 v69, v75
	v_pk_fma_f32 v[74:75], v[62:63], v[24:25], v[80:81] op_sel:[0,0,1] op_sel_hi:[1,0,0]
	v_pk_fma_f32 v[80:81], v[62:63], v[24:25], v[80:81] op_sel:[0,0,1] op_sel_hi:[1,1,0] neg_lo:[0,0,1] neg_hi:[0,0,1]
	v_pk_add_f32 v[50:51], v[50:51], v[76:77]
	v_pk_fma_f32 v[76:77], v[70:71], v[6:7], v[78:79] op_sel:[0,0,1] op_sel_hi:[1,0,0]
	v_pk_add_f32 v[72:73], v[72:73], v[68:69]
	v_mov_b32_e32 v81, v75
	v_pk_fma_f32 v[74:75], v[70:71], v[6:7], v[78:79] op_sel:[0,0,1] op_sel_hi:[1,1,0] neg_lo:[0,0,1] neg_hi:[0,0,1]
	ds_load_b128 v[68:71], v55 offset:1040
	v_mov_b32_e32 v75, v77
	s_wait_dscnt 0x1
	v_pk_mul_f32 v[76:77], v[64:65], v[56:57] op_sel:[0,1]
	v_pk_mul_f32 v[78:79], v[60:61], v[2:3] op_sel:[0,1]
	v_pk_add_f32 v[50:51], v[50:51], v[80:81]
	v_pk_add_f32 v[72:73], v[72:73], v[74:75]
	s_delay_alu instid0(VALU_DEP_4) | instskip(NEXT) | instid1(VALU_DEP_4)
	v_pk_fma_f32 v[74:75], v[64:65], v[56:57], v[76:77] op_sel:[0,0,1] op_sel_hi:[1,0,0]
	v_pk_fma_f32 v[80:81], v[60:61], v[2:3], v[78:79] op_sel:[0,0,1] op_sel_hi:[1,1,0] neg_lo:[0,0,1] neg_hi:[0,0,1]
	v_pk_fma_f32 v[60:61], v[60:61], v[2:3], v[78:79] op_sel:[0,0,1] op_sel_hi:[1,0,0]
	v_pk_mul_f32 v[78:79], v[66:67], v[20:21] op_sel:[0,1]
	v_pk_fma_f32 v[56:57], v[64:65], v[56:57], v[76:77] op_sel:[0,0,1] op_sel_hi:[1,1,0] neg_lo:[0,0,1] neg_hi:[0,0,1]
	v_mov_b32_e32 v57, v75
	v_pk_mul_f32 v[74:75], v[62:63], v[26:27] op_sel:[0,1]
	v_mov_b32_e32 v81, v61
	v_pk_fma_f32 v[60:61], v[66:67], v[20:21], v[78:79] op_sel:[0,0,1] op_sel_hi:[1,0,0]
	v_pk_fma_f32 v[20:21], v[66:67], v[20:21], v[78:79] op_sel:[0,0,1] op_sel_hi:[1,1,0] neg_lo:[0,0,1] neg_hi:[0,0,1]
	v_pk_add_f32 v[48:49], v[48:49], v[56:57]
	v_pk_fma_f32 v[76:77], v[62:63], v[26:27], v[74:75] op_sel:[0,0,1] op_sel_hi:[1,1,0] neg_lo:[0,0,1] neg_hi:[0,0,1]
	v_pk_fma_f32 v[74:75], v[62:63], v[26:27], v[74:75] op_sel:[0,0,1] op_sel_hi:[1,0,0]
	v_mov_b32_e32 v21, v61
	ds_load_b128 v[60:63], v55 offset:1056
	s_wait_dscnt 0x1
	v_pk_mul_f32 v[56:57], v[68:69], v[16:17] op_sel:[0,1]
	v_mov_b32_e32 v77, v75
	v_pk_add_f32 v[20:21], v[48:49], v[20:21]
	s_delay_alu instid0(VALU_DEP_3) | instskip(SKIP_2) | instid1(VALU_DEP_3)
	v_pk_fma_f32 v[48:49], v[68:69], v[16:17], v[56:57] op_sel:[0,0,1] op_sel_hi:[1,0,0]
	v_pk_fma_f32 v[16:17], v[68:69], v[16:17], v[56:57] op_sel:[0,0,1] op_sel_hi:[1,1,0] neg_lo:[0,0,1] neg_hi:[0,0,1]
	v_pk_mul_f32 v[56:57], v[64:65], v[58:59] op_sel:[0,1]
	v_mov_b32_e32 v17, v49
	v_pk_mul_f32 v[48:49], v[70:71], v[12:13] op_sel:[0,1]
	s_delay_alu instid0(VALU_DEP_2) | instskip(NEXT) | instid1(VALU_DEP_2)
	v_pk_add_f32 v[16:17], v[20:21], v[16:17]
	v_pk_fma_f32 v[20:21], v[70:71], v[12:13], v[48:49] op_sel:[0,0,1] op_sel_hi:[1,0,0]
	v_pk_fma_f32 v[12:13], v[70:71], v[12:13], v[48:49] op_sel:[0,0,1] op_sel_hi:[1,1,0] neg_lo:[0,0,1] neg_hi:[0,0,1]
	v_pk_add_f32 v[48:49], v[72:73], v[80:81]
	s_delay_alu instid0(VALU_DEP_3) | instskip(SKIP_2) | instid1(VALU_DEP_2)
	v_mov_b32_e32 v13, v21
	s_wait_dscnt 0x0
	v_pk_mul_f32 v[20:21], v[60:61], v[8:9] op_sel:[0,1]
	v_pk_add_f32 v[12:13], v[16:17], v[12:13]
	s_delay_alu instid0(VALU_DEP_2) | instskip(SKIP_2) | instid1(VALU_DEP_3)
	v_pk_fma_f32 v[16:17], v[60:61], v[8:9], v[20:21] op_sel:[0,0,1] op_sel_hi:[1,0,0]
	v_pk_fma_f32 v[8:9], v[60:61], v[8:9], v[20:21] op_sel:[0,0,1] op_sel_hi:[1,1,0] neg_lo:[0,0,1] neg_hi:[0,0,1]
	v_pk_fma_f32 v[20:21], v[64:65], v[58:59], v[56:57] op_sel:[0,0,1] op_sel_hi:[1,1,0] neg_lo:[0,0,1] neg_hi:[0,0,1]
	v_mov_b32_e32 v9, v17
	v_pk_fma_f32 v[16:17], v[64:65], v[58:59], v[56:57] op_sel:[0,0,1] op_sel_hi:[1,0,0]
	ds_load_b128 v[56:59], v55 offset:1072
	s_wait_dscnt 0x0
	s_barrier_signal -1
	v_pk_add_f32 v[8:9], v[12:13], v[8:9]
	v_mov_b32_e32 v21, v17
	v_pk_mul_f32 v[16:17], v[66:67], v[22:23] op_sel:[0,1]
	v_pk_mul_f32 v[12:13], v[62:63], v[4:5] op_sel:[0,1]
	s_barrier_wait -1
	s_delay_alu instid0(VALU_DEP_3) | instskip(NEXT) | instid1(VALU_DEP_3)
	v_pk_add_f32 v[20:21], v[42:43], v[20:21]
	v_pk_fma_f32 v[64:65], v[66:67], v[22:23], v[16:17] op_sel:[0,0,1] op_sel_hi:[1,0,0]
	v_pk_mul_f32 v[42:43], v[68:69], v[18:19] op_sel:[0,1]
	v_pk_fma_f32 v[16:17], v[66:67], v[22:23], v[16:17] op_sel:[0,0,1] op_sel_hi:[1,1,0] neg_lo:[0,0,1] neg_hi:[0,0,1]
	v_pk_fma_f32 v[22:23], v[62:63], v[4:5], v[12:13] op_sel:[0,0,1] op_sel_hi:[1,1,0] neg_lo:[0,0,1] neg_hi:[0,0,1]
	v_pk_fma_f32 v[4:5], v[62:63], v[4:5], v[12:13] op_sel:[0,0,1] op_sel_hi:[1,0,0]
	v_mov_b32_e32 v17, v65
	v_pk_fma_f32 v[64:65], v[68:69], v[18:19], v[42:43] op_sel:[0,0,1] op_sel_hi:[1,0,0]
	v_pk_mul_f32 v[12:13], v[70:71], v[14:15] op_sel:[0,1]
	v_pk_fma_f32 v[18:19], v[68:69], v[18:19], v[42:43] op_sel:[0,0,1] op_sel_hi:[1,1,0] neg_lo:[0,0,1] neg_hi:[0,0,1]
	v_mov_b32_e32 v23, v5
	v_pk_mul_f32 v[42:43], v[60:61], v[10:11] op_sel:[0,1]
	v_mov_b32_e32 v19, v65
	v_pk_add_f32 v[16:17], v[20:21], v[16:17]
	v_pk_fma_f32 v[4:5], v[70:71], v[14:15], v[12:13] op_sel:[0,0,1] op_sel_hi:[1,0,0]
	v_pk_fma_f32 v[12:13], v[70:71], v[14:15], v[12:13] op_sel:[0,0,1] op_sel_hi:[1,1,0] neg_lo:[0,0,1] neg_hi:[0,0,1]
	v_pk_mul_f32 v[20:21], v[56:57], v[0:1] op_sel:[0,1]
	s_delay_alu instid0(VALU_DEP_4) | instskip(NEXT) | instid1(VALU_DEP_4)
	v_pk_add_f32 v[16:17], v[16:17], v[18:19]
	v_mov_b32_e32 v13, v5
	v_pk_add_f32 v[4:5], v[8:9], v[22:23]
	v_pk_fma_f32 v[8:9], v[60:61], v[10:11], v[42:43] op_sel:[0,0,1] op_sel_hi:[1,0,0]
	v_pk_mul_f32 v[18:19], v[62:63], v[6:7] op_sel:[0,1]
	v_pk_fma_f32 v[10:11], v[60:61], v[10:11], v[42:43] op_sel:[0,0,1] op_sel_hi:[1,1,0] neg_lo:[0,0,1] neg_hi:[0,0,1]
	v_pk_fma_f32 v[14:15], v[56:57], v[0:1], v[20:21] op_sel:[0,0,1] op_sel_hi:[1,1,0] neg_lo:[0,0,1] neg_hi:[0,0,1]
	v_pk_add_f32 v[12:13], v[16:17], v[12:13]
	v_mov_b32_e32 v11, v9
	v_pk_fma_f32 v[0:1], v[56:57], v[0:1], v[20:21] op_sel:[0,0,1] op_sel_hi:[1,0,0]
	v_pk_fma_f32 v[8:9], v[62:63], v[6:7], v[18:19] op_sel:[0,0,1] op_sel_hi:[1,0,0]
	v_pk_mul_f32 v[20:21], v[56:57], v[2:3] op_sel:[0,1]
	v_pk_fma_f32 v[6:7], v[62:63], v[6:7], v[18:19] op_sel:[0,0,1] op_sel_hi:[1,1,0] neg_lo:[0,0,1] neg_hi:[0,0,1]
	v_pk_mul_f32 v[16:17], v[58:59], v[24:25] op_sel:[0,1]
	s_delay_alu instid0(VALU_DEP_4)
	v_dual_mov_b32 v15, v1 :: v_dual_mov_b32 v7, v9
	v_pk_add_f32 v[10:11], v[12:13], v[10:11]
	v_pk_fma_f32 v[0:1], v[56:57], v[2:3], v[20:21] op_sel:[0,0,1] op_sel_hi:[1,0,0]
	v_pk_mul_f32 v[12:13], v[58:59], v[26:27] op_sel:[0,1]
	v_pk_fma_f32 v[2:3], v[56:57], v[2:3], v[20:21] op_sel:[0,0,1] op_sel_hi:[1,1,0] neg_lo:[0,0,1] neg_hi:[0,0,1]
	v_pk_fma_f32 v[8:9], v[58:59], v[24:25], v[16:17] op_sel:[0,0,1] op_sel_hi:[1,0,0]
	v_pk_add_f32 v[6:7], v[10:11], v[6:7]
	v_mov_b32_e32 v3, v1
	v_pk_add_f32 v[0:1], v[4:5], v[14:15]
	v_pk_fma_f32 v[4:5], v[58:59], v[26:27], v[12:13] op_sel:[0,0,1] op_sel_hi:[1,0,0]
	v_pk_fma_f32 v[10:11], v[58:59], v[24:25], v[16:17] op_sel:[0,0,1] op_sel_hi:[1,1,0] neg_lo:[0,0,1] neg_hi:[0,0,1]
	v_mov_b32_e32 v11, v9
	v_pk_add_f32 v[2:3], v[6:7], v[2:3]
	v_pk_fma_f32 v[6:7], v[58:59], v[26:27], v[12:13] op_sel:[0,0,1] op_sel_hi:[1,1,0] neg_lo:[0,0,1] neg_hi:[0,0,1]
	v_mov_b32_e32 v7, v5
	v_pk_add_f32 v[24:25], v[48:49], v[76:77]
	v_pk_add_f32 v[48:49], v[0:1], v[10:11]
	s_delay_alu instid0(VALU_DEP_3)
	v_pk_add_f32 v[42:43], v[2:3], v[6:7]
	s_cbranch_vccz .LBB524_13
.LBB524_7:                              ;   Parent Loop BB524_4 Depth=1
                                        ; =>  This Inner Loop Header: Depth=2
	v_add_nc_u64_e32 v[0:1], s[24:25], v[28:29]
	s_delay_alu instid0(VALU_DEP_1) | instskip(SKIP_1) | instid1(SALU_CYCLE_1)
	v_cmp_le_i64_e32 vcc_lo, s[8:9], v[0:1]
	s_or_b32 s27, s26, vcc_lo
	s_and_saveexec_b32 s37, s27
	s_delay_alu instid0(SALU_CYCLE_1)
	s_xor_b32 s27, exec_lo, s37
; %bb.8:                                ;   in Loop: Header=BB524_7 Depth=2
	ds_store_b32 v52, v29
; %bb.9:                                ;   in Loop: Header=BB524_7 Depth=2
	s_or_saveexec_b32 s27, s27
	v_dual_mov_b32 v0, 0 :: v_dual_mov_b32 v2, 0
	s_xor_b32 exec_lo, exec_lo, s27
	s_cbranch_execz .LBB524_11
; %bb.10:                               ;   in Loop: Header=BB524_7 Depth=2
	global_load_b64 v[4:5], v[46:47], off offset:-4
	s_wait_loadcnt 0x0
	v_xor_b32_e32 v2, 0x80000000, v5
	ds_store_b32 v52, v4
.LBB524_11:                             ;   in Loop: Header=BB524_7 Depth=2
	s_wait_xcnt 0x0
	s_or_b32 exec_lo, exec_lo, s27
	v_add_nc_u64_e32 v[4:5], s[24:25], v[30:31]
	v_mov_b32_e32 v1, 0
	ds_store_b32 v52, v2 offset:4
	v_cmp_gt_i64_e32 vcc_lo, s[8:9], v[4:5]
	s_and_b32 s37, vcc_lo, s0
	s_delay_alu instid0(SALU_CYCLE_1)
	s_and_saveexec_b32 s27, s37
	s_cbranch_execz .LBB524_6
; %bb.12:                               ;   in Loop: Header=BB524_7 Depth=2
	global_load_b64 v[0:1], v[44:45], off
	s_branch .LBB524_6
.LBB524_13:                             ;   in Loop: Header=BB524_4 Depth=1
	s_mul_u64 s[24:25], s[30:31], s[34:35]
	s_and_not1_b32 vcc_lo, exec_lo, s36
	s_lshl_b64 s[24:25], s[24:25], 3
	s_mov_b32 s27, -1
	s_add_nc_u64 s[24:25], s[18:19], s[24:25]
	s_cbranch_vccz .LBB524_15
; %bb.14:                               ;   in Loop: Header=BB524_4 Depth=1
	s_and_not1_b32 vcc_lo, exec_lo, s27
	s_cbranch_vccnz .LBB524_3
	s_branch .LBB524_26
.LBB524_15:                             ;   in Loop: Header=BB524_4 Depth=1
	s_and_saveexec_b32 s27, s1
	s_cbranch_execz .LBB524_25
; %bb.16:                               ;   in Loop: Header=BB524_4 Depth=1
	v_lshl_add_u64 v[0:1], v[34:35], 3, s[24:25]
	s_delay_alu instid0(VALU_DEP_1)
	v_lshl_add_u64 v[2:3], v[32:33], 3, v[0:1]
	s_and_saveexec_b32 s37, s2
	s_cbranch_execnz .LBB524_19
; %bb.17:                               ;   in Loop: Header=BB524_4 Depth=1
	s_or_b32 exec_lo, exec_lo, s37
	s_and_saveexec_b32 s37, s3
	s_cbranch_execnz .LBB524_20
.LBB524_18:                             ;   in Loop: Header=BB524_4 Depth=1
	s_or_b32 exec_lo, exec_lo, s37
	s_delay_alu instid0(SALU_CYCLE_1)
	s_and_b32 exec_lo, exec_lo, s4
	s_cbranch_execnz .LBB524_21
	s_branch .LBB524_25
.LBB524_19:                             ;   in Loop: Header=BB524_4 Depth=1
	v_mov_b64_e32 v[4:5], s[22:23]
	v_mov_b64_e32 v[6:7], s[10:11]
	s_delay_alu instid0(VALU_DEP_2) | instskip(NEXT) | instid1(VALU_DEP_1)
	v_pk_mul_f32 v[4:5], v[50:51], v[4:5] op_sel:[1,0] op_sel_hi:[0,1]
	v_pk_fma_f32 v[8:9], v[50:51], v[6:7], v[4:5]
	v_pk_fma_f32 v[4:5], v[50:51], v[6:7], v[4:5] neg_lo:[0,0,1] neg_hi:[0,0,1]
	s_delay_alu instid0(VALU_DEP_2)
	v_mov_b32_e32 v5, v9
	global_store_b64 v[2:3], v[4:5], off
	s_wait_xcnt 0x0
	s_or_b32 exec_lo, exec_lo, s37
	s_and_saveexec_b32 s37, s3
	s_cbranch_execz .LBB524_18
.LBB524_20:                             ;   in Loop: Header=BB524_4 Depth=1
	v_mov_b64_e32 v[4:5], s[22:23]
	v_mov_b64_e32 v[6:7], s[10:11]
	s_delay_alu instid0(VALU_DEP_2) | instskip(NEXT) | instid1(VALU_DEP_1)
	v_pk_mul_f32 v[4:5], v[24:25], v[4:5] op_sel:[1,0] op_sel_hi:[0,1]
	v_pk_fma_f32 v[8:9], v[24:25], v[6:7], v[4:5]
	v_pk_fma_f32 v[4:5], v[24:25], v[6:7], v[4:5] neg_lo:[0,0,1] neg_hi:[0,0,1]
	s_delay_alu instid0(VALU_DEP_2) | instskip(SKIP_3) | instid1(SALU_CYCLE_1)
	v_mov_b32_e32 v5, v9
	global_store_b64 v[2:3], v[4:5], off offset:128
	s_wait_xcnt 0x0
	s_or_b32 exec_lo, exec_lo, s37
	s_and_b32 exec_lo, exec_lo, s4
	s_cbranch_execz .LBB524_25
.LBB524_21:                             ;   in Loop: Header=BB524_4 Depth=1
	v_lshl_add_u64 v[0:1], s[6:7], 3, v[0:1]
	s_delay_alu instid0(VALU_DEP_1)
	v_lshl_add_u64 v[0:1], v[32:33], 3, v[0:1]
	s_and_saveexec_b32 s37, s2
	s_cbranch_execz .LBB524_23
; %bb.22:                               ;   in Loop: Header=BB524_4 Depth=1
	v_mov_b64_e32 v[2:3], s[22:23]
	v_mov_b64_e32 v[4:5], s[10:11]
	s_delay_alu instid0(VALU_DEP_2) | instskip(NEXT) | instid1(VALU_DEP_1)
	v_pk_mul_f32 v[2:3], v[48:49], v[2:3] op_sel:[1,0] op_sel_hi:[0,1]
	v_pk_fma_f32 v[6:7], v[48:49], v[4:5], v[2:3]
	v_pk_fma_f32 v[2:3], v[48:49], v[4:5], v[2:3] neg_lo:[0,0,1] neg_hi:[0,0,1]
	s_delay_alu instid0(VALU_DEP_2)
	v_mov_b32_e32 v3, v7
	global_store_b64 v[0:1], v[2:3], off
.LBB524_23:                             ;   in Loop: Header=BB524_4 Depth=1
	s_wait_xcnt 0x0
	s_or_b32 exec_lo, exec_lo, s37
	s_delay_alu instid0(SALU_CYCLE_1)
	s_and_b32 exec_lo, exec_lo, s3
	s_cbranch_execz .LBB524_25
; %bb.24:                               ;   in Loop: Header=BB524_4 Depth=1
	v_mov_b64_e32 v[2:3], s[22:23]
	v_mov_b64_e32 v[4:5], s[10:11]
	s_delay_alu instid0(VALU_DEP_2) | instskip(NEXT) | instid1(VALU_DEP_1)
	v_pk_mul_f32 v[2:3], v[42:43], v[2:3] op_sel:[1,0] op_sel_hi:[0,1]
	v_pk_fma_f32 v[6:7], v[42:43], v[4:5], v[2:3]
	v_pk_fma_f32 v[2:3], v[42:43], v[4:5], v[2:3] neg_lo:[0,0,1] neg_hi:[0,0,1]
	s_delay_alu instid0(VALU_DEP_2)
	v_mov_b32_e32 v3, v7
	global_store_b64 v[0:1], v[2:3], off offset:128
.LBB524_25:                             ;   in Loop: Header=BB524_4 Depth=1
	s_wait_xcnt 0x0
	s_or_b32 exec_lo, exec_lo, s27
	s_cbranch_execnz .LBB524_3
.LBB524_26:                             ;   in Loop: Header=BB524_4 Depth=1
	s_and_saveexec_b32 s27, s1
	s_cbranch_execz .LBB524_2
; %bb.27:                               ;   in Loop: Header=BB524_4 Depth=1
	s_mul_u64 s[38:39], s[16:17], s[34:35]
	v_lshlrev_b64_e32 v[0:1], 3, v[32:33]
	v_lshl_add_u64 v[2:3], s[38:39], 3, v[36:37]
	v_lshl_add_u64 v[4:5], v[34:35], 3, s[24:25]
	s_delay_alu instid0(VALU_DEP_2) | instskip(NEXT) | instid1(VALU_DEP_2)
	v_add_nc_u64_e32 v[8:9], v[2:3], v[0:1]
	v_add_nc_u64_e32 v[6:7], v[4:5], v[0:1]
	s_and_saveexec_b32 s24, s2
	s_cbranch_execnz .LBB524_30
; %bb.28:                               ;   in Loop: Header=BB524_4 Depth=1
	s_or_b32 exec_lo, exec_lo, s24
	s_and_saveexec_b32 s24, s3
	s_cbranch_execnz .LBB524_31
.LBB524_29:                             ;   in Loop: Header=BB524_4 Depth=1
	s_or_b32 exec_lo, exec_lo, s24
	s_delay_alu instid0(SALU_CYCLE_1)
	s_and_b32 exec_lo, exec_lo, s4
	s_cbranch_execz .LBB524_2
	s_branch .LBB524_32
.LBB524_30:                             ;   in Loop: Header=BB524_4 Depth=1
	global_load_b64 v[10:11], v[8:9], off
	v_mov_b64_e32 v[12:13], s[22:23]
	v_mov_b64_e32 v[14:15], s[28:29]
	;; [unrolled: 1-line block ×4, first 2 shown]
	s_delay_alu instid0(VALU_DEP_4) | instskip(NEXT) | instid1(VALU_DEP_1)
	v_pk_mul_f32 v[12:13], v[50:51], v[12:13] op_sel:[1,0] op_sel_hi:[0,1]
	v_pk_fma_f32 v[20:21], v[50:51], v[16:17], v[12:13]
	v_pk_fma_f32 v[12:13], v[50:51], v[16:17], v[12:13] neg_lo:[0,0,1] neg_hi:[0,0,1]
	s_wait_loadcnt 0x0
	v_pk_mul_f32 v[14:15], v[10:11], v[14:15] op_sel:[1,0] op_sel_hi:[0,1]
	s_delay_alu instid0(VALU_DEP_1) | instskip(SKIP_1) | instid1(VALU_DEP_2)
	v_pk_fma_f32 v[22:23], v[10:11], v[18:19], v[14:15]
	v_pk_fma_f32 v[10:11], v[10:11], v[18:19], v[14:15] neg_lo:[0,0,1] neg_hi:[0,0,1]
	v_dual_mov_b32 v13, v21 :: v_dual_mov_b32 v11, v23
	s_delay_alu instid0(VALU_DEP_1)
	v_pk_add_f32 v[10:11], v[12:13], v[10:11]
	global_store_b64 v[6:7], v[10:11], off
	s_wait_xcnt 0x0
	s_or_b32 exec_lo, exec_lo, s24
	s_and_saveexec_b32 s24, s3
	s_cbranch_execz .LBB524_29
.LBB524_31:                             ;   in Loop: Header=BB524_4 Depth=1
	global_load_b64 v[8:9], v[8:9], off offset:128
	v_mov_b64_e32 v[10:11], s[22:23]
	v_mov_b64_e32 v[12:13], s[28:29]
	;; [unrolled: 1-line block ×4, first 2 shown]
	s_delay_alu instid0(VALU_DEP_4) | instskip(NEXT) | instid1(VALU_DEP_1)
	v_pk_mul_f32 v[10:11], v[24:25], v[10:11] op_sel:[1,0] op_sel_hi:[0,1]
	v_pk_fma_f32 v[18:19], v[24:25], v[14:15], v[10:11]
	v_pk_fma_f32 v[10:11], v[24:25], v[14:15], v[10:11] neg_lo:[0,0,1] neg_hi:[0,0,1]
	s_wait_loadcnt 0x0
	v_pk_mul_f32 v[12:13], v[8:9], v[12:13] op_sel:[1,0] op_sel_hi:[0,1]
	s_delay_alu instid0(VALU_DEP_1) | instskip(SKIP_2) | instid1(VALU_DEP_2)
	v_pk_fma_f32 v[20:21], v[8:9], v[16:17], v[12:13]
	s_wait_xcnt 0x0
	v_pk_fma_f32 v[8:9], v[8:9], v[16:17], v[12:13] neg_lo:[0,0,1] neg_hi:[0,0,1]
	v_dual_mov_b32 v11, v19 :: v_dual_mov_b32 v9, v21
	s_delay_alu instid0(VALU_DEP_1) | instskip(SKIP_3) | instid1(SALU_CYCLE_1)
	v_pk_add_f32 v[8:9], v[10:11], v[8:9]
	global_store_b64 v[6:7], v[8:9], off offset:128
	s_wait_xcnt 0x0
	s_or_b32 exec_lo, exec_lo, s24
	s_and_b32 exec_lo, exec_lo, s4
	s_cbranch_execz .LBB524_2
.LBB524_32:                             ;   in Loop: Header=BB524_4 Depth=1
	v_lshl_add_u64 v[2:3], s[14:15], 3, v[2:3]
	v_lshl_add_u64 v[4:5], s[6:7], 3, v[4:5]
	s_delay_alu instid0(VALU_DEP_2) | instskip(NEXT) | instid1(VALU_DEP_2)
	v_add_nc_u64_e32 v[2:3], v[2:3], v[0:1]
	v_add_nc_u64_e32 v[0:1], v[4:5], v[0:1]
	s_and_saveexec_b32 s24, s2
	s_cbranch_execz .LBB524_34
; %bb.33:                               ;   in Loop: Header=BB524_4 Depth=1
	global_load_b64 v[4:5], v[2:3], off
	v_mov_b64_e32 v[6:7], s[22:23]
	v_mov_b64_e32 v[8:9], s[28:29]
	;; [unrolled: 1-line block ×4, first 2 shown]
	s_delay_alu instid0(VALU_DEP_4) | instskip(NEXT) | instid1(VALU_DEP_1)
	v_pk_mul_f32 v[6:7], v[48:49], v[6:7] op_sel:[1,0] op_sel_hi:[0,1]
	v_pk_fma_f32 v[14:15], v[48:49], v[10:11], v[6:7]
	v_pk_fma_f32 v[6:7], v[48:49], v[10:11], v[6:7] neg_lo:[0,0,1] neg_hi:[0,0,1]
	s_wait_loadcnt 0x0
	v_pk_mul_f32 v[8:9], v[4:5], v[8:9] op_sel:[1,0] op_sel_hi:[0,1]
	s_delay_alu instid0(VALU_DEP_1) | instskip(SKIP_1) | instid1(VALU_DEP_2)
	v_pk_fma_f32 v[16:17], v[4:5], v[12:13], v[8:9]
	v_pk_fma_f32 v[4:5], v[4:5], v[12:13], v[8:9] neg_lo:[0,0,1] neg_hi:[0,0,1]
	v_dual_mov_b32 v7, v15 :: v_dual_mov_b32 v5, v17
	s_delay_alu instid0(VALU_DEP_1)
	v_pk_add_f32 v[4:5], v[6:7], v[4:5]
	global_store_b64 v[0:1], v[4:5], off
.LBB524_34:                             ;   in Loop: Header=BB524_4 Depth=1
	s_wait_xcnt 0x0
	s_or_b32 exec_lo, exec_lo, s24
	s_delay_alu instid0(SALU_CYCLE_1)
	s_and_b32 exec_lo, exec_lo, s3
	s_cbranch_execz .LBB524_2
; %bb.35:                               ;   in Loop: Header=BB524_4 Depth=1
	global_load_b64 v[2:3], v[2:3], off offset:128
	v_mov_b64_e32 v[4:5], s[22:23]
	v_mov_b64_e32 v[6:7], s[28:29]
	;; [unrolled: 1-line block ×4, first 2 shown]
	s_delay_alu instid0(VALU_DEP_4) | instskip(NEXT) | instid1(VALU_DEP_1)
	v_pk_mul_f32 v[4:5], v[42:43], v[4:5] op_sel:[1,0] op_sel_hi:[0,1]
	v_pk_fma_f32 v[12:13], v[42:43], v[8:9], v[4:5]
	v_pk_fma_f32 v[4:5], v[42:43], v[8:9], v[4:5] neg_lo:[0,0,1] neg_hi:[0,0,1]
	s_wait_loadcnt 0x0
	v_pk_mul_f32 v[6:7], v[2:3], v[6:7] op_sel:[1,0] op_sel_hi:[0,1]
	s_delay_alu instid0(VALU_DEP_1) | instskip(SKIP_2) | instid1(VALU_DEP_2)
	v_pk_fma_f32 v[14:15], v[2:3], v[10:11], v[6:7]
	s_wait_xcnt 0x0
	v_pk_fma_f32 v[2:3], v[2:3], v[10:11], v[6:7] neg_lo:[0,0,1] neg_hi:[0,0,1]
	v_dual_mov_b32 v5, v13 :: v_dual_mov_b32 v3, v15
	s_delay_alu instid0(VALU_DEP_1)
	v_pk_add_f32 v[2:3], v[4:5], v[2:3]
	global_store_b64 v[0:1], v[2:3], off offset:128
	s_branch .LBB524_2
.LBB524_36:
	s_sendmsg sendmsg(MSG_DEALLOC_VGPRS)
	s_endpgm
	.section	.rodata,"a",@progbits
	.p2align	6, 0x0
	.amdhsa_kernel _ZN12_GLOBAL__N_135rocblas_gemm_batched_general_kernelI19rocblas_complex_numIfELi16ELi16ELi32ELi32ELi8ELi32ELi8ELi8ELi32ELc67ELc78EKS2_S3_S2_EEvlllT_PT11_llS6_llS4_PT12_llPT13_lli
		.amdhsa_group_segment_fixed_size 4096
		.amdhsa_private_segment_fixed_size 0
		.amdhsa_kernarg_size 140
		.amdhsa_user_sgpr_count 2
		.amdhsa_user_sgpr_dispatch_ptr 0
		.amdhsa_user_sgpr_queue_ptr 0
		.amdhsa_user_sgpr_kernarg_segment_ptr 1
		.amdhsa_user_sgpr_dispatch_id 0
		.amdhsa_user_sgpr_kernarg_preload_length 0
		.amdhsa_user_sgpr_kernarg_preload_offset 0
		.amdhsa_user_sgpr_private_segment_size 0
		.amdhsa_wavefront_size32 1
		.amdhsa_uses_dynamic_stack 0
		.amdhsa_enable_private_segment 0
		.amdhsa_system_sgpr_workgroup_id_x 1
		.amdhsa_system_sgpr_workgroup_id_y 1
		.amdhsa_system_sgpr_workgroup_id_z 1
		.amdhsa_system_sgpr_workgroup_info 0
		.amdhsa_system_vgpr_workitem_id 1
		.amdhsa_next_free_vgpr 84
		.amdhsa_next_free_sgpr 44
		.amdhsa_named_barrier_count 0
		.amdhsa_reserve_vcc 1
		.amdhsa_float_round_mode_32 0
		.amdhsa_float_round_mode_16_64 0
		.amdhsa_float_denorm_mode_32 3
		.amdhsa_float_denorm_mode_16_64 3
		.amdhsa_fp16_overflow 0
		.amdhsa_memory_ordered 1
		.amdhsa_forward_progress 1
		.amdhsa_inst_pref_size 27
		.amdhsa_round_robin_scheduling 0
		.amdhsa_exception_fp_ieee_invalid_op 0
		.amdhsa_exception_fp_denorm_src 0
		.amdhsa_exception_fp_ieee_div_zero 0
		.amdhsa_exception_fp_ieee_overflow 0
		.amdhsa_exception_fp_ieee_underflow 0
		.amdhsa_exception_fp_ieee_inexact 0
		.amdhsa_exception_int_div_zero 0
	.end_amdhsa_kernel
	.section	.text._ZN12_GLOBAL__N_135rocblas_gemm_batched_general_kernelI19rocblas_complex_numIfELi16ELi16ELi32ELi32ELi8ELi32ELi8ELi8ELi32ELc67ELc78EKS2_S3_S2_EEvlllT_PT11_llS6_llS4_PT12_llPT13_lli,"axG",@progbits,_ZN12_GLOBAL__N_135rocblas_gemm_batched_general_kernelI19rocblas_complex_numIfELi16ELi16ELi32ELi32ELi8ELi32ELi8ELi8ELi32ELc67ELc78EKS2_S3_S2_EEvlllT_PT11_llS6_llS4_PT12_llPT13_lli,comdat
.Lfunc_end524:
	.size	_ZN12_GLOBAL__N_135rocblas_gemm_batched_general_kernelI19rocblas_complex_numIfELi16ELi16ELi32ELi32ELi8ELi32ELi8ELi8ELi32ELc67ELc78EKS2_S3_S2_EEvlllT_PT11_llS6_llS4_PT12_llPT13_lli, .Lfunc_end524-_ZN12_GLOBAL__N_135rocblas_gemm_batched_general_kernelI19rocblas_complex_numIfELi16ELi16ELi32ELi32ELi8ELi32ELi8ELi8ELi32ELc67ELc78EKS2_S3_S2_EEvlllT_PT11_llS6_llS4_PT12_llPT13_lli
                                        ; -- End function
	.set _ZN12_GLOBAL__N_135rocblas_gemm_batched_general_kernelI19rocblas_complex_numIfELi16ELi16ELi32ELi32ELi8ELi32ELi8ELi8ELi32ELc67ELc78EKS2_S3_S2_EEvlllT_PT11_llS6_llS4_PT12_llPT13_lli.num_vgpr, 84
	.set _ZN12_GLOBAL__N_135rocblas_gemm_batched_general_kernelI19rocblas_complex_numIfELi16ELi16ELi32ELi32ELi8ELi32ELi8ELi8ELi32ELc67ELc78EKS2_S3_S2_EEvlllT_PT11_llS6_llS4_PT12_llPT13_lli.num_agpr, 0
	.set _ZN12_GLOBAL__N_135rocblas_gemm_batched_general_kernelI19rocblas_complex_numIfELi16ELi16ELi32ELi32ELi8ELi32ELi8ELi8ELi32ELc67ELc78EKS2_S3_S2_EEvlllT_PT11_llS6_llS4_PT12_llPT13_lli.numbered_sgpr, 44
	.set _ZN12_GLOBAL__N_135rocblas_gemm_batched_general_kernelI19rocblas_complex_numIfELi16ELi16ELi32ELi32ELi8ELi32ELi8ELi8ELi32ELc67ELc78EKS2_S3_S2_EEvlllT_PT11_llS6_llS4_PT12_llPT13_lli.num_named_barrier, 0
	.set _ZN12_GLOBAL__N_135rocblas_gemm_batched_general_kernelI19rocblas_complex_numIfELi16ELi16ELi32ELi32ELi8ELi32ELi8ELi8ELi32ELc67ELc78EKS2_S3_S2_EEvlllT_PT11_llS6_llS4_PT12_llPT13_lli.private_seg_size, 0
	.set _ZN12_GLOBAL__N_135rocblas_gemm_batched_general_kernelI19rocblas_complex_numIfELi16ELi16ELi32ELi32ELi8ELi32ELi8ELi8ELi32ELc67ELc78EKS2_S3_S2_EEvlllT_PT11_llS6_llS4_PT12_llPT13_lli.uses_vcc, 1
	.set _ZN12_GLOBAL__N_135rocblas_gemm_batched_general_kernelI19rocblas_complex_numIfELi16ELi16ELi32ELi32ELi8ELi32ELi8ELi8ELi32ELc67ELc78EKS2_S3_S2_EEvlllT_PT11_llS6_llS4_PT12_llPT13_lli.uses_flat_scratch, 0
	.set _ZN12_GLOBAL__N_135rocblas_gemm_batched_general_kernelI19rocblas_complex_numIfELi16ELi16ELi32ELi32ELi8ELi32ELi8ELi8ELi32ELc67ELc78EKS2_S3_S2_EEvlllT_PT11_llS6_llS4_PT12_llPT13_lli.has_dyn_sized_stack, 0
	.set _ZN12_GLOBAL__N_135rocblas_gemm_batched_general_kernelI19rocblas_complex_numIfELi16ELi16ELi32ELi32ELi8ELi32ELi8ELi8ELi32ELc67ELc78EKS2_S3_S2_EEvlllT_PT11_llS6_llS4_PT12_llPT13_lli.has_recursion, 0
	.set _ZN12_GLOBAL__N_135rocblas_gemm_batched_general_kernelI19rocblas_complex_numIfELi16ELi16ELi32ELi32ELi8ELi32ELi8ELi8ELi32ELc67ELc78EKS2_S3_S2_EEvlllT_PT11_llS6_llS4_PT12_llPT13_lli.has_indirect_call, 0
	.section	.AMDGPU.csdata,"",@progbits
; Kernel info:
; codeLenInByte = 3428
; TotalNumSgprs: 46
; NumVgprs: 84
; ScratchSize: 0
; MemoryBound: 0
; FloatMode: 240
; IeeeMode: 1
; LDSByteSize: 4096 bytes/workgroup (compile time only)
; SGPRBlocks: 0
; VGPRBlocks: 5
; NumSGPRsForWavesPerEU: 46
; NumVGPRsForWavesPerEU: 84
; NamedBarCnt: 0
; Occupancy: 10
; WaveLimiterHint : 0
; COMPUTE_PGM_RSRC2:SCRATCH_EN: 0
; COMPUTE_PGM_RSRC2:USER_SGPR: 2
; COMPUTE_PGM_RSRC2:TRAP_HANDLER: 0
; COMPUTE_PGM_RSRC2:TGID_X_EN: 1
; COMPUTE_PGM_RSRC2:TGID_Y_EN: 1
; COMPUTE_PGM_RSRC2:TGID_Z_EN: 1
; COMPUTE_PGM_RSRC2:TIDIG_COMP_CNT: 1
	.section	.text._ZN12_GLOBAL__N_135rocblas_gemm_batched_general_kernelI19rocblas_complex_numIfELi16ELi16ELi32ELi32ELi8ELi32ELi8ELi8ELi32ELc67ELc84EKS2_S3_S2_EEvlllT_PT11_llS6_llS4_PT12_llPT13_lli,"axG",@progbits,_ZN12_GLOBAL__N_135rocblas_gemm_batched_general_kernelI19rocblas_complex_numIfELi16ELi16ELi32ELi32ELi8ELi32ELi8ELi8ELi32ELc67ELc84EKS2_S3_S2_EEvlllT_PT11_llS6_llS4_PT12_llPT13_lli,comdat
	.globl	_ZN12_GLOBAL__N_135rocblas_gemm_batched_general_kernelI19rocblas_complex_numIfELi16ELi16ELi32ELi32ELi8ELi32ELi8ELi8ELi32ELc67ELc84EKS2_S3_S2_EEvlllT_PT11_llS6_llS4_PT12_llPT13_lli ; -- Begin function _ZN12_GLOBAL__N_135rocblas_gemm_batched_general_kernelI19rocblas_complex_numIfELi16ELi16ELi32ELi32ELi8ELi32ELi8ELi8ELi32ELc67ELc84EKS2_S3_S2_EEvlllT_PT11_llS6_llS4_PT12_llPT13_lli
	.p2align	8
	.type	_ZN12_GLOBAL__N_135rocblas_gemm_batched_general_kernelI19rocblas_complex_numIfELi16ELi16ELi32ELi32ELi8ELi32ELi8ELi8ELi32ELc67ELc84EKS2_S3_S2_EEvlllT_PT11_llS6_llS4_PT12_llPT13_lli,@function
_ZN12_GLOBAL__N_135rocblas_gemm_batched_general_kernelI19rocblas_complex_numIfELi16ELi16ELi32ELi32ELi8ELi32ELi8ELi8ELi32ELc67ELc84EKS2_S3_S2_EEvlllT_PT11_llS6_llS4_PT12_llPT13_lli: ; @_ZN12_GLOBAL__N_135rocblas_gemm_batched_general_kernelI19rocblas_complex_numIfELi16ELi16ELi32ELi32ELi8ELi32ELi8ELi8ELi32ELc67ELc84EKS2_S3_S2_EEvlllT_PT11_llS6_llS4_PT12_llPT13_lli
; %bb.0:
	s_load_b32 s33, s[0:1], 0x88
	s_bfe_u32 s2, ttmp6, 0x40014
	s_lshr_b32 s3, ttmp7, 16
	s_add_co_i32 s2, s2, 1
	s_bfe_u32 s5, ttmp6, 0x40008
	s_mul_i32 s4, s3, s2
	s_getreg_b32 s2, hwreg(HW_REG_IB_STS2, 6, 4)
	s_add_co_i32 s5, s5, s4
	s_cmp_eq_u32 s2, 0
	s_mov_b32 s35, 0
	s_cselect_b32 s34, s3, s5
	s_wait_kmcnt 0x0
	s_cmp_ge_i32 s34, s33
	s_cbranch_scc1 .LBB525_36
; %bb.1:
	v_bfe_u32 v2, v0, 10, 10
	v_and_b32_e32 v4, 0x3ff, v0
	s_clause 0x5
	s_load_b256 s[4:11], s[0:1], 0x0
	s_load_b256 s[20:27], s[0:1], 0x20
	s_load_b128 s[28:31], s[0:1], 0x78
	s_load_b256 s[12:19], s[0:1], 0x58
	s_load_b128 s[36:39], s[0:1], 0x40
	s_load_b64 s[40:41], s[0:1], 0x50
	s_wait_xcnt 0x0
	s_bfe_u32 s0, ttmp6, 0x4000c
	s_bfe_u32 s3, ttmp6, 0x40010
	s_add_co_i32 s0, s0, 1
	s_and_b32 s42, ttmp7, 0xffff
	s_add_co_i32 s3, s3, 1
	s_and_b32 s1, ttmp6, 15
	s_mul_i32 s0, ttmp9, s0
	s_mul_i32 s3, s42, s3
	s_bfe_u32 s43, ttmp6, 0x40004
	v_lshl_add_u32 v16, v2, 4, v4
	s_add_co_i32 s1, s1, s0
	s_add_co_i32 s43, s43, s3
	s_cmp_eq_u32 s2, 0
	s_delay_alu instid0(VALU_DEP_1) | instskip(SKIP_3) | instid1(VALU_DEP_1)
	v_dual_mov_b32 v29, 0 :: v_dual_bitop2_b32 v5, 31, v16 bitop3:0x40
	s_cselect_b32 s0, ttmp9, s1
	s_cselect_b32 s43, s42, s43
	s_ashr_i32 s1, s0, 31
	v_dual_mov_b32 v1, v29 :: v_dual_bitop2_b32 v30, 7, v0 bitop3:0x40
	s_lshl_b64 s[0:1], s[0:1], 5
	v_dual_mov_b32 v31, v29 :: v_dual_lshrrev_b32 v0, 3, v16
	v_dual_mov_b32 v7, s1 :: v_dual_bitop2_b32 v6, s0, v5 bitop3:0x54
	v_dual_mov_b32 v3, v29 :: v_dual_lshrrev_b32 v28, 5, v16
	s_wait_kmcnt 0x0
	s_delay_alu instid0(VALU_DEP_3)
	v_mul_u64_e32 v[8:9], s[36:37], v[30:31]
	s_lshl_b32 s2, s43, 5
	v_mul_u64_e32 v[12:13], s[22:23], v[6:7]
	s_mov_b32 s3, s35
	v_lshlrev_b32_e32 v17, 3, v5
	v_add_nc_u64_e32 v[10:11], s[2:3], v[0:1]
	v_lshlrev_b32_e32 v1, 3, v30
	v_add_nc_u64_e32 v[14:15], s[2:3], v[2:3]
	v_dual_mov_b32 v5, v29 :: v_dual_lshlrev_b32 v54, 3, v4
	v_cmp_gt_i64_e32 vcc_lo, s[4:5], v[6:7]
	s_delay_alu instid0(VALU_DEP_4) | instskip(SKIP_1) | instid1(VALU_DEP_4)
	v_lshl_or_b32 v0, v0, 6, v1
	v_lshl_add_u32 v55, v2, 6, 0x800
	v_add_nc_u64_e32 v[32:33], s[0:1], v[4:5]
	v_mul_u64_e32 v[34:35], s[28:29], v[14:15]
	s_or_b32 s1, s40, s41
	v_add_nc_u32_e32 v53, 0x800, v0
	v_mul_u64_e32 v[0:1], s[14:15], v[14:15]
	s_bitset0_b32 s1, 31
	v_add_nc_u64_e32 v[2:3], 16, v[14:15]
	v_add_nc_u64_e32 v[4:5], 16, v[32:33]
	s_cmp_eq_u32 s1, 0
	v_cmp_gt_i64_e64 s2, s[4:5], v[32:33]
	s_cselect_b32 s42, -1, 0
	v_cmp_gt_i64_e64 s0, s[6:7], v[10:11]
	v_cmp_gt_i64_e64 s1, s[6:7], v[14:15]
	v_lshl_or_b32 v52, v28, 8, v17
	v_cmp_gt_i64_e64 s3, s[4:5], v[4:5]
	v_dual_mov_b32 v5, v29 :: v_dual_lshlrev_b32 v4, 3, v28
	s_lshl_b32 s4, s43, 8
	s_mov_b32 s5, s35
	s_mov_b32 s22, s11
	v_lshl_add_u64 v[6:7], v[8:9], 3, s[4:5]
	v_and_b32_e32 v8, 0x1ff8, v16
	v_mov_b32_e32 v9, v29
	v_lshl_add_u64 v[4:5], v[12:13], 3, v[4:5]
	v_cmp_gt_i64_e64 s4, s[6:7], v[2:3]
	v_cmp_gt_i64_e64 s5, s[8:9], 0
	s_mov_b32 s23, s11
	v_add_nc_u64_e32 v[2:3], v[6:7], v[8:9]
	v_add_nc_u64_e32 v[4:5], s[20:21], v[4:5]
	s_mov_b32 s11, s10
	s_lshl_b64 s[6:7], s[28:29], 4
	s_mov_b32 s28, s41
	s_mov_b32 s29, s41
	;; [unrolled: 1-line block ×3, first 2 shown]
	v_add_nc_u64_e32 v[38:39], s[26:27], v[2:3]
	v_add_nc_u64_e32 v[40:41], 4, v[4:5]
	v_lshl_add_u64 v[36:37], v[0:1], 3, s[12:13]
	s_lshl_b64 s[14:15], s[14:15], 4
	s_lshl_b64 s[12:13], s[38:39], 3
	s_lshl_b64 s[20:21], s[36:37], 6
	s_lshl_b64 s[24:25], s[24:25], 3
	s_xor_b32 s36, vcc_lo, -1
	s_branch .LBB525_4
.LBB525_2:                              ;   in Loop: Header=BB525_4 Depth=1
	s_wait_xcnt 0x0
	s_or_b32 exec_lo, exec_lo, s37
.LBB525_3:                              ;   in Loop: Header=BB525_4 Depth=1
	s_add_co_i32 s34, s34, 0x10000
	s_delay_alu instid0(SALU_CYCLE_1)
	s_cmp_lt_i32 s34, s33
	s_cbranch_scc0 .LBB525_36
.LBB525_4:                              ; =>This Loop Header: Depth=1
                                        ;     Child Loop BB525_7 Depth 2
	v_dual_mov_b32 v51, 0 :: v_dual_mov_b32 v50, 0
	v_dual_mov_b32 v25, 0 :: v_dual_mov_b32 v24, 0
	;; [unrolled: 1-line block ×4, first 2 shown]
	s_and_not1_b32 vcc_lo, exec_lo, s5
	s_cbranch_vccnz .LBB525_13
; %bb.5:                                ;   in Loop: Header=BB525_4 Depth=1
	v_mad_nc_u64_u32 v[44:45], s12, s34, v[38:39]
	v_mad_nc_u64_u32 v[46:47], s24, s34, v[40:41]
	v_mov_b32_e32 v42, 0
	s_mov_b64 s[26:27], 0
	s_delay_alu instid0(VALU_DEP_1)
	v_dual_mov_b32 v43, v42 :: v_dual_mov_b32 v48, v42
	v_dual_mov_b32 v49, v42 :: v_dual_mov_b32 v24, v42
	v_mad_u32 v45, s13, s34, v45
	v_mad_u32 v47, s25, s34, v47
	v_dual_mov_b32 v25, v42 :: v_dual_mov_b32 v50, v42
	v_mov_b32_e32 v51, v42
	s_branch .LBB525_7
.LBB525_6:                              ;   in Loop: Header=BB525_7 Depth=2
	s_wait_xcnt 0x0
	s_or_b32 exec_lo, exec_lo, s37
	s_wait_loadcnt 0x0
	ds_store_b64 v53, v[0:1]
	s_wait_dscnt 0x0
	s_barrier_signal -1
	s_barrier_wait -1
	ds_load_2addr_b64 v[56:59], v54 offset1:16
	ds_load_b128 v[60:63], v55
	ds_load_2addr_b64 v[20:23], v54 offset0:32 offset1:48
	ds_load_2addr_b64 v[16:19], v54 offset0:64 offset1:80
	ds_load_b128 v[64:67], v55 offset:16
	ds_load_2addr_b64 v[12:15], v54 offset0:96 offset1:112
	ds_load_2addr_b64 v[8:11], v54 offset0:128 offset1:144
	ds_load_b128 v[68:71], v55 offset:32
	ds_load_2addr_b64 v[4:7], v54 offset0:160 offset1:176
	ds_load_2addr_b64 v[0:3], v54 offset0:192 offset1:208
	s_add_nc_u64 s[26:27], s[26:27], 8
	v_add_nc_u64_e32 v[44:45], s[20:21], v[44:45]
	v_cmp_lt_i64_e64 s37, s[26:27], s[8:9]
	v_add_nc_u64_e32 v[46:47], 64, v[46:47]
	s_and_b32 vcc_lo, exec_lo, s37
	s_wait_dscnt 0x8
	v_pk_mul_f32 v[26:27], v[60:61], v[56:57] op_sel:[0,1]
	s_wait_dscnt 0x7
	v_pk_mul_f32 v[72:73], v[62:63], v[20:21] op_sel:[0,1]
	;; [unrolled: 2-line block ×4, first 2 shown]
	v_pk_fma_f32 v[78:79], v[60:61], v[56:57], v[26:27] op_sel:[0,0,1] op_sel_hi:[1,0,0]
	v_pk_fma_f32 v[82:83], v[62:63], v[20:21], v[72:73] op_sel:[0,0,1] op_sel_hi:[1,0,0]
	v_pk_fma_f32 v[26:27], v[60:61], v[56:57], v[26:27] op_sel:[0,0,1] op_sel_hi:[1,1,0] neg_lo:[0,0,1] neg_hi:[0,0,1]
	v_pk_fma_f32 v[72:73], v[62:63], v[20:21], v[72:73] op_sel:[0,0,1] op_sel_hi:[1,1,0] neg_lo:[0,0,1] neg_hi:[0,0,1]
	s_wait_dscnt 0x2
	v_pk_mul_f32 v[80:81], v[68:69], v[8:9] op_sel:[0,1]
	v_dual_mov_b32 v27, v79 :: v_dual_mov_b32 v73, v83
	v_pk_fma_f32 v[78:79], v[64:65], v[16:17], v[74:75] op_sel:[0,0,1] op_sel_hi:[1,0,0]
	v_pk_fma_f32 v[82:83], v[66:67], v[12:13], v[76:77] op_sel:[0,0,1] op_sel_hi:[1,0,0]
	v_pk_fma_f32 v[74:75], v[64:65], v[16:17], v[74:75] op_sel:[0,0,1] op_sel_hi:[1,1,0] neg_lo:[0,0,1] neg_hi:[0,0,1]
	v_pk_fma_f32 v[76:77], v[66:67], v[12:13], v[76:77] op_sel:[0,0,1] op_sel_hi:[1,1,0] neg_lo:[0,0,1] neg_hi:[0,0,1]
	v_pk_add_f32 v[26:27], v[50:51], v[26:27]
	s_delay_alu instid0(VALU_DEP_4)
	v_dual_mov_b32 v75, v79 :: v_dual_mov_b32 v77, v83
	v_pk_fma_f32 v[78:79], v[68:69], v[8:9], v[80:81] op_sel:[0,0,1] op_sel_hi:[1,0,0]
	v_pk_mul_f32 v[82:83], v[60:61], v[58:59] op_sel:[0,1]
	v_pk_fma_f32 v[80:81], v[68:69], v[8:9], v[80:81] op_sel:[0,0,1] op_sel_hi:[1,1,0] neg_lo:[0,0,1] neg_hi:[0,0,1]
	v_pk_mul_f32 v[50:51], v[62:63], v[22:23] op_sel:[0,1]
	v_pk_add_f32 v[26:27], v[26:27], v[72:73]
	v_mov_b32_e32 v81, v79
	v_pk_fma_f32 v[78:79], v[60:61], v[58:59], v[82:83] op_sel:[0,0,1] op_sel_hi:[1,1,0] neg_lo:[0,0,1] neg_hi:[0,0,1]
	v_pk_fma_f32 v[82:83], v[60:61], v[58:59], v[82:83] op_sel:[0,0,1] op_sel_hi:[1,0,0]
	v_pk_fma_f32 v[72:73], v[62:63], v[22:23], v[50:51] op_sel:[0,0,1] op_sel_hi:[1,1,0] neg_lo:[0,0,1] neg_hi:[0,0,1]
	v_pk_fma_f32 v[50:51], v[62:63], v[22:23], v[50:51] op_sel:[0,0,1] op_sel_hi:[1,0,0]
	ds_load_b128 v[60:63], v55 offset:48
	v_pk_add_f32 v[26:27], v[26:27], v[74:75]
	s_wait_dscnt 0x2
	v_pk_mul_f32 v[74:75], v[70:71], v[4:5] op_sel:[0,1]
	v_mov_b32_e32 v79, v83
	v_pk_mul_f32 v[82:83], v[64:65], v[18:19] op_sel:[0,1]
	v_mov_b32_e32 v73, v51
	v_pk_add_f32 v[76:77], v[26:27], v[76:77]
	v_pk_fma_f32 v[50:51], v[70:71], v[4:5], v[74:75] op_sel:[0,0,1] op_sel_hi:[1,0,0]
	v_pk_add_f32 v[78:79], v[24:25], v[78:79]
	v_pk_fma_f32 v[74:75], v[70:71], v[4:5], v[74:75] op_sel:[0,0,1] op_sel_hi:[1,1,0] neg_lo:[0,0,1] neg_hi:[0,0,1]
	ds_load_2addr_b64 v[24:27], v54 offset0:224 offset1:240
	v_mov_b32_e32 v75, v51
	v_pk_add_f32 v[50:51], v[76:77], v[80:81]
	v_pk_fma_f32 v[76:77], v[64:65], v[18:19], v[82:83] op_sel:[0,0,1] op_sel_hi:[1,0,0]
	v_pk_add_f32 v[72:73], v[78:79], v[72:73]
	v_pk_mul_f32 v[78:79], v[66:67], v[14:15] op_sel:[0,1]
	v_pk_fma_f32 v[64:65], v[64:65], v[18:19], v[82:83] op_sel:[0,0,1] op_sel_hi:[1,1,0] neg_lo:[0,0,1] neg_hi:[0,0,1]
	v_pk_add_f32 v[50:51], v[50:51], v[74:75]
	v_mov_b32_e32 v65, v77
	v_pk_mul_f32 v[82:83], v[68:69], v[10:11] op_sel:[0,1]
	v_pk_fma_f32 v[76:77], v[66:67], v[14:15], v[78:79] op_sel:[0,0,1] op_sel_hi:[1,0,0]
	v_pk_fma_f32 v[78:79], v[66:67], v[14:15], v[78:79] op_sel:[0,0,1] op_sel_hi:[1,1,0] neg_lo:[0,0,1] neg_hi:[0,0,1]
	s_delay_alu instid0(VALU_DEP_2)
	v_mov_b32_e32 v79, v77
	v_pk_add_f32 v[72:73], v[72:73], v[64:65]
	ds_load_b128 v[64:67], v55 offset:1024
	s_wait_dscnt 0x2
	v_pk_mul_f32 v[80:81], v[60:61], v[0:1] op_sel:[0,1]
	v_pk_add_f32 v[72:73], v[72:73], v[78:79]
	v_pk_mul_f32 v[78:79], v[70:71], v[6:7] op_sel:[0,1]
	s_delay_alu instid0(VALU_DEP_3) | instskip(SKIP_3) | instid1(VALU_DEP_3)
	v_pk_fma_f32 v[74:75], v[60:61], v[0:1], v[80:81] op_sel:[0,0,1] op_sel_hi:[1,0,0]
	v_pk_fma_f32 v[76:77], v[60:61], v[0:1], v[80:81] op_sel:[0,0,1] op_sel_hi:[1,1,0] neg_lo:[0,0,1] neg_hi:[0,0,1]
	s_wait_dscnt 0x1
	v_pk_mul_f32 v[80:81], v[62:63], v[24:25] op_sel:[0,1]
	v_mov_b32_e32 v77, v75
	v_pk_fma_f32 v[74:75], v[68:69], v[10:11], v[82:83] op_sel:[0,0,1] op_sel_hi:[1,0,0]
	v_pk_fma_f32 v[68:69], v[68:69], v[10:11], v[82:83] op_sel:[0,0,1] op_sel_hi:[1,1,0] neg_lo:[0,0,1] neg_hi:[0,0,1]
	s_delay_alu instid0(VALU_DEP_2)
	v_mov_b32_e32 v69, v75
	v_pk_fma_f32 v[74:75], v[62:63], v[24:25], v[80:81] op_sel:[0,0,1] op_sel_hi:[1,0,0]
	v_pk_fma_f32 v[80:81], v[62:63], v[24:25], v[80:81] op_sel:[0,0,1] op_sel_hi:[1,1,0] neg_lo:[0,0,1] neg_hi:[0,0,1]
	v_pk_add_f32 v[50:51], v[50:51], v[76:77]
	v_pk_fma_f32 v[76:77], v[70:71], v[6:7], v[78:79] op_sel:[0,0,1] op_sel_hi:[1,0,0]
	v_pk_add_f32 v[72:73], v[72:73], v[68:69]
	v_mov_b32_e32 v81, v75
	v_pk_fma_f32 v[74:75], v[70:71], v[6:7], v[78:79] op_sel:[0,0,1] op_sel_hi:[1,1,0] neg_lo:[0,0,1] neg_hi:[0,0,1]
	ds_load_b128 v[68:71], v55 offset:1040
	v_mov_b32_e32 v75, v77
	s_wait_dscnt 0x1
	v_pk_mul_f32 v[76:77], v[64:65], v[56:57] op_sel:[0,1]
	v_pk_mul_f32 v[78:79], v[60:61], v[2:3] op_sel:[0,1]
	v_pk_add_f32 v[50:51], v[50:51], v[80:81]
	v_pk_add_f32 v[72:73], v[72:73], v[74:75]
	s_delay_alu instid0(VALU_DEP_4) | instskip(NEXT) | instid1(VALU_DEP_4)
	v_pk_fma_f32 v[74:75], v[64:65], v[56:57], v[76:77] op_sel:[0,0,1] op_sel_hi:[1,0,0]
	v_pk_fma_f32 v[80:81], v[60:61], v[2:3], v[78:79] op_sel:[0,0,1] op_sel_hi:[1,1,0] neg_lo:[0,0,1] neg_hi:[0,0,1]
	v_pk_fma_f32 v[60:61], v[60:61], v[2:3], v[78:79] op_sel:[0,0,1] op_sel_hi:[1,0,0]
	v_pk_mul_f32 v[78:79], v[66:67], v[20:21] op_sel:[0,1]
	v_pk_fma_f32 v[56:57], v[64:65], v[56:57], v[76:77] op_sel:[0,0,1] op_sel_hi:[1,1,0] neg_lo:[0,0,1] neg_hi:[0,0,1]
	v_mov_b32_e32 v57, v75
	v_pk_mul_f32 v[74:75], v[62:63], v[26:27] op_sel:[0,1]
	v_mov_b32_e32 v81, v61
	v_pk_fma_f32 v[60:61], v[66:67], v[20:21], v[78:79] op_sel:[0,0,1] op_sel_hi:[1,0,0]
	v_pk_fma_f32 v[20:21], v[66:67], v[20:21], v[78:79] op_sel:[0,0,1] op_sel_hi:[1,1,0] neg_lo:[0,0,1] neg_hi:[0,0,1]
	v_pk_add_f32 v[48:49], v[48:49], v[56:57]
	v_pk_fma_f32 v[76:77], v[62:63], v[26:27], v[74:75] op_sel:[0,0,1] op_sel_hi:[1,1,0] neg_lo:[0,0,1] neg_hi:[0,0,1]
	v_pk_fma_f32 v[74:75], v[62:63], v[26:27], v[74:75] op_sel:[0,0,1] op_sel_hi:[1,0,0]
	v_mov_b32_e32 v21, v61
	ds_load_b128 v[60:63], v55 offset:1056
	s_wait_dscnt 0x1
	v_pk_mul_f32 v[56:57], v[68:69], v[16:17] op_sel:[0,1]
	v_mov_b32_e32 v77, v75
	v_pk_add_f32 v[20:21], v[48:49], v[20:21]
	s_delay_alu instid0(VALU_DEP_3) | instskip(SKIP_2) | instid1(VALU_DEP_3)
	v_pk_fma_f32 v[48:49], v[68:69], v[16:17], v[56:57] op_sel:[0,0,1] op_sel_hi:[1,0,0]
	v_pk_fma_f32 v[16:17], v[68:69], v[16:17], v[56:57] op_sel:[0,0,1] op_sel_hi:[1,1,0] neg_lo:[0,0,1] neg_hi:[0,0,1]
	v_pk_mul_f32 v[56:57], v[64:65], v[58:59] op_sel:[0,1]
	v_mov_b32_e32 v17, v49
	v_pk_mul_f32 v[48:49], v[70:71], v[12:13] op_sel:[0,1]
	s_delay_alu instid0(VALU_DEP_2) | instskip(NEXT) | instid1(VALU_DEP_2)
	v_pk_add_f32 v[16:17], v[20:21], v[16:17]
	v_pk_fma_f32 v[20:21], v[70:71], v[12:13], v[48:49] op_sel:[0,0,1] op_sel_hi:[1,0,0]
	v_pk_fma_f32 v[12:13], v[70:71], v[12:13], v[48:49] op_sel:[0,0,1] op_sel_hi:[1,1,0] neg_lo:[0,0,1] neg_hi:[0,0,1]
	v_pk_add_f32 v[48:49], v[72:73], v[80:81]
	s_delay_alu instid0(VALU_DEP_3) | instskip(SKIP_2) | instid1(VALU_DEP_2)
	v_mov_b32_e32 v13, v21
	s_wait_dscnt 0x0
	v_pk_mul_f32 v[20:21], v[60:61], v[8:9] op_sel:[0,1]
	v_pk_add_f32 v[12:13], v[16:17], v[12:13]
	s_delay_alu instid0(VALU_DEP_2) | instskip(SKIP_2) | instid1(VALU_DEP_3)
	v_pk_fma_f32 v[16:17], v[60:61], v[8:9], v[20:21] op_sel:[0,0,1] op_sel_hi:[1,0,0]
	v_pk_fma_f32 v[8:9], v[60:61], v[8:9], v[20:21] op_sel:[0,0,1] op_sel_hi:[1,1,0] neg_lo:[0,0,1] neg_hi:[0,0,1]
	v_pk_fma_f32 v[20:21], v[64:65], v[58:59], v[56:57] op_sel:[0,0,1] op_sel_hi:[1,1,0] neg_lo:[0,0,1] neg_hi:[0,0,1]
	v_mov_b32_e32 v9, v17
	v_pk_fma_f32 v[16:17], v[64:65], v[58:59], v[56:57] op_sel:[0,0,1] op_sel_hi:[1,0,0]
	ds_load_b128 v[56:59], v55 offset:1072
	s_wait_dscnt 0x0
	s_barrier_signal -1
	v_pk_add_f32 v[8:9], v[12:13], v[8:9]
	v_mov_b32_e32 v21, v17
	v_pk_mul_f32 v[16:17], v[66:67], v[22:23] op_sel:[0,1]
	v_pk_mul_f32 v[12:13], v[62:63], v[4:5] op_sel:[0,1]
	s_barrier_wait -1
	s_delay_alu instid0(VALU_DEP_3) | instskip(NEXT) | instid1(VALU_DEP_3)
	v_pk_add_f32 v[20:21], v[42:43], v[20:21]
	v_pk_fma_f32 v[64:65], v[66:67], v[22:23], v[16:17] op_sel:[0,0,1] op_sel_hi:[1,0,0]
	v_pk_mul_f32 v[42:43], v[68:69], v[18:19] op_sel:[0,1]
	v_pk_fma_f32 v[16:17], v[66:67], v[22:23], v[16:17] op_sel:[0,0,1] op_sel_hi:[1,1,0] neg_lo:[0,0,1] neg_hi:[0,0,1]
	v_pk_fma_f32 v[22:23], v[62:63], v[4:5], v[12:13] op_sel:[0,0,1] op_sel_hi:[1,1,0] neg_lo:[0,0,1] neg_hi:[0,0,1]
	v_pk_fma_f32 v[4:5], v[62:63], v[4:5], v[12:13] op_sel:[0,0,1] op_sel_hi:[1,0,0]
	v_mov_b32_e32 v17, v65
	v_pk_fma_f32 v[64:65], v[68:69], v[18:19], v[42:43] op_sel:[0,0,1] op_sel_hi:[1,0,0]
	v_pk_mul_f32 v[12:13], v[70:71], v[14:15] op_sel:[0,1]
	v_pk_fma_f32 v[18:19], v[68:69], v[18:19], v[42:43] op_sel:[0,0,1] op_sel_hi:[1,1,0] neg_lo:[0,0,1] neg_hi:[0,0,1]
	v_mov_b32_e32 v23, v5
	v_pk_mul_f32 v[42:43], v[60:61], v[10:11] op_sel:[0,1]
	v_mov_b32_e32 v19, v65
	v_pk_add_f32 v[16:17], v[20:21], v[16:17]
	v_pk_fma_f32 v[4:5], v[70:71], v[14:15], v[12:13] op_sel:[0,0,1] op_sel_hi:[1,0,0]
	v_pk_fma_f32 v[12:13], v[70:71], v[14:15], v[12:13] op_sel:[0,0,1] op_sel_hi:[1,1,0] neg_lo:[0,0,1] neg_hi:[0,0,1]
	v_pk_mul_f32 v[20:21], v[56:57], v[0:1] op_sel:[0,1]
	s_delay_alu instid0(VALU_DEP_4) | instskip(NEXT) | instid1(VALU_DEP_4)
	v_pk_add_f32 v[16:17], v[16:17], v[18:19]
	v_mov_b32_e32 v13, v5
	v_pk_add_f32 v[4:5], v[8:9], v[22:23]
	v_pk_fma_f32 v[8:9], v[60:61], v[10:11], v[42:43] op_sel:[0,0,1] op_sel_hi:[1,0,0]
	v_pk_mul_f32 v[18:19], v[62:63], v[6:7] op_sel:[0,1]
	v_pk_fma_f32 v[10:11], v[60:61], v[10:11], v[42:43] op_sel:[0,0,1] op_sel_hi:[1,1,0] neg_lo:[0,0,1] neg_hi:[0,0,1]
	v_pk_fma_f32 v[14:15], v[56:57], v[0:1], v[20:21] op_sel:[0,0,1] op_sel_hi:[1,1,0] neg_lo:[0,0,1] neg_hi:[0,0,1]
	v_pk_add_f32 v[12:13], v[16:17], v[12:13]
	v_mov_b32_e32 v11, v9
	v_pk_fma_f32 v[0:1], v[56:57], v[0:1], v[20:21] op_sel:[0,0,1] op_sel_hi:[1,0,0]
	v_pk_fma_f32 v[8:9], v[62:63], v[6:7], v[18:19] op_sel:[0,0,1] op_sel_hi:[1,0,0]
	v_pk_mul_f32 v[20:21], v[56:57], v[2:3] op_sel:[0,1]
	v_pk_fma_f32 v[6:7], v[62:63], v[6:7], v[18:19] op_sel:[0,0,1] op_sel_hi:[1,1,0] neg_lo:[0,0,1] neg_hi:[0,0,1]
	v_pk_mul_f32 v[16:17], v[58:59], v[24:25] op_sel:[0,1]
	s_delay_alu instid0(VALU_DEP_4)
	v_dual_mov_b32 v15, v1 :: v_dual_mov_b32 v7, v9
	v_pk_add_f32 v[10:11], v[12:13], v[10:11]
	v_pk_fma_f32 v[0:1], v[56:57], v[2:3], v[20:21] op_sel:[0,0,1] op_sel_hi:[1,0,0]
	v_pk_mul_f32 v[12:13], v[58:59], v[26:27] op_sel:[0,1]
	v_pk_fma_f32 v[2:3], v[56:57], v[2:3], v[20:21] op_sel:[0,0,1] op_sel_hi:[1,1,0] neg_lo:[0,0,1] neg_hi:[0,0,1]
	v_pk_fma_f32 v[8:9], v[58:59], v[24:25], v[16:17] op_sel:[0,0,1] op_sel_hi:[1,0,0]
	v_pk_add_f32 v[6:7], v[10:11], v[6:7]
	v_mov_b32_e32 v3, v1
	v_pk_add_f32 v[0:1], v[4:5], v[14:15]
	v_pk_fma_f32 v[4:5], v[58:59], v[26:27], v[12:13] op_sel:[0,0,1] op_sel_hi:[1,0,0]
	v_pk_fma_f32 v[10:11], v[58:59], v[24:25], v[16:17] op_sel:[0,0,1] op_sel_hi:[1,1,0] neg_lo:[0,0,1] neg_hi:[0,0,1]
	v_mov_b32_e32 v11, v9
	v_pk_add_f32 v[2:3], v[6:7], v[2:3]
	v_pk_fma_f32 v[6:7], v[58:59], v[26:27], v[12:13] op_sel:[0,0,1] op_sel_hi:[1,1,0] neg_lo:[0,0,1] neg_hi:[0,0,1]
	v_mov_b32_e32 v7, v5
	v_pk_add_f32 v[24:25], v[48:49], v[76:77]
	v_pk_add_f32 v[48:49], v[0:1], v[10:11]
	s_delay_alu instid0(VALU_DEP_3)
	v_pk_add_f32 v[42:43], v[2:3], v[6:7]
	s_cbranch_vccz .LBB525_13
.LBB525_7:                              ;   Parent Loop BB525_4 Depth=1
                                        ; =>  This Inner Loop Header: Depth=2
	v_add_nc_u64_e32 v[0:1], s[26:27], v[28:29]
	s_delay_alu instid0(VALU_DEP_1) | instskip(SKIP_1) | instid1(SALU_CYCLE_1)
	v_cmp_le_i64_e32 vcc_lo, s[8:9], v[0:1]
	s_or_b32 s37, s36, vcc_lo
	s_and_saveexec_b32 s38, s37
	s_delay_alu instid0(SALU_CYCLE_1)
	s_xor_b32 s37, exec_lo, s38
; %bb.8:                                ;   in Loop: Header=BB525_7 Depth=2
	ds_store_b32 v52, v29
; %bb.9:                                ;   in Loop: Header=BB525_7 Depth=2
	s_or_saveexec_b32 s37, s37
	v_dual_mov_b32 v0, 0 :: v_dual_mov_b32 v2, 0
	s_xor_b32 exec_lo, exec_lo, s37
	s_cbranch_execz .LBB525_11
; %bb.10:                               ;   in Loop: Header=BB525_7 Depth=2
	global_load_b64 v[4:5], v[46:47], off offset:-4
	s_wait_loadcnt 0x0
	v_xor_b32_e32 v2, 0x80000000, v5
	ds_store_b32 v52, v4
.LBB525_11:                             ;   in Loop: Header=BB525_7 Depth=2
	s_wait_xcnt 0x0
	s_or_b32 exec_lo, exec_lo, s37
	v_add_nc_u64_e32 v[4:5], s[26:27], v[30:31]
	v_mov_b32_e32 v1, 0
	ds_store_b32 v52, v2 offset:4
	v_cmp_gt_i64_e32 vcc_lo, s[8:9], v[4:5]
	s_and_b32 s38, vcc_lo, s0
	s_delay_alu instid0(SALU_CYCLE_1)
	s_and_saveexec_b32 s37, s38
	s_cbranch_execz .LBB525_6
; %bb.12:                               ;   in Loop: Header=BB525_7 Depth=2
	global_load_b64 v[0:1], v[44:45], off
	s_branch .LBB525_6
.LBB525_13:                             ;   in Loop: Header=BB525_4 Depth=1
	s_mul_u64 s[26:27], s[30:31], s[34:35]
	s_and_not1_b32 vcc_lo, exec_lo, s42
	s_lshl_b64 s[26:27], s[26:27], 3
	s_mov_b32 s37, -1
	s_add_nc_u64 s[26:27], s[18:19], s[26:27]
	s_cbranch_vccz .LBB525_15
; %bb.14:                               ;   in Loop: Header=BB525_4 Depth=1
	s_and_not1_b32 vcc_lo, exec_lo, s37
	s_cbranch_vccnz .LBB525_3
	s_branch .LBB525_26
.LBB525_15:                             ;   in Loop: Header=BB525_4 Depth=1
	s_and_saveexec_b32 s37, s1
	s_cbranch_execz .LBB525_25
; %bb.16:                               ;   in Loop: Header=BB525_4 Depth=1
	v_lshl_add_u64 v[0:1], v[34:35], 3, s[26:27]
	s_delay_alu instid0(VALU_DEP_1)
	v_lshl_add_u64 v[2:3], v[32:33], 3, v[0:1]
	s_and_saveexec_b32 s38, s2
	s_cbranch_execnz .LBB525_19
; %bb.17:                               ;   in Loop: Header=BB525_4 Depth=1
	s_or_b32 exec_lo, exec_lo, s38
	s_and_saveexec_b32 s38, s3
	s_cbranch_execnz .LBB525_20
.LBB525_18:                             ;   in Loop: Header=BB525_4 Depth=1
	s_or_b32 exec_lo, exec_lo, s38
	s_delay_alu instid0(SALU_CYCLE_1)
	s_and_b32 exec_lo, exec_lo, s4
	s_cbranch_execnz .LBB525_21
	s_branch .LBB525_25
.LBB525_19:                             ;   in Loop: Header=BB525_4 Depth=1
	v_mov_b64_e32 v[4:5], s[22:23]
	v_mov_b64_e32 v[6:7], s[10:11]
	s_delay_alu instid0(VALU_DEP_2) | instskip(NEXT) | instid1(VALU_DEP_1)
	v_pk_mul_f32 v[4:5], v[50:51], v[4:5] op_sel:[1,0] op_sel_hi:[0,1]
	v_pk_fma_f32 v[8:9], v[50:51], v[6:7], v[4:5]
	v_pk_fma_f32 v[4:5], v[50:51], v[6:7], v[4:5] neg_lo:[0,0,1] neg_hi:[0,0,1]
	s_delay_alu instid0(VALU_DEP_2)
	v_mov_b32_e32 v5, v9
	global_store_b64 v[2:3], v[4:5], off
	s_wait_xcnt 0x0
	s_or_b32 exec_lo, exec_lo, s38
	s_and_saveexec_b32 s38, s3
	s_cbranch_execz .LBB525_18
.LBB525_20:                             ;   in Loop: Header=BB525_4 Depth=1
	v_mov_b64_e32 v[4:5], s[22:23]
	v_mov_b64_e32 v[6:7], s[10:11]
	s_delay_alu instid0(VALU_DEP_2) | instskip(NEXT) | instid1(VALU_DEP_1)
	v_pk_mul_f32 v[4:5], v[24:25], v[4:5] op_sel:[1,0] op_sel_hi:[0,1]
	v_pk_fma_f32 v[8:9], v[24:25], v[6:7], v[4:5]
	v_pk_fma_f32 v[4:5], v[24:25], v[6:7], v[4:5] neg_lo:[0,0,1] neg_hi:[0,0,1]
	s_delay_alu instid0(VALU_DEP_2) | instskip(SKIP_3) | instid1(SALU_CYCLE_1)
	v_mov_b32_e32 v5, v9
	global_store_b64 v[2:3], v[4:5], off offset:128
	s_wait_xcnt 0x0
	s_or_b32 exec_lo, exec_lo, s38
	s_and_b32 exec_lo, exec_lo, s4
	s_cbranch_execz .LBB525_25
.LBB525_21:                             ;   in Loop: Header=BB525_4 Depth=1
	v_lshl_add_u64 v[0:1], s[6:7], 3, v[0:1]
	s_delay_alu instid0(VALU_DEP_1)
	v_lshl_add_u64 v[0:1], v[32:33], 3, v[0:1]
	s_and_saveexec_b32 s38, s2
	s_cbranch_execz .LBB525_23
; %bb.22:                               ;   in Loop: Header=BB525_4 Depth=1
	v_mov_b64_e32 v[2:3], s[22:23]
	v_mov_b64_e32 v[4:5], s[10:11]
	s_delay_alu instid0(VALU_DEP_2) | instskip(NEXT) | instid1(VALU_DEP_1)
	v_pk_mul_f32 v[2:3], v[48:49], v[2:3] op_sel:[1,0] op_sel_hi:[0,1]
	v_pk_fma_f32 v[6:7], v[48:49], v[4:5], v[2:3]
	v_pk_fma_f32 v[2:3], v[48:49], v[4:5], v[2:3] neg_lo:[0,0,1] neg_hi:[0,0,1]
	s_delay_alu instid0(VALU_DEP_2)
	v_mov_b32_e32 v3, v7
	global_store_b64 v[0:1], v[2:3], off
.LBB525_23:                             ;   in Loop: Header=BB525_4 Depth=1
	s_wait_xcnt 0x0
	s_or_b32 exec_lo, exec_lo, s38
	s_delay_alu instid0(SALU_CYCLE_1)
	s_and_b32 exec_lo, exec_lo, s3
	s_cbranch_execz .LBB525_25
; %bb.24:                               ;   in Loop: Header=BB525_4 Depth=1
	v_mov_b64_e32 v[2:3], s[22:23]
	v_mov_b64_e32 v[4:5], s[10:11]
	s_delay_alu instid0(VALU_DEP_2) | instskip(NEXT) | instid1(VALU_DEP_1)
	v_pk_mul_f32 v[2:3], v[42:43], v[2:3] op_sel:[1,0] op_sel_hi:[0,1]
	v_pk_fma_f32 v[6:7], v[42:43], v[4:5], v[2:3]
	v_pk_fma_f32 v[2:3], v[42:43], v[4:5], v[2:3] neg_lo:[0,0,1] neg_hi:[0,0,1]
	s_delay_alu instid0(VALU_DEP_2)
	v_mov_b32_e32 v3, v7
	global_store_b64 v[0:1], v[2:3], off offset:128
.LBB525_25:                             ;   in Loop: Header=BB525_4 Depth=1
	s_wait_xcnt 0x0
	s_or_b32 exec_lo, exec_lo, s37
	s_cbranch_execnz .LBB525_3
.LBB525_26:                             ;   in Loop: Header=BB525_4 Depth=1
	s_and_saveexec_b32 s37, s1
	s_cbranch_execz .LBB525_2
; %bb.27:                               ;   in Loop: Header=BB525_4 Depth=1
	s_mul_u64 s[38:39], s[16:17], s[34:35]
	v_lshlrev_b64_e32 v[0:1], 3, v[32:33]
	v_lshl_add_u64 v[2:3], s[38:39], 3, v[36:37]
	v_lshl_add_u64 v[4:5], v[34:35], 3, s[26:27]
	s_delay_alu instid0(VALU_DEP_2) | instskip(NEXT) | instid1(VALU_DEP_2)
	v_add_nc_u64_e32 v[8:9], v[2:3], v[0:1]
	v_add_nc_u64_e32 v[6:7], v[4:5], v[0:1]
	s_and_saveexec_b32 s26, s2
	s_cbranch_execnz .LBB525_30
; %bb.28:                               ;   in Loop: Header=BB525_4 Depth=1
	s_or_b32 exec_lo, exec_lo, s26
	s_and_saveexec_b32 s26, s3
	s_cbranch_execnz .LBB525_31
.LBB525_29:                             ;   in Loop: Header=BB525_4 Depth=1
	s_or_b32 exec_lo, exec_lo, s26
	s_delay_alu instid0(SALU_CYCLE_1)
	s_and_b32 exec_lo, exec_lo, s4
	s_cbranch_execz .LBB525_2
	s_branch .LBB525_32
.LBB525_30:                             ;   in Loop: Header=BB525_4 Depth=1
	global_load_b64 v[10:11], v[8:9], off
	v_mov_b64_e32 v[12:13], s[22:23]
	v_mov_b64_e32 v[14:15], s[28:29]
	;; [unrolled: 1-line block ×4, first 2 shown]
	s_delay_alu instid0(VALU_DEP_4) | instskip(NEXT) | instid1(VALU_DEP_1)
	v_pk_mul_f32 v[12:13], v[50:51], v[12:13] op_sel:[1,0] op_sel_hi:[0,1]
	v_pk_fma_f32 v[20:21], v[50:51], v[16:17], v[12:13]
	v_pk_fma_f32 v[12:13], v[50:51], v[16:17], v[12:13] neg_lo:[0,0,1] neg_hi:[0,0,1]
	s_wait_loadcnt 0x0
	v_pk_mul_f32 v[14:15], v[10:11], v[14:15] op_sel:[1,0] op_sel_hi:[0,1]
	s_delay_alu instid0(VALU_DEP_1) | instskip(SKIP_1) | instid1(VALU_DEP_2)
	v_pk_fma_f32 v[22:23], v[10:11], v[18:19], v[14:15]
	v_pk_fma_f32 v[10:11], v[10:11], v[18:19], v[14:15] neg_lo:[0,0,1] neg_hi:[0,0,1]
	v_dual_mov_b32 v13, v21 :: v_dual_mov_b32 v11, v23
	s_delay_alu instid0(VALU_DEP_1)
	v_pk_add_f32 v[10:11], v[12:13], v[10:11]
	global_store_b64 v[6:7], v[10:11], off
	s_wait_xcnt 0x0
	s_or_b32 exec_lo, exec_lo, s26
	s_and_saveexec_b32 s26, s3
	s_cbranch_execz .LBB525_29
.LBB525_31:                             ;   in Loop: Header=BB525_4 Depth=1
	global_load_b64 v[8:9], v[8:9], off offset:128
	v_mov_b64_e32 v[10:11], s[22:23]
	v_mov_b64_e32 v[12:13], s[28:29]
	;; [unrolled: 1-line block ×4, first 2 shown]
	s_delay_alu instid0(VALU_DEP_4) | instskip(NEXT) | instid1(VALU_DEP_1)
	v_pk_mul_f32 v[10:11], v[24:25], v[10:11] op_sel:[1,0] op_sel_hi:[0,1]
	v_pk_fma_f32 v[18:19], v[24:25], v[14:15], v[10:11]
	v_pk_fma_f32 v[10:11], v[24:25], v[14:15], v[10:11] neg_lo:[0,0,1] neg_hi:[0,0,1]
	s_wait_loadcnt 0x0
	v_pk_mul_f32 v[12:13], v[8:9], v[12:13] op_sel:[1,0] op_sel_hi:[0,1]
	s_delay_alu instid0(VALU_DEP_1) | instskip(SKIP_2) | instid1(VALU_DEP_2)
	v_pk_fma_f32 v[20:21], v[8:9], v[16:17], v[12:13]
	s_wait_xcnt 0x0
	v_pk_fma_f32 v[8:9], v[8:9], v[16:17], v[12:13] neg_lo:[0,0,1] neg_hi:[0,0,1]
	v_dual_mov_b32 v11, v19 :: v_dual_mov_b32 v9, v21
	s_delay_alu instid0(VALU_DEP_1) | instskip(SKIP_3) | instid1(SALU_CYCLE_1)
	v_pk_add_f32 v[8:9], v[10:11], v[8:9]
	global_store_b64 v[6:7], v[8:9], off offset:128
	s_wait_xcnt 0x0
	s_or_b32 exec_lo, exec_lo, s26
	s_and_b32 exec_lo, exec_lo, s4
	s_cbranch_execz .LBB525_2
.LBB525_32:                             ;   in Loop: Header=BB525_4 Depth=1
	v_lshl_add_u64 v[2:3], s[14:15], 3, v[2:3]
	v_lshl_add_u64 v[4:5], s[6:7], 3, v[4:5]
	s_delay_alu instid0(VALU_DEP_2) | instskip(NEXT) | instid1(VALU_DEP_2)
	v_add_nc_u64_e32 v[2:3], v[2:3], v[0:1]
	v_add_nc_u64_e32 v[0:1], v[4:5], v[0:1]
	s_and_saveexec_b32 s26, s2
	s_cbranch_execz .LBB525_34
; %bb.33:                               ;   in Loop: Header=BB525_4 Depth=1
	global_load_b64 v[4:5], v[2:3], off
	v_mov_b64_e32 v[6:7], s[22:23]
	v_mov_b64_e32 v[8:9], s[28:29]
	;; [unrolled: 1-line block ×4, first 2 shown]
	s_delay_alu instid0(VALU_DEP_4) | instskip(NEXT) | instid1(VALU_DEP_1)
	v_pk_mul_f32 v[6:7], v[48:49], v[6:7] op_sel:[1,0] op_sel_hi:[0,1]
	v_pk_fma_f32 v[14:15], v[48:49], v[10:11], v[6:7]
	v_pk_fma_f32 v[6:7], v[48:49], v[10:11], v[6:7] neg_lo:[0,0,1] neg_hi:[0,0,1]
	s_wait_loadcnt 0x0
	v_pk_mul_f32 v[8:9], v[4:5], v[8:9] op_sel:[1,0] op_sel_hi:[0,1]
	s_delay_alu instid0(VALU_DEP_1) | instskip(SKIP_1) | instid1(VALU_DEP_2)
	v_pk_fma_f32 v[16:17], v[4:5], v[12:13], v[8:9]
	v_pk_fma_f32 v[4:5], v[4:5], v[12:13], v[8:9] neg_lo:[0,0,1] neg_hi:[0,0,1]
	v_dual_mov_b32 v7, v15 :: v_dual_mov_b32 v5, v17
	s_delay_alu instid0(VALU_DEP_1)
	v_pk_add_f32 v[4:5], v[6:7], v[4:5]
	global_store_b64 v[0:1], v[4:5], off
.LBB525_34:                             ;   in Loop: Header=BB525_4 Depth=1
	s_wait_xcnt 0x0
	s_or_b32 exec_lo, exec_lo, s26
	s_delay_alu instid0(SALU_CYCLE_1)
	s_and_b32 exec_lo, exec_lo, s3
	s_cbranch_execz .LBB525_2
; %bb.35:                               ;   in Loop: Header=BB525_4 Depth=1
	global_load_b64 v[2:3], v[2:3], off offset:128
	v_mov_b64_e32 v[4:5], s[22:23]
	v_mov_b64_e32 v[6:7], s[28:29]
	;; [unrolled: 1-line block ×4, first 2 shown]
	s_delay_alu instid0(VALU_DEP_4) | instskip(NEXT) | instid1(VALU_DEP_1)
	v_pk_mul_f32 v[4:5], v[42:43], v[4:5] op_sel:[1,0] op_sel_hi:[0,1]
	v_pk_fma_f32 v[12:13], v[42:43], v[8:9], v[4:5]
	v_pk_fma_f32 v[4:5], v[42:43], v[8:9], v[4:5] neg_lo:[0,0,1] neg_hi:[0,0,1]
	s_wait_loadcnt 0x0
	v_pk_mul_f32 v[6:7], v[2:3], v[6:7] op_sel:[1,0] op_sel_hi:[0,1]
	s_delay_alu instid0(VALU_DEP_1) | instskip(SKIP_2) | instid1(VALU_DEP_2)
	v_pk_fma_f32 v[14:15], v[2:3], v[10:11], v[6:7]
	s_wait_xcnt 0x0
	v_pk_fma_f32 v[2:3], v[2:3], v[10:11], v[6:7] neg_lo:[0,0,1] neg_hi:[0,0,1]
	v_dual_mov_b32 v5, v13 :: v_dual_mov_b32 v3, v15
	s_delay_alu instid0(VALU_DEP_1)
	v_pk_add_f32 v[2:3], v[4:5], v[2:3]
	global_store_b64 v[0:1], v[2:3], off offset:128
	s_branch .LBB525_2
.LBB525_36:
	s_sendmsg sendmsg(MSG_DEALLOC_VGPRS)
	s_endpgm
	.section	.rodata,"a",@progbits
	.p2align	6, 0x0
	.amdhsa_kernel _ZN12_GLOBAL__N_135rocblas_gemm_batched_general_kernelI19rocblas_complex_numIfELi16ELi16ELi32ELi32ELi8ELi32ELi8ELi8ELi32ELc67ELc84EKS2_S3_S2_EEvlllT_PT11_llS6_llS4_PT12_llPT13_lli
		.amdhsa_group_segment_fixed_size 4096
		.amdhsa_private_segment_fixed_size 0
		.amdhsa_kernarg_size 140
		.amdhsa_user_sgpr_count 2
		.amdhsa_user_sgpr_dispatch_ptr 0
		.amdhsa_user_sgpr_queue_ptr 0
		.amdhsa_user_sgpr_kernarg_segment_ptr 1
		.amdhsa_user_sgpr_dispatch_id 0
		.amdhsa_user_sgpr_kernarg_preload_length 0
		.amdhsa_user_sgpr_kernarg_preload_offset 0
		.amdhsa_user_sgpr_private_segment_size 0
		.amdhsa_wavefront_size32 1
		.amdhsa_uses_dynamic_stack 0
		.amdhsa_enable_private_segment 0
		.amdhsa_system_sgpr_workgroup_id_x 1
		.amdhsa_system_sgpr_workgroup_id_y 1
		.amdhsa_system_sgpr_workgroup_id_z 1
		.amdhsa_system_sgpr_workgroup_info 0
		.amdhsa_system_vgpr_workitem_id 1
		.amdhsa_next_free_vgpr 84
		.amdhsa_next_free_sgpr 44
		.amdhsa_named_barrier_count 0
		.amdhsa_reserve_vcc 1
		.amdhsa_float_round_mode_32 0
		.amdhsa_float_round_mode_16_64 0
		.amdhsa_float_denorm_mode_32 3
		.amdhsa_float_denorm_mode_16_64 3
		.amdhsa_fp16_overflow 0
		.amdhsa_memory_ordered 1
		.amdhsa_forward_progress 1
		.amdhsa_inst_pref_size 27
		.amdhsa_round_robin_scheduling 0
		.amdhsa_exception_fp_ieee_invalid_op 0
		.amdhsa_exception_fp_denorm_src 0
		.amdhsa_exception_fp_ieee_div_zero 0
		.amdhsa_exception_fp_ieee_overflow 0
		.amdhsa_exception_fp_ieee_underflow 0
		.amdhsa_exception_fp_ieee_inexact 0
		.amdhsa_exception_int_div_zero 0
	.end_amdhsa_kernel
	.section	.text._ZN12_GLOBAL__N_135rocblas_gemm_batched_general_kernelI19rocblas_complex_numIfELi16ELi16ELi32ELi32ELi8ELi32ELi8ELi8ELi32ELc67ELc84EKS2_S3_S2_EEvlllT_PT11_llS6_llS4_PT12_llPT13_lli,"axG",@progbits,_ZN12_GLOBAL__N_135rocblas_gemm_batched_general_kernelI19rocblas_complex_numIfELi16ELi16ELi32ELi32ELi8ELi32ELi8ELi8ELi32ELc67ELc84EKS2_S3_S2_EEvlllT_PT11_llS6_llS4_PT12_llPT13_lli,comdat
.Lfunc_end525:
	.size	_ZN12_GLOBAL__N_135rocblas_gemm_batched_general_kernelI19rocblas_complex_numIfELi16ELi16ELi32ELi32ELi8ELi32ELi8ELi8ELi32ELc67ELc84EKS2_S3_S2_EEvlllT_PT11_llS6_llS4_PT12_llPT13_lli, .Lfunc_end525-_ZN12_GLOBAL__N_135rocblas_gemm_batched_general_kernelI19rocblas_complex_numIfELi16ELi16ELi32ELi32ELi8ELi32ELi8ELi8ELi32ELc67ELc84EKS2_S3_S2_EEvlllT_PT11_llS6_llS4_PT12_llPT13_lli
                                        ; -- End function
	.set _ZN12_GLOBAL__N_135rocblas_gemm_batched_general_kernelI19rocblas_complex_numIfELi16ELi16ELi32ELi32ELi8ELi32ELi8ELi8ELi32ELc67ELc84EKS2_S3_S2_EEvlllT_PT11_llS6_llS4_PT12_llPT13_lli.num_vgpr, 84
	.set _ZN12_GLOBAL__N_135rocblas_gemm_batched_general_kernelI19rocblas_complex_numIfELi16ELi16ELi32ELi32ELi8ELi32ELi8ELi8ELi32ELc67ELc84EKS2_S3_S2_EEvlllT_PT11_llS6_llS4_PT12_llPT13_lli.num_agpr, 0
	.set _ZN12_GLOBAL__N_135rocblas_gemm_batched_general_kernelI19rocblas_complex_numIfELi16ELi16ELi32ELi32ELi8ELi32ELi8ELi8ELi32ELc67ELc84EKS2_S3_S2_EEvlllT_PT11_llS6_llS4_PT12_llPT13_lli.numbered_sgpr, 44
	.set _ZN12_GLOBAL__N_135rocblas_gemm_batched_general_kernelI19rocblas_complex_numIfELi16ELi16ELi32ELi32ELi8ELi32ELi8ELi8ELi32ELc67ELc84EKS2_S3_S2_EEvlllT_PT11_llS6_llS4_PT12_llPT13_lli.num_named_barrier, 0
	.set _ZN12_GLOBAL__N_135rocblas_gemm_batched_general_kernelI19rocblas_complex_numIfELi16ELi16ELi32ELi32ELi8ELi32ELi8ELi8ELi32ELc67ELc84EKS2_S3_S2_EEvlllT_PT11_llS6_llS4_PT12_llPT13_lli.private_seg_size, 0
	.set _ZN12_GLOBAL__N_135rocblas_gemm_batched_general_kernelI19rocblas_complex_numIfELi16ELi16ELi32ELi32ELi8ELi32ELi8ELi8ELi32ELc67ELc84EKS2_S3_S2_EEvlllT_PT11_llS6_llS4_PT12_llPT13_lli.uses_vcc, 1
	.set _ZN12_GLOBAL__N_135rocblas_gemm_batched_general_kernelI19rocblas_complex_numIfELi16ELi16ELi32ELi32ELi8ELi32ELi8ELi8ELi32ELc67ELc84EKS2_S3_S2_EEvlllT_PT11_llS6_llS4_PT12_llPT13_lli.uses_flat_scratch, 0
	.set _ZN12_GLOBAL__N_135rocblas_gemm_batched_general_kernelI19rocblas_complex_numIfELi16ELi16ELi32ELi32ELi8ELi32ELi8ELi8ELi32ELc67ELc84EKS2_S3_S2_EEvlllT_PT11_llS6_llS4_PT12_llPT13_lli.has_dyn_sized_stack, 0
	.set _ZN12_GLOBAL__N_135rocblas_gemm_batched_general_kernelI19rocblas_complex_numIfELi16ELi16ELi32ELi32ELi8ELi32ELi8ELi8ELi32ELc67ELc84EKS2_S3_S2_EEvlllT_PT11_llS6_llS4_PT12_llPT13_lli.has_recursion, 0
	.set _ZN12_GLOBAL__N_135rocblas_gemm_batched_general_kernelI19rocblas_complex_numIfELi16ELi16ELi32ELi32ELi8ELi32ELi8ELi8ELi32ELc67ELc84EKS2_S3_S2_EEvlllT_PT11_llS6_llS4_PT12_llPT13_lli.has_indirect_call, 0
	.section	.AMDGPU.csdata,"",@progbits
; Kernel info:
; codeLenInByte = 3444
; TotalNumSgprs: 46
; NumVgprs: 84
; ScratchSize: 0
; MemoryBound: 0
; FloatMode: 240
; IeeeMode: 1
; LDSByteSize: 4096 bytes/workgroup (compile time only)
; SGPRBlocks: 0
; VGPRBlocks: 5
; NumSGPRsForWavesPerEU: 46
; NumVGPRsForWavesPerEU: 84
; NamedBarCnt: 0
; Occupancy: 10
; WaveLimiterHint : 0
; COMPUTE_PGM_RSRC2:SCRATCH_EN: 0
; COMPUTE_PGM_RSRC2:USER_SGPR: 2
; COMPUTE_PGM_RSRC2:TRAP_HANDLER: 0
; COMPUTE_PGM_RSRC2:TGID_X_EN: 1
; COMPUTE_PGM_RSRC2:TGID_Y_EN: 1
; COMPUTE_PGM_RSRC2:TGID_Z_EN: 1
; COMPUTE_PGM_RSRC2:TIDIG_COMP_CNT: 1
	.section	.text._ZN12_GLOBAL__N_135rocblas_gemm_batched_general_kernelI19rocblas_complex_numIfELi16ELi16ELi32ELi32ELi8ELi32ELi8ELi8ELi32ELc78ELc67EKS2_S3_S2_EEvlllT_PT11_llS6_llS4_PT12_llPT13_lli,"axG",@progbits,_ZN12_GLOBAL__N_135rocblas_gemm_batched_general_kernelI19rocblas_complex_numIfELi16ELi16ELi32ELi32ELi8ELi32ELi8ELi8ELi32ELc78ELc67EKS2_S3_S2_EEvlllT_PT11_llS6_llS4_PT12_llPT13_lli,comdat
	.globl	_ZN12_GLOBAL__N_135rocblas_gemm_batched_general_kernelI19rocblas_complex_numIfELi16ELi16ELi32ELi32ELi8ELi32ELi8ELi8ELi32ELc78ELc67EKS2_S3_S2_EEvlllT_PT11_llS6_llS4_PT12_llPT13_lli ; -- Begin function _ZN12_GLOBAL__N_135rocblas_gemm_batched_general_kernelI19rocblas_complex_numIfELi16ELi16ELi32ELi32ELi8ELi32ELi8ELi8ELi32ELc78ELc67EKS2_S3_S2_EEvlllT_PT11_llS6_llS4_PT12_llPT13_lli
	.p2align	8
	.type	_ZN12_GLOBAL__N_135rocblas_gemm_batched_general_kernelI19rocblas_complex_numIfELi16ELi16ELi32ELi32ELi8ELi32ELi8ELi8ELi32ELc78ELc67EKS2_S3_S2_EEvlllT_PT11_llS6_llS4_PT12_llPT13_lli,@function
_ZN12_GLOBAL__N_135rocblas_gemm_batched_general_kernelI19rocblas_complex_numIfELi16ELi16ELi32ELi32ELi8ELi32ELi8ELi8ELi32ELc78ELc67EKS2_S3_S2_EEvlllT_PT11_llS6_llS4_PT12_llPT13_lli: ; @_ZN12_GLOBAL__N_135rocblas_gemm_batched_general_kernelI19rocblas_complex_numIfELi16ELi16ELi32ELi32ELi8ELi32ELi8ELi8ELi32ELc78ELc67EKS2_S3_S2_EEvlllT_PT11_llS6_llS4_PT12_llPT13_lli
; %bb.0:
	s_load_b32 s33, s[0:1], 0x88
	s_bfe_u32 s2, ttmp6, 0x40014
	s_lshr_b32 s3, ttmp7, 16
	s_add_co_i32 s2, s2, 1
	s_bfe_u32 s5, ttmp6, 0x40008
	s_mul_i32 s4, s3, s2
	s_getreg_b32 s2, hwreg(HW_REG_IB_STS2, 6, 4)
	s_add_co_i32 s5, s5, s4
	s_cmp_eq_u32 s2, 0
	s_mov_b32 s35, 0
	s_cselect_b32 s34, s3, s5
	s_wait_kmcnt 0x0
	s_cmp_ge_i32 s34, s33
	s_cbranch_scc1 .LBB526_36
; %bb.1:
	s_clause 0x4
	s_load_b256 s[20:27], s[0:1], 0x20
	s_load_b128 s[28:31], s[0:1], 0x78
	s_load_b256 s[12:19], s[0:1], 0x58
	s_load_b128 s[36:39], s[0:1], 0x40
	s_load_b64 s[40:41], s[0:1], 0x50
	v_bfe_u32 v2, v0, 10, 10
	v_and_b32_e32 v4, 0x3ff, v0
	s_load_b256 s[4:11], s[0:1], 0x0
	s_wait_xcnt 0x0
	s_bfe_u32 s0, ttmp6, 0x4000c
	s_bfe_u32 s3, ttmp6, 0x40010
	s_add_co_i32 s0, s0, 1
	v_lshl_add_u32 v13, v2, 4, v4
	v_mov_b32_e32 v29, 0
	s_and_b32 s42, ttmp7, 0xffff
	s_add_co_i32 s3, s3, 1
	s_and_b32 s1, ttmp6, 15
	v_and_b32_e32 v12, 31, v13
	v_dual_mov_b32 v31, v29 :: v_dual_bitop2_b32 v30, 7, v0 bitop3:0x40
	s_mul_i32 s0, ttmp9, s0
	s_mul_i32 s3, s42, s3
	s_bfe_u32 s43, ttmp6, 0x40004
	s_add_co_i32 s1, s1, s0
	s_wait_kmcnt 0x0
	v_mul_u64_e32 v[0:1], s[36:37], v[30:31]
	s_add_co_i32 s43, s43, s3
	v_dual_lshrrev_b32 v28, 5, v13 :: v_dual_lshrrev_b32 v6, 3, v13
	s_cmp_eq_u32 s2, 0
	v_dual_mov_b32 v3, v29 :: v_dual_mov_b32 v5, v29
	s_cselect_b32 s46, ttmp9, s1
	s_cselect_b32 s42, s42, s43
	s_ashr_i32 s47, s46, 31
	v_mul_u64_e32 v[14:15], s[22:23], v[28:29]
	s_lshl_b64 s[2:3], s[46:47], 5
	s_delay_alu instid0(SALU_CYCLE_1)
	v_dual_mov_b32 v7, v29 :: v_dual_bitop2_b32 v8, s2, v12 bitop3:0x54
	v_dual_mov_b32 v9, s3 :: v_dual_lshlrev_b32 v16, 3, v30
	s_lshl_b32 s0, s42, 5
	s_mov_b32 s1, s35
	v_add_nc_u64_e32 v[32:33], s[2:3], v[4:5]
	v_add_nc_u64_e32 v[10:11], s[0:1], v[6:7]
	v_lshl_or_b32 v16, v6, 6, v16
	v_add_nc_u64_e32 v[6:7], s[0:1], v[2:3]
	v_cmp_gt_i64_e64 s0, s[4:5], v[8:9]
	s_or_b32 s1, s40, s41
	s_mov_b32 s43, s35
	s_bitset0_b32 s1, 31
	v_lshlrev_b32_e32 v54, 3, v4
	s_cmp_eq_u32 s1, 0
	v_mul_u64_e32 v[8:9], s[14:15], v[6:7]
	v_mul_u64_e32 v[34:35], s[28:29], v[6:7]
	s_cselect_b32 s44, -1, 0
	s_lshl_b32 s42, s42, 8
	v_lshl_add_u32 v55, v2, 6, 0x800
	v_add_nc_u64_e32 v[2:3], 16, v[32:33]
	v_lshl_add_u64 v[0:1], v[0:1], 3, s[42:43]
	v_and_b32_e32 v4, 0x1ff8, v13
	s_lshl_b64 s[46:47], s[46:47], 8
	v_dual_mov_b32 v13, v29 :: v_dual_lshlrev_b32 v12, 3, v12
	v_cmp_gt_i64_e64 s1, s[6:7], v[6:7]
	s_delay_alu instid0(VALU_DEP_3)
	v_add_nc_u64_e32 v[0:1], v[0:1], v[4:5]
	v_cmp_gt_i64_e64 s3, s[4:5], v[2:3]
	v_lshl_add_u64 v[2:3], v[14:15], 3, s[46:47]
	v_add_nc_u64_e32 v[6:7], 16, v[6:7]
	v_cmp_gt_i64_e32 vcc_lo, s[6:7], v[10:11]
	v_cmp_gt_i64_e64 s2, s[4:5], v[32:33]
	v_cmp_gt_i64_e64 s5, s[8:9], 0
	v_add_nc_u64_e32 v[0:1], s[26:27], v[0:1]
	v_add_nc_u64_e32 v[2:3], v[2:3], v[12:13]
	v_lshl_or_b32 v52, v28, 8, v12
	v_cmp_gt_i64_e64 s4, s[6:7], v[6:7]
	v_add_nc_u32_e32 v53, 0x800, v16
	s_mov_b32 s42, s11
	s_mov_b32 s43, s11
	v_add_nc_u64_e32 v[38:39], 4, v[0:1]
	v_add_nc_u64_e32 v[40:41], s[20:21], v[2:3]
	s_mov_b32 s11, s10
	s_lshl_b64 s[6:7], s[28:29], 4
	s_mov_b32 s26, s41
	s_mov_b32 s27, s41
	v_lshl_add_u64 v[36:37], v[8:9], 3, s[12:13]
	s_mov_b32 s41, s40
	s_lshl_b64 s[14:15], s[14:15], 4
	s_lshl_b64 s[12:13], s[38:39], 3
	;; [unrolled: 1-line block ×5, first 2 shown]
	s_xor_b32 s36, vcc_lo, -1
	s_branch .LBB526_4
.LBB526_2:                              ;   in Loop: Header=BB526_4 Depth=1
	s_wait_xcnt 0x0
	s_or_b32 exec_lo, exec_lo, s37
.LBB526_3:                              ;   in Loop: Header=BB526_4 Depth=1
	s_add_co_i32 s34, s34, 0x10000
	s_delay_alu instid0(SALU_CYCLE_1)
	s_cmp_lt_i32 s34, s33
	s_cbranch_scc0 .LBB526_36
.LBB526_4:                              ; =>This Loop Header: Depth=1
                                        ;     Child Loop BB526_7 Depth 2
	v_dual_mov_b32 v51, 0 :: v_dual_mov_b32 v50, 0
	v_dual_mov_b32 v25, 0 :: v_dual_mov_b32 v24, 0
	;; [unrolled: 1-line block ×4, first 2 shown]
	s_and_not1_b32 vcc_lo, exec_lo, s5
	s_cbranch_vccnz .LBB526_13
; %bb.5:                                ;   in Loop: Header=BB526_4 Depth=1
	v_mad_nc_u64_u32 v[44:45], s12, s34, v[38:39]
	v_mad_nc_u64_u32 v[46:47], s20, s34, v[40:41]
	v_mov_b32_e32 v42, 0
	s_mov_b64 s[24:25], 0
	s_delay_alu instid0(VALU_DEP_1)
	v_dual_mov_b32 v43, v42 :: v_dual_mov_b32 v48, v42
	v_dual_mov_b32 v49, v42 :: v_dual_mov_b32 v24, v42
	v_mad_u32 v45, s13, s34, v45
	v_mad_u32 v47, s21, s34, v47
	v_dual_mov_b32 v25, v42 :: v_dual_mov_b32 v50, v42
	v_mov_b32_e32 v51, v42
	s_branch .LBB526_7
.LBB526_6:                              ;   in Loop: Header=BB526_7 Depth=2
	s_wait_xcnt 0x0
	s_or_b32 exec_lo, exec_lo, s37
	ds_store_b32 v53, v0 offset:4
	s_wait_dscnt 0x0
	s_barrier_signal -1
	s_barrier_wait -1
	ds_load_2addr_b64 v[56:59], v54 offset1:16
	ds_load_b128 v[60:63], v55
	ds_load_2addr_b64 v[20:23], v54 offset0:32 offset1:48
	ds_load_2addr_b64 v[16:19], v54 offset0:64 offset1:80
	ds_load_b128 v[64:67], v55 offset:16
	ds_load_2addr_b64 v[12:15], v54 offset0:96 offset1:112
	ds_load_2addr_b64 v[8:11], v54 offset0:128 offset1:144
	ds_load_b128 v[68:71], v55 offset:32
	ds_load_2addr_b64 v[4:7], v54 offset0:160 offset1:176
	ds_load_2addr_b64 v[0:3], v54 offset0:192 offset1:208
	s_add_nc_u64 s[24:25], s[24:25], 8
	v_add_nc_u64_e32 v[44:45], s[28:29], v[44:45]
	v_cmp_lt_i64_e64 s37, s[24:25], s[8:9]
	v_add_nc_u64_e32 v[46:47], s[22:23], v[46:47]
	s_and_b32 vcc_lo, exec_lo, s37
	s_wait_dscnt 0x8
	v_pk_mul_f32 v[26:27], v[60:61], v[56:57] op_sel:[0,1]
	s_wait_dscnt 0x7
	v_pk_mul_f32 v[72:73], v[62:63], v[20:21] op_sel:[0,1]
	;; [unrolled: 2-line block ×4, first 2 shown]
	v_pk_fma_f32 v[78:79], v[60:61], v[56:57], v[26:27] op_sel:[0,0,1] op_sel_hi:[1,0,0]
	v_pk_fma_f32 v[82:83], v[62:63], v[20:21], v[72:73] op_sel:[0,0,1] op_sel_hi:[1,0,0]
	v_pk_fma_f32 v[26:27], v[60:61], v[56:57], v[26:27] op_sel:[0,0,1] op_sel_hi:[1,1,0] neg_lo:[0,0,1] neg_hi:[0,0,1]
	v_pk_fma_f32 v[72:73], v[62:63], v[20:21], v[72:73] op_sel:[0,0,1] op_sel_hi:[1,1,0] neg_lo:[0,0,1] neg_hi:[0,0,1]
	s_wait_dscnt 0x2
	v_pk_mul_f32 v[80:81], v[68:69], v[8:9] op_sel:[0,1]
	v_dual_mov_b32 v27, v79 :: v_dual_mov_b32 v73, v83
	v_pk_fma_f32 v[78:79], v[64:65], v[16:17], v[74:75] op_sel:[0,0,1] op_sel_hi:[1,0,0]
	v_pk_fma_f32 v[82:83], v[66:67], v[12:13], v[76:77] op_sel:[0,0,1] op_sel_hi:[1,0,0]
	v_pk_fma_f32 v[74:75], v[64:65], v[16:17], v[74:75] op_sel:[0,0,1] op_sel_hi:[1,1,0] neg_lo:[0,0,1] neg_hi:[0,0,1]
	v_pk_fma_f32 v[76:77], v[66:67], v[12:13], v[76:77] op_sel:[0,0,1] op_sel_hi:[1,1,0] neg_lo:[0,0,1] neg_hi:[0,0,1]
	v_pk_add_f32 v[26:27], v[50:51], v[26:27]
	s_delay_alu instid0(VALU_DEP_4)
	v_dual_mov_b32 v75, v79 :: v_dual_mov_b32 v77, v83
	v_pk_fma_f32 v[78:79], v[68:69], v[8:9], v[80:81] op_sel:[0,0,1] op_sel_hi:[1,0,0]
	v_pk_mul_f32 v[82:83], v[60:61], v[58:59] op_sel:[0,1]
	v_pk_fma_f32 v[80:81], v[68:69], v[8:9], v[80:81] op_sel:[0,0,1] op_sel_hi:[1,1,0] neg_lo:[0,0,1] neg_hi:[0,0,1]
	v_pk_mul_f32 v[50:51], v[62:63], v[22:23] op_sel:[0,1]
	v_pk_add_f32 v[26:27], v[26:27], v[72:73]
	v_mov_b32_e32 v81, v79
	v_pk_fma_f32 v[78:79], v[60:61], v[58:59], v[82:83] op_sel:[0,0,1] op_sel_hi:[1,1,0] neg_lo:[0,0,1] neg_hi:[0,0,1]
	v_pk_fma_f32 v[82:83], v[60:61], v[58:59], v[82:83] op_sel:[0,0,1] op_sel_hi:[1,0,0]
	v_pk_fma_f32 v[72:73], v[62:63], v[22:23], v[50:51] op_sel:[0,0,1] op_sel_hi:[1,1,0] neg_lo:[0,0,1] neg_hi:[0,0,1]
	v_pk_fma_f32 v[50:51], v[62:63], v[22:23], v[50:51] op_sel:[0,0,1] op_sel_hi:[1,0,0]
	ds_load_b128 v[60:63], v55 offset:48
	v_pk_add_f32 v[26:27], v[26:27], v[74:75]
	s_wait_dscnt 0x2
	v_pk_mul_f32 v[74:75], v[70:71], v[4:5] op_sel:[0,1]
	v_mov_b32_e32 v79, v83
	v_pk_mul_f32 v[82:83], v[64:65], v[18:19] op_sel:[0,1]
	v_mov_b32_e32 v73, v51
	v_pk_add_f32 v[76:77], v[26:27], v[76:77]
	v_pk_fma_f32 v[50:51], v[70:71], v[4:5], v[74:75] op_sel:[0,0,1] op_sel_hi:[1,0,0]
	v_pk_add_f32 v[78:79], v[24:25], v[78:79]
	v_pk_fma_f32 v[74:75], v[70:71], v[4:5], v[74:75] op_sel:[0,0,1] op_sel_hi:[1,1,0] neg_lo:[0,0,1] neg_hi:[0,0,1]
	ds_load_2addr_b64 v[24:27], v54 offset0:224 offset1:240
	v_mov_b32_e32 v75, v51
	v_pk_add_f32 v[50:51], v[76:77], v[80:81]
	v_pk_fma_f32 v[76:77], v[64:65], v[18:19], v[82:83] op_sel:[0,0,1] op_sel_hi:[1,0,0]
	v_pk_add_f32 v[72:73], v[78:79], v[72:73]
	v_pk_mul_f32 v[78:79], v[66:67], v[14:15] op_sel:[0,1]
	v_pk_fma_f32 v[64:65], v[64:65], v[18:19], v[82:83] op_sel:[0,0,1] op_sel_hi:[1,1,0] neg_lo:[0,0,1] neg_hi:[0,0,1]
	v_pk_add_f32 v[50:51], v[50:51], v[74:75]
	v_mov_b32_e32 v65, v77
	v_pk_mul_f32 v[82:83], v[68:69], v[10:11] op_sel:[0,1]
	v_pk_fma_f32 v[76:77], v[66:67], v[14:15], v[78:79] op_sel:[0,0,1] op_sel_hi:[1,0,0]
	v_pk_fma_f32 v[78:79], v[66:67], v[14:15], v[78:79] op_sel:[0,0,1] op_sel_hi:[1,1,0] neg_lo:[0,0,1] neg_hi:[0,0,1]
	s_delay_alu instid0(VALU_DEP_2)
	v_mov_b32_e32 v79, v77
	v_pk_add_f32 v[72:73], v[72:73], v[64:65]
	ds_load_b128 v[64:67], v55 offset:1024
	s_wait_dscnt 0x2
	v_pk_mul_f32 v[80:81], v[60:61], v[0:1] op_sel:[0,1]
	v_pk_add_f32 v[72:73], v[72:73], v[78:79]
	v_pk_mul_f32 v[78:79], v[70:71], v[6:7] op_sel:[0,1]
	s_delay_alu instid0(VALU_DEP_3) | instskip(SKIP_3) | instid1(VALU_DEP_3)
	v_pk_fma_f32 v[74:75], v[60:61], v[0:1], v[80:81] op_sel:[0,0,1] op_sel_hi:[1,0,0]
	v_pk_fma_f32 v[76:77], v[60:61], v[0:1], v[80:81] op_sel:[0,0,1] op_sel_hi:[1,1,0] neg_lo:[0,0,1] neg_hi:[0,0,1]
	s_wait_dscnt 0x1
	v_pk_mul_f32 v[80:81], v[62:63], v[24:25] op_sel:[0,1]
	v_mov_b32_e32 v77, v75
	v_pk_fma_f32 v[74:75], v[68:69], v[10:11], v[82:83] op_sel:[0,0,1] op_sel_hi:[1,0,0]
	v_pk_fma_f32 v[68:69], v[68:69], v[10:11], v[82:83] op_sel:[0,0,1] op_sel_hi:[1,1,0] neg_lo:[0,0,1] neg_hi:[0,0,1]
	s_delay_alu instid0(VALU_DEP_2)
	v_mov_b32_e32 v69, v75
	v_pk_fma_f32 v[74:75], v[62:63], v[24:25], v[80:81] op_sel:[0,0,1] op_sel_hi:[1,0,0]
	v_pk_fma_f32 v[80:81], v[62:63], v[24:25], v[80:81] op_sel:[0,0,1] op_sel_hi:[1,1,0] neg_lo:[0,0,1] neg_hi:[0,0,1]
	v_pk_add_f32 v[50:51], v[50:51], v[76:77]
	v_pk_fma_f32 v[76:77], v[70:71], v[6:7], v[78:79] op_sel:[0,0,1] op_sel_hi:[1,0,0]
	v_pk_add_f32 v[72:73], v[72:73], v[68:69]
	v_mov_b32_e32 v81, v75
	v_pk_fma_f32 v[74:75], v[70:71], v[6:7], v[78:79] op_sel:[0,0,1] op_sel_hi:[1,1,0] neg_lo:[0,0,1] neg_hi:[0,0,1]
	ds_load_b128 v[68:71], v55 offset:1040
	v_mov_b32_e32 v75, v77
	s_wait_dscnt 0x1
	v_pk_mul_f32 v[76:77], v[64:65], v[56:57] op_sel:[0,1]
	v_pk_mul_f32 v[78:79], v[60:61], v[2:3] op_sel:[0,1]
	v_pk_add_f32 v[50:51], v[50:51], v[80:81]
	v_pk_add_f32 v[72:73], v[72:73], v[74:75]
	s_delay_alu instid0(VALU_DEP_4) | instskip(NEXT) | instid1(VALU_DEP_4)
	v_pk_fma_f32 v[74:75], v[64:65], v[56:57], v[76:77] op_sel:[0,0,1] op_sel_hi:[1,0,0]
	v_pk_fma_f32 v[80:81], v[60:61], v[2:3], v[78:79] op_sel:[0,0,1] op_sel_hi:[1,1,0] neg_lo:[0,0,1] neg_hi:[0,0,1]
	v_pk_fma_f32 v[60:61], v[60:61], v[2:3], v[78:79] op_sel:[0,0,1] op_sel_hi:[1,0,0]
	v_pk_mul_f32 v[78:79], v[66:67], v[20:21] op_sel:[0,1]
	v_pk_fma_f32 v[56:57], v[64:65], v[56:57], v[76:77] op_sel:[0,0,1] op_sel_hi:[1,1,0] neg_lo:[0,0,1] neg_hi:[0,0,1]
	v_mov_b32_e32 v57, v75
	v_pk_mul_f32 v[74:75], v[62:63], v[26:27] op_sel:[0,1]
	v_mov_b32_e32 v81, v61
	v_pk_fma_f32 v[60:61], v[66:67], v[20:21], v[78:79] op_sel:[0,0,1] op_sel_hi:[1,0,0]
	v_pk_fma_f32 v[20:21], v[66:67], v[20:21], v[78:79] op_sel:[0,0,1] op_sel_hi:[1,1,0] neg_lo:[0,0,1] neg_hi:[0,0,1]
	v_pk_add_f32 v[48:49], v[48:49], v[56:57]
	v_pk_fma_f32 v[76:77], v[62:63], v[26:27], v[74:75] op_sel:[0,0,1] op_sel_hi:[1,1,0] neg_lo:[0,0,1] neg_hi:[0,0,1]
	v_pk_fma_f32 v[74:75], v[62:63], v[26:27], v[74:75] op_sel:[0,0,1] op_sel_hi:[1,0,0]
	v_mov_b32_e32 v21, v61
	ds_load_b128 v[60:63], v55 offset:1056
	s_wait_dscnt 0x1
	v_pk_mul_f32 v[56:57], v[68:69], v[16:17] op_sel:[0,1]
	v_mov_b32_e32 v77, v75
	v_pk_add_f32 v[20:21], v[48:49], v[20:21]
	s_delay_alu instid0(VALU_DEP_3) | instskip(SKIP_2) | instid1(VALU_DEP_3)
	v_pk_fma_f32 v[48:49], v[68:69], v[16:17], v[56:57] op_sel:[0,0,1] op_sel_hi:[1,0,0]
	v_pk_fma_f32 v[16:17], v[68:69], v[16:17], v[56:57] op_sel:[0,0,1] op_sel_hi:[1,1,0] neg_lo:[0,0,1] neg_hi:[0,0,1]
	v_pk_mul_f32 v[56:57], v[64:65], v[58:59] op_sel:[0,1]
	v_mov_b32_e32 v17, v49
	v_pk_mul_f32 v[48:49], v[70:71], v[12:13] op_sel:[0,1]
	s_delay_alu instid0(VALU_DEP_2) | instskip(NEXT) | instid1(VALU_DEP_2)
	v_pk_add_f32 v[16:17], v[20:21], v[16:17]
	v_pk_fma_f32 v[20:21], v[70:71], v[12:13], v[48:49] op_sel:[0,0,1] op_sel_hi:[1,0,0]
	v_pk_fma_f32 v[12:13], v[70:71], v[12:13], v[48:49] op_sel:[0,0,1] op_sel_hi:[1,1,0] neg_lo:[0,0,1] neg_hi:[0,0,1]
	v_pk_add_f32 v[48:49], v[72:73], v[80:81]
	s_delay_alu instid0(VALU_DEP_3) | instskip(SKIP_2) | instid1(VALU_DEP_2)
	v_mov_b32_e32 v13, v21
	s_wait_dscnt 0x0
	v_pk_mul_f32 v[20:21], v[60:61], v[8:9] op_sel:[0,1]
	v_pk_add_f32 v[12:13], v[16:17], v[12:13]
	s_delay_alu instid0(VALU_DEP_2) | instskip(SKIP_2) | instid1(VALU_DEP_3)
	v_pk_fma_f32 v[16:17], v[60:61], v[8:9], v[20:21] op_sel:[0,0,1] op_sel_hi:[1,0,0]
	v_pk_fma_f32 v[8:9], v[60:61], v[8:9], v[20:21] op_sel:[0,0,1] op_sel_hi:[1,1,0] neg_lo:[0,0,1] neg_hi:[0,0,1]
	v_pk_fma_f32 v[20:21], v[64:65], v[58:59], v[56:57] op_sel:[0,0,1] op_sel_hi:[1,1,0] neg_lo:[0,0,1] neg_hi:[0,0,1]
	v_mov_b32_e32 v9, v17
	v_pk_fma_f32 v[16:17], v[64:65], v[58:59], v[56:57] op_sel:[0,0,1] op_sel_hi:[1,0,0]
	ds_load_b128 v[56:59], v55 offset:1072
	s_wait_dscnt 0x0
	s_barrier_signal -1
	v_pk_add_f32 v[8:9], v[12:13], v[8:9]
	v_mov_b32_e32 v21, v17
	v_pk_mul_f32 v[16:17], v[66:67], v[22:23] op_sel:[0,1]
	v_pk_mul_f32 v[12:13], v[62:63], v[4:5] op_sel:[0,1]
	s_barrier_wait -1
	s_delay_alu instid0(VALU_DEP_3) | instskip(NEXT) | instid1(VALU_DEP_3)
	v_pk_add_f32 v[20:21], v[42:43], v[20:21]
	v_pk_fma_f32 v[64:65], v[66:67], v[22:23], v[16:17] op_sel:[0,0,1] op_sel_hi:[1,0,0]
	v_pk_mul_f32 v[42:43], v[68:69], v[18:19] op_sel:[0,1]
	v_pk_fma_f32 v[16:17], v[66:67], v[22:23], v[16:17] op_sel:[0,0,1] op_sel_hi:[1,1,0] neg_lo:[0,0,1] neg_hi:[0,0,1]
	v_pk_fma_f32 v[22:23], v[62:63], v[4:5], v[12:13] op_sel:[0,0,1] op_sel_hi:[1,1,0] neg_lo:[0,0,1] neg_hi:[0,0,1]
	v_pk_fma_f32 v[4:5], v[62:63], v[4:5], v[12:13] op_sel:[0,0,1] op_sel_hi:[1,0,0]
	v_mov_b32_e32 v17, v65
	v_pk_fma_f32 v[64:65], v[68:69], v[18:19], v[42:43] op_sel:[0,0,1] op_sel_hi:[1,0,0]
	v_pk_mul_f32 v[12:13], v[70:71], v[14:15] op_sel:[0,1]
	v_pk_fma_f32 v[18:19], v[68:69], v[18:19], v[42:43] op_sel:[0,0,1] op_sel_hi:[1,1,0] neg_lo:[0,0,1] neg_hi:[0,0,1]
	v_mov_b32_e32 v23, v5
	v_pk_mul_f32 v[42:43], v[60:61], v[10:11] op_sel:[0,1]
	v_mov_b32_e32 v19, v65
	v_pk_add_f32 v[16:17], v[20:21], v[16:17]
	v_pk_fma_f32 v[4:5], v[70:71], v[14:15], v[12:13] op_sel:[0,0,1] op_sel_hi:[1,0,0]
	v_pk_fma_f32 v[12:13], v[70:71], v[14:15], v[12:13] op_sel:[0,0,1] op_sel_hi:[1,1,0] neg_lo:[0,0,1] neg_hi:[0,0,1]
	v_pk_mul_f32 v[20:21], v[56:57], v[0:1] op_sel:[0,1]
	s_delay_alu instid0(VALU_DEP_4) | instskip(NEXT) | instid1(VALU_DEP_4)
	v_pk_add_f32 v[16:17], v[16:17], v[18:19]
	v_mov_b32_e32 v13, v5
	v_pk_add_f32 v[4:5], v[8:9], v[22:23]
	v_pk_fma_f32 v[8:9], v[60:61], v[10:11], v[42:43] op_sel:[0,0,1] op_sel_hi:[1,0,0]
	v_pk_mul_f32 v[18:19], v[62:63], v[6:7] op_sel:[0,1]
	v_pk_fma_f32 v[10:11], v[60:61], v[10:11], v[42:43] op_sel:[0,0,1] op_sel_hi:[1,1,0] neg_lo:[0,0,1] neg_hi:[0,0,1]
	v_pk_fma_f32 v[14:15], v[56:57], v[0:1], v[20:21] op_sel:[0,0,1] op_sel_hi:[1,1,0] neg_lo:[0,0,1] neg_hi:[0,0,1]
	v_pk_add_f32 v[12:13], v[16:17], v[12:13]
	v_mov_b32_e32 v11, v9
	v_pk_fma_f32 v[0:1], v[56:57], v[0:1], v[20:21] op_sel:[0,0,1] op_sel_hi:[1,0,0]
	v_pk_fma_f32 v[8:9], v[62:63], v[6:7], v[18:19] op_sel:[0,0,1] op_sel_hi:[1,0,0]
	v_pk_mul_f32 v[20:21], v[56:57], v[2:3] op_sel:[0,1]
	v_pk_fma_f32 v[6:7], v[62:63], v[6:7], v[18:19] op_sel:[0,0,1] op_sel_hi:[1,1,0] neg_lo:[0,0,1] neg_hi:[0,0,1]
	v_pk_mul_f32 v[16:17], v[58:59], v[24:25] op_sel:[0,1]
	s_delay_alu instid0(VALU_DEP_4)
	v_dual_mov_b32 v15, v1 :: v_dual_mov_b32 v7, v9
	v_pk_add_f32 v[10:11], v[12:13], v[10:11]
	v_pk_fma_f32 v[0:1], v[56:57], v[2:3], v[20:21] op_sel:[0,0,1] op_sel_hi:[1,0,0]
	v_pk_mul_f32 v[12:13], v[58:59], v[26:27] op_sel:[0,1]
	v_pk_fma_f32 v[2:3], v[56:57], v[2:3], v[20:21] op_sel:[0,0,1] op_sel_hi:[1,1,0] neg_lo:[0,0,1] neg_hi:[0,0,1]
	v_pk_fma_f32 v[8:9], v[58:59], v[24:25], v[16:17] op_sel:[0,0,1] op_sel_hi:[1,0,0]
	v_pk_add_f32 v[6:7], v[10:11], v[6:7]
	v_mov_b32_e32 v3, v1
	v_pk_add_f32 v[0:1], v[4:5], v[14:15]
	v_pk_fma_f32 v[4:5], v[58:59], v[26:27], v[12:13] op_sel:[0,0,1] op_sel_hi:[1,0,0]
	v_pk_fma_f32 v[10:11], v[58:59], v[24:25], v[16:17] op_sel:[0,0,1] op_sel_hi:[1,1,0] neg_lo:[0,0,1] neg_hi:[0,0,1]
	v_mov_b32_e32 v11, v9
	v_pk_add_f32 v[2:3], v[6:7], v[2:3]
	v_pk_fma_f32 v[6:7], v[58:59], v[26:27], v[12:13] op_sel:[0,0,1] op_sel_hi:[1,1,0] neg_lo:[0,0,1] neg_hi:[0,0,1]
	v_mov_b32_e32 v7, v5
	v_pk_add_f32 v[24:25], v[48:49], v[76:77]
	v_pk_add_f32 v[48:49], v[0:1], v[10:11]
	s_delay_alu instid0(VALU_DEP_3)
	v_pk_add_f32 v[42:43], v[2:3], v[6:7]
	s_cbranch_vccz .LBB526_13
.LBB526_7:                              ;   Parent Loop BB526_4 Depth=1
                                        ; =>  This Inner Loop Header: Depth=2
	v_add_nc_u64_e32 v[0:1], s[24:25], v[28:29]
	s_delay_alu instid0(VALU_DEP_1) | instskip(SKIP_2) | instid1(SALU_CYCLE_1)
	v_cmp_gt_i64_e32 vcc_lo, s[8:9], v[0:1]
	v_dual_mov_b32 v0, 0 :: v_dual_mov_b32 v1, 0
	s_and_b32 s38, s0, vcc_lo
	s_and_saveexec_b32 s37, s38
	s_cbranch_execz .LBB526_9
; %bb.8:                                ;   in Loop: Header=BB526_7 Depth=2
	global_load_b64 v[0:1], v[46:47], off
.LBB526_9:                              ;   in Loop: Header=BB526_7 Depth=2
	s_wait_xcnt 0x0
	s_or_b32 exec_lo, exec_lo, s37
	v_add_nc_u64_e32 v[2:3], s[24:25], v[30:31]
	s_wait_loadcnt 0x0
	ds_store_b64 v52, v[0:1]
	v_cmp_le_i64_e32 vcc_lo, s[8:9], v[2:3]
	s_or_b32 s37, vcc_lo, s36
	s_delay_alu instid0(SALU_CYCLE_1) | instskip(NEXT) | instid1(SALU_CYCLE_1)
	s_and_saveexec_b32 s38, s37
	s_xor_b32 s37, exec_lo, s38
; %bb.10:                               ;   in Loop: Header=BB526_7 Depth=2
	ds_store_b32 v53, v29
; %bb.11:                               ;   in Loop: Header=BB526_7 Depth=2
	s_or_saveexec_b32 s37, s37
	v_mov_b32_e32 v0, 0
	s_xor_b32 exec_lo, exec_lo, s37
	s_cbranch_execz .LBB526_6
; %bb.12:                               ;   in Loop: Header=BB526_7 Depth=2
	global_load_b64 v[2:3], v[44:45], off offset:-4
	s_wait_loadcnt 0x0
	v_xor_b32_e32 v0, 0x80000000, v3
	ds_store_b32 v53, v2
	s_branch .LBB526_6
.LBB526_13:                             ;   in Loop: Header=BB526_4 Depth=1
	s_mul_u64 s[24:25], s[30:31], s[34:35]
	s_and_not1_b32 vcc_lo, exec_lo, s44
	s_lshl_b64 s[24:25], s[24:25], 3
	s_mov_b32 s37, -1
	s_add_nc_u64 s[24:25], s[18:19], s[24:25]
	s_cbranch_vccz .LBB526_15
; %bb.14:                               ;   in Loop: Header=BB526_4 Depth=1
	s_and_not1_b32 vcc_lo, exec_lo, s37
	s_cbranch_vccnz .LBB526_3
	s_branch .LBB526_26
.LBB526_15:                             ;   in Loop: Header=BB526_4 Depth=1
	s_and_saveexec_b32 s37, s1
	s_cbranch_execz .LBB526_25
; %bb.16:                               ;   in Loop: Header=BB526_4 Depth=1
	v_lshl_add_u64 v[0:1], v[34:35], 3, s[24:25]
	s_delay_alu instid0(VALU_DEP_1)
	v_lshl_add_u64 v[2:3], v[32:33], 3, v[0:1]
	s_and_saveexec_b32 s38, s2
	s_cbranch_execnz .LBB526_19
; %bb.17:                               ;   in Loop: Header=BB526_4 Depth=1
	s_or_b32 exec_lo, exec_lo, s38
	s_and_saveexec_b32 s38, s3
	s_cbranch_execnz .LBB526_20
.LBB526_18:                             ;   in Loop: Header=BB526_4 Depth=1
	s_or_b32 exec_lo, exec_lo, s38
	s_delay_alu instid0(SALU_CYCLE_1)
	s_and_b32 exec_lo, exec_lo, s4
	s_cbranch_execnz .LBB526_21
	s_branch .LBB526_25
.LBB526_19:                             ;   in Loop: Header=BB526_4 Depth=1
	v_mov_b64_e32 v[4:5], s[42:43]
	v_mov_b64_e32 v[6:7], s[10:11]
	s_delay_alu instid0(VALU_DEP_2) | instskip(NEXT) | instid1(VALU_DEP_1)
	v_pk_mul_f32 v[4:5], v[50:51], v[4:5] op_sel:[1,0] op_sel_hi:[0,1]
	v_pk_fma_f32 v[8:9], v[50:51], v[6:7], v[4:5]
	v_pk_fma_f32 v[4:5], v[50:51], v[6:7], v[4:5] neg_lo:[0,0,1] neg_hi:[0,0,1]
	s_delay_alu instid0(VALU_DEP_2)
	v_mov_b32_e32 v5, v9
	global_store_b64 v[2:3], v[4:5], off
	s_wait_xcnt 0x0
	s_or_b32 exec_lo, exec_lo, s38
	s_and_saveexec_b32 s38, s3
	s_cbranch_execz .LBB526_18
.LBB526_20:                             ;   in Loop: Header=BB526_4 Depth=1
	v_mov_b64_e32 v[4:5], s[42:43]
	v_mov_b64_e32 v[6:7], s[10:11]
	s_delay_alu instid0(VALU_DEP_2) | instskip(NEXT) | instid1(VALU_DEP_1)
	v_pk_mul_f32 v[4:5], v[24:25], v[4:5] op_sel:[1,0] op_sel_hi:[0,1]
	v_pk_fma_f32 v[8:9], v[24:25], v[6:7], v[4:5]
	v_pk_fma_f32 v[4:5], v[24:25], v[6:7], v[4:5] neg_lo:[0,0,1] neg_hi:[0,0,1]
	s_delay_alu instid0(VALU_DEP_2) | instskip(SKIP_3) | instid1(SALU_CYCLE_1)
	v_mov_b32_e32 v5, v9
	global_store_b64 v[2:3], v[4:5], off offset:128
	s_wait_xcnt 0x0
	s_or_b32 exec_lo, exec_lo, s38
	s_and_b32 exec_lo, exec_lo, s4
	s_cbranch_execz .LBB526_25
.LBB526_21:                             ;   in Loop: Header=BB526_4 Depth=1
	v_lshl_add_u64 v[0:1], s[6:7], 3, v[0:1]
	s_delay_alu instid0(VALU_DEP_1)
	v_lshl_add_u64 v[0:1], v[32:33], 3, v[0:1]
	s_and_saveexec_b32 s38, s2
	s_cbranch_execz .LBB526_23
; %bb.22:                               ;   in Loop: Header=BB526_4 Depth=1
	v_mov_b64_e32 v[2:3], s[42:43]
	v_mov_b64_e32 v[4:5], s[10:11]
	s_delay_alu instid0(VALU_DEP_2) | instskip(NEXT) | instid1(VALU_DEP_1)
	v_pk_mul_f32 v[2:3], v[48:49], v[2:3] op_sel:[1,0] op_sel_hi:[0,1]
	v_pk_fma_f32 v[6:7], v[48:49], v[4:5], v[2:3]
	v_pk_fma_f32 v[2:3], v[48:49], v[4:5], v[2:3] neg_lo:[0,0,1] neg_hi:[0,0,1]
	s_delay_alu instid0(VALU_DEP_2)
	v_mov_b32_e32 v3, v7
	global_store_b64 v[0:1], v[2:3], off
.LBB526_23:                             ;   in Loop: Header=BB526_4 Depth=1
	s_wait_xcnt 0x0
	s_or_b32 exec_lo, exec_lo, s38
	s_delay_alu instid0(SALU_CYCLE_1)
	s_and_b32 exec_lo, exec_lo, s3
	s_cbranch_execz .LBB526_25
; %bb.24:                               ;   in Loop: Header=BB526_4 Depth=1
	v_mov_b64_e32 v[2:3], s[42:43]
	v_mov_b64_e32 v[4:5], s[10:11]
	s_delay_alu instid0(VALU_DEP_2) | instskip(NEXT) | instid1(VALU_DEP_1)
	v_pk_mul_f32 v[2:3], v[42:43], v[2:3] op_sel:[1,0] op_sel_hi:[0,1]
	v_pk_fma_f32 v[6:7], v[42:43], v[4:5], v[2:3]
	v_pk_fma_f32 v[2:3], v[42:43], v[4:5], v[2:3] neg_lo:[0,0,1] neg_hi:[0,0,1]
	s_delay_alu instid0(VALU_DEP_2)
	v_mov_b32_e32 v3, v7
	global_store_b64 v[0:1], v[2:3], off offset:128
.LBB526_25:                             ;   in Loop: Header=BB526_4 Depth=1
	s_wait_xcnt 0x0
	s_or_b32 exec_lo, exec_lo, s37
	s_cbranch_execnz .LBB526_3
.LBB526_26:                             ;   in Loop: Header=BB526_4 Depth=1
	s_and_saveexec_b32 s37, s1
	s_cbranch_execz .LBB526_2
; %bb.27:                               ;   in Loop: Header=BB526_4 Depth=1
	s_mul_u64 s[38:39], s[16:17], s[34:35]
	v_lshlrev_b64_e32 v[0:1], 3, v[32:33]
	v_lshl_add_u64 v[2:3], s[38:39], 3, v[36:37]
	v_lshl_add_u64 v[4:5], v[34:35], 3, s[24:25]
	s_delay_alu instid0(VALU_DEP_2) | instskip(NEXT) | instid1(VALU_DEP_2)
	v_add_nc_u64_e32 v[8:9], v[2:3], v[0:1]
	v_add_nc_u64_e32 v[6:7], v[4:5], v[0:1]
	s_and_saveexec_b32 s24, s2
	s_cbranch_execnz .LBB526_30
; %bb.28:                               ;   in Loop: Header=BB526_4 Depth=1
	s_or_b32 exec_lo, exec_lo, s24
	s_and_saveexec_b32 s24, s3
	s_cbranch_execnz .LBB526_31
.LBB526_29:                             ;   in Loop: Header=BB526_4 Depth=1
	s_or_b32 exec_lo, exec_lo, s24
	s_delay_alu instid0(SALU_CYCLE_1)
	s_and_b32 exec_lo, exec_lo, s4
	s_cbranch_execz .LBB526_2
	s_branch .LBB526_32
.LBB526_30:                             ;   in Loop: Header=BB526_4 Depth=1
	global_load_b64 v[10:11], v[8:9], off
	v_mov_b64_e32 v[12:13], s[42:43]
	v_mov_b64_e32 v[14:15], s[26:27]
	;; [unrolled: 1-line block ×4, first 2 shown]
	s_delay_alu instid0(VALU_DEP_4) | instskip(NEXT) | instid1(VALU_DEP_1)
	v_pk_mul_f32 v[12:13], v[50:51], v[12:13] op_sel:[1,0] op_sel_hi:[0,1]
	v_pk_fma_f32 v[20:21], v[50:51], v[16:17], v[12:13]
	v_pk_fma_f32 v[12:13], v[50:51], v[16:17], v[12:13] neg_lo:[0,0,1] neg_hi:[0,0,1]
	s_wait_loadcnt 0x0
	v_pk_mul_f32 v[14:15], v[10:11], v[14:15] op_sel:[1,0] op_sel_hi:[0,1]
	s_delay_alu instid0(VALU_DEP_1) | instskip(SKIP_1) | instid1(VALU_DEP_2)
	v_pk_fma_f32 v[22:23], v[10:11], v[18:19], v[14:15]
	v_pk_fma_f32 v[10:11], v[10:11], v[18:19], v[14:15] neg_lo:[0,0,1] neg_hi:[0,0,1]
	v_dual_mov_b32 v13, v21 :: v_dual_mov_b32 v11, v23
	s_delay_alu instid0(VALU_DEP_1)
	v_pk_add_f32 v[10:11], v[12:13], v[10:11]
	global_store_b64 v[6:7], v[10:11], off
	s_wait_xcnt 0x0
	s_or_b32 exec_lo, exec_lo, s24
	s_and_saveexec_b32 s24, s3
	s_cbranch_execz .LBB526_29
.LBB526_31:                             ;   in Loop: Header=BB526_4 Depth=1
	global_load_b64 v[8:9], v[8:9], off offset:128
	v_mov_b64_e32 v[10:11], s[42:43]
	v_mov_b64_e32 v[12:13], s[26:27]
	;; [unrolled: 1-line block ×4, first 2 shown]
	s_delay_alu instid0(VALU_DEP_4) | instskip(NEXT) | instid1(VALU_DEP_1)
	v_pk_mul_f32 v[10:11], v[24:25], v[10:11] op_sel:[1,0] op_sel_hi:[0,1]
	v_pk_fma_f32 v[18:19], v[24:25], v[14:15], v[10:11]
	v_pk_fma_f32 v[10:11], v[24:25], v[14:15], v[10:11] neg_lo:[0,0,1] neg_hi:[0,0,1]
	s_wait_loadcnt 0x0
	v_pk_mul_f32 v[12:13], v[8:9], v[12:13] op_sel:[1,0] op_sel_hi:[0,1]
	s_delay_alu instid0(VALU_DEP_1) | instskip(SKIP_2) | instid1(VALU_DEP_2)
	v_pk_fma_f32 v[20:21], v[8:9], v[16:17], v[12:13]
	s_wait_xcnt 0x0
	v_pk_fma_f32 v[8:9], v[8:9], v[16:17], v[12:13] neg_lo:[0,0,1] neg_hi:[0,0,1]
	v_dual_mov_b32 v11, v19 :: v_dual_mov_b32 v9, v21
	s_delay_alu instid0(VALU_DEP_1) | instskip(SKIP_3) | instid1(SALU_CYCLE_1)
	v_pk_add_f32 v[8:9], v[10:11], v[8:9]
	global_store_b64 v[6:7], v[8:9], off offset:128
	s_wait_xcnt 0x0
	s_or_b32 exec_lo, exec_lo, s24
	s_and_b32 exec_lo, exec_lo, s4
	s_cbranch_execz .LBB526_2
.LBB526_32:                             ;   in Loop: Header=BB526_4 Depth=1
	v_lshl_add_u64 v[2:3], s[14:15], 3, v[2:3]
	v_lshl_add_u64 v[4:5], s[6:7], 3, v[4:5]
	s_delay_alu instid0(VALU_DEP_2) | instskip(NEXT) | instid1(VALU_DEP_2)
	v_add_nc_u64_e32 v[2:3], v[2:3], v[0:1]
	v_add_nc_u64_e32 v[0:1], v[4:5], v[0:1]
	s_and_saveexec_b32 s24, s2
	s_cbranch_execz .LBB526_34
; %bb.33:                               ;   in Loop: Header=BB526_4 Depth=1
	global_load_b64 v[4:5], v[2:3], off
	v_mov_b64_e32 v[6:7], s[42:43]
	v_mov_b64_e32 v[8:9], s[26:27]
	;; [unrolled: 1-line block ×4, first 2 shown]
	s_delay_alu instid0(VALU_DEP_4) | instskip(NEXT) | instid1(VALU_DEP_1)
	v_pk_mul_f32 v[6:7], v[48:49], v[6:7] op_sel:[1,0] op_sel_hi:[0,1]
	v_pk_fma_f32 v[14:15], v[48:49], v[10:11], v[6:7]
	v_pk_fma_f32 v[6:7], v[48:49], v[10:11], v[6:7] neg_lo:[0,0,1] neg_hi:[0,0,1]
	s_wait_loadcnt 0x0
	v_pk_mul_f32 v[8:9], v[4:5], v[8:9] op_sel:[1,0] op_sel_hi:[0,1]
	s_delay_alu instid0(VALU_DEP_1) | instskip(SKIP_1) | instid1(VALU_DEP_2)
	v_pk_fma_f32 v[16:17], v[4:5], v[12:13], v[8:9]
	v_pk_fma_f32 v[4:5], v[4:5], v[12:13], v[8:9] neg_lo:[0,0,1] neg_hi:[0,0,1]
	v_dual_mov_b32 v7, v15 :: v_dual_mov_b32 v5, v17
	s_delay_alu instid0(VALU_DEP_1)
	v_pk_add_f32 v[4:5], v[6:7], v[4:5]
	global_store_b64 v[0:1], v[4:5], off
.LBB526_34:                             ;   in Loop: Header=BB526_4 Depth=1
	s_wait_xcnt 0x0
	s_or_b32 exec_lo, exec_lo, s24
	s_delay_alu instid0(SALU_CYCLE_1)
	s_and_b32 exec_lo, exec_lo, s3
	s_cbranch_execz .LBB526_2
; %bb.35:                               ;   in Loop: Header=BB526_4 Depth=1
	global_load_b64 v[2:3], v[2:3], off offset:128
	v_mov_b64_e32 v[4:5], s[42:43]
	v_mov_b64_e32 v[6:7], s[26:27]
	;; [unrolled: 1-line block ×4, first 2 shown]
	s_delay_alu instid0(VALU_DEP_4) | instskip(NEXT) | instid1(VALU_DEP_1)
	v_pk_mul_f32 v[4:5], v[42:43], v[4:5] op_sel:[1,0] op_sel_hi:[0,1]
	v_pk_fma_f32 v[12:13], v[42:43], v[8:9], v[4:5]
	v_pk_fma_f32 v[4:5], v[42:43], v[8:9], v[4:5] neg_lo:[0,0,1] neg_hi:[0,0,1]
	s_wait_loadcnt 0x0
	v_pk_mul_f32 v[6:7], v[2:3], v[6:7] op_sel:[1,0] op_sel_hi:[0,1]
	s_delay_alu instid0(VALU_DEP_1) | instskip(SKIP_2) | instid1(VALU_DEP_2)
	v_pk_fma_f32 v[14:15], v[2:3], v[10:11], v[6:7]
	s_wait_xcnt 0x0
	v_pk_fma_f32 v[2:3], v[2:3], v[10:11], v[6:7] neg_lo:[0,0,1] neg_hi:[0,0,1]
	v_dual_mov_b32 v5, v13 :: v_dual_mov_b32 v3, v15
	s_delay_alu instid0(VALU_DEP_1)
	v_pk_add_f32 v[2:3], v[4:5], v[2:3]
	global_store_b64 v[0:1], v[2:3], off offset:128
	s_branch .LBB526_2
.LBB526_36:
	s_sendmsg sendmsg(MSG_DEALLOC_VGPRS)
	s_endpgm
	.section	.rodata,"a",@progbits
	.p2align	6, 0x0
	.amdhsa_kernel _ZN12_GLOBAL__N_135rocblas_gemm_batched_general_kernelI19rocblas_complex_numIfELi16ELi16ELi32ELi32ELi8ELi32ELi8ELi8ELi32ELc78ELc67EKS2_S3_S2_EEvlllT_PT11_llS6_llS4_PT12_llPT13_lli
		.amdhsa_group_segment_fixed_size 4096
		.amdhsa_private_segment_fixed_size 0
		.amdhsa_kernarg_size 140
		.amdhsa_user_sgpr_count 2
		.amdhsa_user_sgpr_dispatch_ptr 0
		.amdhsa_user_sgpr_queue_ptr 0
		.amdhsa_user_sgpr_kernarg_segment_ptr 1
		.amdhsa_user_sgpr_dispatch_id 0
		.amdhsa_user_sgpr_kernarg_preload_length 0
		.amdhsa_user_sgpr_kernarg_preload_offset 0
		.amdhsa_user_sgpr_private_segment_size 0
		.amdhsa_wavefront_size32 1
		.amdhsa_uses_dynamic_stack 0
		.amdhsa_enable_private_segment 0
		.amdhsa_system_sgpr_workgroup_id_x 1
		.amdhsa_system_sgpr_workgroup_id_y 1
		.amdhsa_system_sgpr_workgroup_id_z 1
		.amdhsa_system_sgpr_workgroup_info 0
		.amdhsa_system_vgpr_workitem_id 1
		.amdhsa_next_free_vgpr 84
		.amdhsa_next_free_sgpr 48
		.amdhsa_named_barrier_count 0
		.amdhsa_reserve_vcc 1
		.amdhsa_float_round_mode_32 0
		.amdhsa_float_round_mode_16_64 0
		.amdhsa_float_denorm_mode_32 3
		.amdhsa_float_denorm_mode_16_64 3
		.amdhsa_fp16_overflow 0
		.amdhsa_memory_ordered 1
		.amdhsa_forward_progress 1
		.amdhsa_inst_pref_size 27
		.amdhsa_round_robin_scheduling 0
		.amdhsa_exception_fp_ieee_invalid_op 0
		.amdhsa_exception_fp_denorm_src 0
		.amdhsa_exception_fp_ieee_div_zero 0
		.amdhsa_exception_fp_ieee_overflow 0
		.amdhsa_exception_fp_ieee_underflow 0
		.amdhsa_exception_fp_ieee_inexact 0
		.amdhsa_exception_int_div_zero 0
	.end_amdhsa_kernel
	.section	.text._ZN12_GLOBAL__N_135rocblas_gemm_batched_general_kernelI19rocblas_complex_numIfELi16ELi16ELi32ELi32ELi8ELi32ELi8ELi8ELi32ELc78ELc67EKS2_S3_S2_EEvlllT_PT11_llS6_llS4_PT12_llPT13_lli,"axG",@progbits,_ZN12_GLOBAL__N_135rocblas_gemm_batched_general_kernelI19rocblas_complex_numIfELi16ELi16ELi32ELi32ELi8ELi32ELi8ELi8ELi32ELc78ELc67EKS2_S3_S2_EEvlllT_PT11_llS6_llS4_PT12_llPT13_lli,comdat
.Lfunc_end526:
	.size	_ZN12_GLOBAL__N_135rocblas_gemm_batched_general_kernelI19rocblas_complex_numIfELi16ELi16ELi32ELi32ELi8ELi32ELi8ELi8ELi32ELc78ELc67EKS2_S3_S2_EEvlllT_PT11_llS6_llS4_PT12_llPT13_lli, .Lfunc_end526-_ZN12_GLOBAL__N_135rocblas_gemm_batched_general_kernelI19rocblas_complex_numIfELi16ELi16ELi32ELi32ELi8ELi32ELi8ELi8ELi32ELc78ELc67EKS2_S3_S2_EEvlllT_PT11_llS6_llS4_PT12_llPT13_lli
                                        ; -- End function
	.set _ZN12_GLOBAL__N_135rocblas_gemm_batched_general_kernelI19rocblas_complex_numIfELi16ELi16ELi32ELi32ELi8ELi32ELi8ELi8ELi32ELc78ELc67EKS2_S3_S2_EEvlllT_PT11_llS6_llS4_PT12_llPT13_lli.num_vgpr, 84
	.set _ZN12_GLOBAL__N_135rocblas_gemm_batched_general_kernelI19rocblas_complex_numIfELi16ELi16ELi32ELi32ELi8ELi32ELi8ELi8ELi32ELc78ELc67EKS2_S3_S2_EEvlllT_PT11_llS6_llS4_PT12_llPT13_lli.num_agpr, 0
	.set _ZN12_GLOBAL__N_135rocblas_gemm_batched_general_kernelI19rocblas_complex_numIfELi16ELi16ELi32ELi32ELi8ELi32ELi8ELi8ELi32ELc78ELc67EKS2_S3_S2_EEvlllT_PT11_llS6_llS4_PT12_llPT13_lli.numbered_sgpr, 48
	.set _ZN12_GLOBAL__N_135rocblas_gemm_batched_general_kernelI19rocblas_complex_numIfELi16ELi16ELi32ELi32ELi8ELi32ELi8ELi8ELi32ELc78ELc67EKS2_S3_S2_EEvlllT_PT11_llS6_llS4_PT12_llPT13_lli.num_named_barrier, 0
	.set _ZN12_GLOBAL__N_135rocblas_gemm_batched_general_kernelI19rocblas_complex_numIfELi16ELi16ELi32ELi32ELi8ELi32ELi8ELi8ELi32ELc78ELc67EKS2_S3_S2_EEvlllT_PT11_llS6_llS4_PT12_llPT13_lli.private_seg_size, 0
	.set _ZN12_GLOBAL__N_135rocblas_gemm_batched_general_kernelI19rocblas_complex_numIfELi16ELi16ELi32ELi32ELi8ELi32ELi8ELi8ELi32ELc78ELc67EKS2_S3_S2_EEvlllT_PT11_llS6_llS4_PT12_llPT13_lli.uses_vcc, 1
	.set _ZN12_GLOBAL__N_135rocblas_gemm_batched_general_kernelI19rocblas_complex_numIfELi16ELi16ELi32ELi32ELi8ELi32ELi8ELi8ELi32ELc78ELc67EKS2_S3_S2_EEvlllT_PT11_llS6_llS4_PT12_llPT13_lli.uses_flat_scratch, 0
	.set _ZN12_GLOBAL__N_135rocblas_gemm_batched_general_kernelI19rocblas_complex_numIfELi16ELi16ELi32ELi32ELi8ELi32ELi8ELi8ELi32ELc78ELc67EKS2_S3_S2_EEvlllT_PT11_llS6_llS4_PT12_llPT13_lli.has_dyn_sized_stack, 0
	.set _ZN12_GLOBAL__N_135rocblas_gemm_batched_general_kernelI19rocblas_complex_numIfELi16ELi16ELi32ELi32ELi8ELi32ELi8ELi8ELi32ELc78ELc67EKS2_S3_S2_EEvlllT_PT11_llS6_llS4_PT12_llPT13_lli.has_recursion, 0
	.set _ZN12_GLOBAL__N_135rocblas_gemm_batched_general_kernelI19rocblas_complex_numIfELi16ELi16ELi32ELi32ELi8ELi32ELi8ELi8ELi32ELc78ELc67EKS2_S3_S2_EEvlllT_PT11_llS6_llS4_PT12_llPT13_lli.has_indirect_call, 0
	.section	.AMDGPU.csdata,"",@progbits
; Kernel info:
; codeLenInByte = 3440
; TotalNumSgprs: 50
; NumVgprs: 84
; ScratchSize: 0
; MemoryBound: 0
; FloatMode: 240
; IeeeMode: 1
; LDSByteSize: 4096 bytes/workgroup (compile time only)
; SGPRBlocks: 0
; VGPRBlocks: 5
; NumSGPRsForWavesPerEU: 50
; NumVGPRsForWavesPerEU: 84
; NamedBarCnt: 0
; Occupancy: 10
; WaveLimiterHint : 0
; COMPUTE_PGM_RSRC2:SCRATCH_EN: 0
; COMPUTE_PGM_RSRC2:USER_SGPR: 2
; COMPUTE_PGM_RSRC2:TRAP_HANDLER: 0
; COMPUTE_PGM_RSRC2:TGID_X_EN: 1
; COMPUTE_PGM_RSRC2:TGID_Y_EN: 1
; COMPUTE_PGM_RSRC2:TGID_Z_EN: 1
; COMPUTE_PGM_RSRC2:TIDIG_COMP_CNT: 1
	.section	.text._ZN12_GLOBAL__N_135rocblas_gemm_batched_general_kernelI19rocblas_complex_numIfELi16ELi16ELi32ELi32ELi8ELi32ELi8ELi8ELi32ELc84ELc67EKS2_S3_S2_EEvlllT_PT11_llS6_llS4_PT12_llPT13_lli,"axG",@progbits,_ZN12_GLOBAL__N_135rocblas_gemm_batched_general_kernelI19rocblas_complex_numIfELi16ELi16ELi32ELi32ELi8ELi32ELi8ELi8ELi32ELc84ELc67EKS2_S3_S2_EEvlllT_PT11_llS6_llS4_PT12_llPT13_lli,comdat
	.globl	_ZN12_GLOBAL__N_135rocblas_gemm_batched_general_kernelI19rocblas_complex_numIfELi16ELi16ELi32ELi32ELi8ELi32ELi8ELi8ELi32ELc84ELc67EKS2_S3_S2_EEvlllT_PT11_llS6_llS4_PT12_llPT13_lli ; -- Begin function _ZN12_GLOBAL__N_135rocblas_gemm_batched_general_kernelI19rocblas_complex_numIfELi16ELi16ELi32ELi32ELi8ELi32ELi8ELi8ELi32ELc84ELc67EKS2_S3_S2_EEvlllT_PT11_llS6_llS4_PT12_llPT13_lli
	.p2align	8
	.type	_ZN12_GLOBAL__N_135rocblas_gemm_batched_general_kernelI19rocblas_complex_numIfELi16ELi16ELi32ELi32ELi8ELi32ELi8ELi8ELi32ELc84ELc67EKS2_S3_S2_EEvlllT_PT11_llS6_llS4_PT12_llPT13_lli,@function
_ZN12_GLOBAL__N_135rocblas_gemm_batched_general_kernelI19rocblas_complex_numIfELi16ELi16ELi32ELi32ELi8ELi32ELi8ELi8ELi32ELc84ELc67EKS2_S3_S2_EEvlllT_PT11_llS6_llS4_PT12_llPT13_lli: ; @_ZN12_GLOBAL__N_135rocblas_gemm_batched_general_kernelI19rocblas_complex_numIfELi16ELi16ELi32ELi32ELi8ELi32ELi8ELi8ELi32ELc84ELc67EKS2_S3_S2_EEvlllT_PT11_llS6_llS4_PT12_llPT13_lli
; %bb.0:
	s_load_b32 s33, s[0:1], 0x88
	s_bfe_u32 s2, ttmp6, 0x40014
	s_lshr_b32 s3, ttmp7, 16
	s_add_co_i32 s2, s2, 1
	s_bfe_u32 s5, ttmp6, 0x40008
	s_mul_i32 s4, s3, s2
	s_getreg_b32 s2, hwreg(HW_REG_IB_STS2, 6, 4)
	s_add_co_i32 s5, s5, s4
	s_cmp_eq_u32 s2, 0
	s_mov_b32 s35, 0
	s_cselect_b32 s34, s3, s5
	s_wait_kmcnt 0x0
	s_cmp_ge_i32 s34, s33
	s_cbranch_scc1 .LBB527_36
; %bb.1:
	s_clause 0x3
	s_load_b256 s[20:27], s[0:1], 0x20
	s_load_b128 s[28:31], s[0:1], 0x78
	s_load_b128 s[36:39], s[0:1], 0x40
	s_load_b64 s[40:41], s[0:1], 0x50
	v_bfe_u32 v2, v0, 10, 10
	v_and_b32_e32 v4, 0x3ff, v0
	s_clause 0x1
	s_load_b256 s[4:11], s[0:1], 0x0
	s_load_b256 s[12:19], s[0:1], 0x58
	s_wait_xcnt 0x0
	s_bfe_u32 s0, ttmp6, 0x4000c
	s_bfe_u32 s3, ttmp6, 0x40010
	v_lshl_add_u32 v14, v2, 4, v4
	v_dual_mov_b32 v29, 0 :: v_dual_bitop2_b32 v30, 7, v0 bitop3:0x40
	s_add_co_i32 s0, s0, 1
	s_and_b32 s42, ttmp7, 0xffff
	s_delay_alu instid0(VALU_DEP_1)
	v_dual_mov_b32 v3, v29 :: v_dual_bitop2_b32 v5, 31, v14 bitop3:0x40
	v_dual_mov_b32 v31, v29 :: v_dual_lshrrev_b32 v28, 5, v14
	s_add_co_i32 s3, s3, 1
	s_and_b32 s1, ttmp6, 15
	s_mul_i32 s0, ttmp9, s0
	s_mul_i32 s3, s42, s3
	s_bfe_u32 s43, ttmp6, 0x40004
	s_add_co_i32 s1, s1, s0
	s_add_co_i32 s43, s43, s3
	s_wait_kmcnt 0x0
	v_mul_u64_e32 v[0:1], s[36:37], v[30:31]
	s_cmp_eq_u32 s2, 0
	v_dual_mov_b32 v7, v29 :: v_dual_lshrrev_b32 v6, 3, v14
	s_cselect_b32 s0, ttmp9, s1
	s_cselect_b32 s44, s42, s43
	s_ashr_i32 s1, s0, 31
	s_lshl_b32 s42, s44, 5
	s_lshl_b64 s[2:3], s[0:1], 5
	s_mov_b32 s43, s35
	v_dual_mov_b32 v9, s3 :: v_dual_bitop2_b32 v8, s2, v5 bitop3:0x54
	v_add_nc_u64_e32 v[10:11], s[42:43], v[6:7]
	v_dual_lshlrev_b32 v7, 3, v5 :: v_dual_mov_b32 v5, v29
	v_dual_lshlrev_b32 v15, 3, v30 :: v_dual_lshlrev_b32 v54, 3, v4
	v_add_nc_u64_e32 v[12:13], s[42:43], v[2:3]
	s_delay_alu instid0(VALU_DEP_3) | instskip(SKIP_1) | instid1(VALU_DEP_4)
	v_lshl_or_b32 v52, v28, 8, v7
	v_cmp_gt_i64_e64 s0, s[4:5], v[8:9]
	v_lshl_or_b32 v3, v6, 6, v15
	v_mul_u64_e32 v[6:7], s[22:23], v[8:9]
	s_or_b32 s1, s40, s41
	v_add_nc_u64_e32 v[32:33], s[2:3], v[4:5]
	v_mul_u64_e32 v[8:9], s[14:15], v[12:13]
	s_bitset0_b32 s1, 31
	v_mul_u64_e32 v[34:35], s[28:29], v[12:13]
	s_cmp_eq_u32 s1, 0
	s_mov_b32 s3, s35
	s_cselect_b32 s42, -1, 0
	s_lshl_b32 s2, s44, 8
	v_and_b32_e32 v4, 0x1ff8, v14
	v_lshl_add_u64 v[0:1], v[0:1], 3, s[2:3]
	v_add_nc_u32_e32 v53, 0x800, v3
	v_lshl_add_u32 v55, v2, 6, 0x800
	v_add_nc_u64_e32 v[2:3], 16, v[32:33]
	v_cmp_gt_i64_e32 vcc_lo, s[6:7], v[10:11]
	v_add_nc_u64_e32 v[0:1], v[0:1], v[4:5]
	v_add_nc_u64_e32 v[10:11], 16, v[12:13]
	v_cmp_gt_i64_e64 s1, s[6:7], v[12:13]
	v_cmp_gt_i64_e64 s2, s[4:5], v[32:33]
	s_mov_b32 s22, s11
	v_cmp_gt_i64_e64 s3, s[4:5], v[2:3]
	v_dual_mov_b32 v3, v29 :: v_dual_lshlrev_b32 v2, 3, v28
	v_add_nc_u64_e32 v[0:1], s[26:27], v[0:1]
	v_cmp_gt_i64_e64 s4, s[6:7], v[10:11]
	v_cmp_gt_i64_e64 s5, s[8:9], 0
	s_mov_b32 s23, s11
	s_mov_b32 s11, s10
	s_lshl_b64 s[6:7], s[28:29], 4
	s_mov_b32 s26, s41
	v_add_nc_u64_e32 v[38:39], 4, v[0:1]
	v_lshl_add_u64 v[2:3], v[6:7], 3, v[2:3]
	s_mov_b32 s27, s41
	s_mov_b32 s41, s40
	v_lshl_add_u64 v[36:37], v[8:9], 3, s[12:13]
	s_lshl_b64 s[14:15], s[14:15], 4
	v_add_nc_u64_e32 v[40:41], s[20:21], v[2:3]
	s_lshl_b64 s[12:13], s[38:39], 3
	s_lshl_b64 s[20:21], s[36:37], 6
	;; [unrolled: 1-line block ×3, first 2 shown]
	s_xor_b32 s36, vcc_lo, -1
	s_branch .LBB527_4
.LBB527_2:                              ;   in Loop: Header=BB527_4 Depth=1
	s_wait_xcnt 0x0
	s_or_b32 exec_lo, exec_lo, s37
.LBB527_3:                              ;   in Loop: Header=BB527_4 Depth=1
	s_add_co_i32 s34, s34, 0x10000
	s_delay_alu instid0(SALU_CYCLE_1)
	s_cmp_lt_i32 s34, s33
	s_cbranch_scc0 .LBB527_36
.LBB527_4:                              ; =>This Loop Header: Depth=1
                                        ;     Child Loop BB527_7 Depth 2
	v_dual_mov_b32 v51, 0 :: v_dual_mov_b32 v50, 0
	v_dual_mov_b32 v25, 0 :: v_dual_mov_b32 v24, 0
	;; [unrolled: 1-line block ×4, first 2 shown]
	s_and_not1_b32 vcc_lo, exec_lo, s5
	s_cbranch_vccnz .LBB527_13
; %bb.5:                                ;   in Loop: Header=BB527_4 Depth=1
	v_mad_nc_u64_u32 v[44:45], s12, s34, v[38:39]
	v_mad_nc_u64_u32 v[46:47], s24, s34, v[40:41]
	v_mov_b32_e32 v42, 0
	s_mov_b64 s[28:29], 0
	s_delay_alu instid0(VALU_DEP_1)
	v_dual_mov_b32 v43, v42 :: v_dual_mov_b32 v48, v42
	v_dual_mov_b32 v49, v42 :: v_dual_mov_b32 v24, v42
	v_mad_u32 v45, s13, s34, v45
	v_mad_u32 v47, s25, s34, v47
	v_dual_mov_b32 v25, v42 :: v_dual_mov_b32 v50, v42
	v_mov_b32_e32 v51, v42
	s_branch .LBB527_7
.LBB527_6:                              ;   in Loop: Header=BB527_7 Depth=2
	s_wait_xcnt 0x0
	s_or_b32 exec_lo, exec_lo, s37
	ds_store_b32 v53, v0 offset:4
	s_wait_dscnt 0x0
	s_barrier_signal -1
	s_barrier_wait -1
	ds_load_2addr_b64 v[56:59], v54 offset1:16
	ds_load_b128 v[60:63], v55
	ds_load_2addr_b64 v[20:23], v54 offset0:32 offset1:48
	ds_load_2addr_b64 v[16:19], v54 offset0:64 offset1:80
	ds_load_b128 v[64:67], v55 offset:16
	ds_load_2addr_b64 v[12:15], v54 offset0:96 offset1:112
	ds_load_2addr_b64 v[8:11], v54 offset0:128 offset1:144
	ds_load_b128 v[68:71], v55 offset:32
	ds_load_2addr_b64 v[4:7], v54 offset0:160 offset1:176
	ds_load_2addr_b64 v[0:3], v54 offset0:192 offset1:208
	s_add_nc_u64 s[28:29], s[28:29], 8
	v_add_nc_u64_e32 v[44:45], s[20:21], v[44:45]
	v_cmp_lt_i64_e64 s37, s[28:29], s[8:9]
	v_add_nc_u64_e32 v[46:47], 64, v[46:47]
	s_and_b32 vcc_lo, exec_lo, s37
	s_wait_dscnt 0x8
	v_pk_mul_f32 v[26:27], v[60:61], v[56:57] op_sel:[0,1]
	s_wait_dscnt 0x7
	v_pk_mul_f32 v[72:73], v[62:63], v[20:21] op_sel:[0,1]
	;; [unrolled: 2-line block ×4, first 2 shown]
	v_pk_fma_f32 v[78:79], v[60:61], v[56:57], v[26:27] op_sel:[0,0,1] op_sel_hi:[1,0,0]
	v_pk_fma_f32 v[82:83], v[62:63], v[20:21], v[72:73] op_sel:[0,0,1] op_sel_hi:[1,0,0]
	v_pk_fma_f32 v[26:27], v[60:61], v[56:57], v[26:27] op_sel:[0,0,1] op_sel_hi:[1,1,0] neg_lo:[0,0,1] neg_hi:[0,0,1]
	v_pk_fma_f32 v[72:73], v[62:63], v[20:21], v[72:73] op_sel:[0,0,1] op_sel_hi:[1,1,0] neg_lo:[0,0,1] neg_hi:[0,0,1]
	s_wait_dscnt 0x2
	v_pk_mul_f32 v[80:81], v[68:69], v[8:9] op_sel:[0,1]
	v_dual_mov_b32 v27, v79 :: v_dual_mov_b32 v73, v83
	v_pk_fma_f32 v[78:79], v[64:65], v[16:17], v[74:75] op_sel:[0,0,1] op_sel_hi:[1,0,0]
	v_pk_fma_f32 v[82:83], v[66:67], v[12:13], v[76:77] op_sel:[0,0,1] op_sel_hi:[1,0,0]
	v_pk_fma_f32 v[74:75], v[64:65], v[16:17], v[74:75] op_sel:[0,0,1] op_sel_hi:[1,1,0] neg_lo:[0,0,1] neg_hi:[0,0,1]
	v_pk_fma_f32 v[76:77], v[66:67], v[12:13], v[76:77] op_sel:[0,0,1] op_sel_hi:[1,1,0] neg_lo:[0,0,1] neg_hi:[0,0,1]
	v_pk_add_f32 v[26:27], v[50:51], v[26:27]
	s_delay_alu instid0(VALU_DEP_4)
	v_dual_mov_b32 v75, v79 :: v_dual_mov_b32 v77, v83
	v_pk_fma_f32 v[78:79], v[68:69], v[8:9], v[80:81] op_sel:[0,0,1] op_sel_hi:[1,0,0]
	v_pk_mul_f32 v[82:83], v[60:61], v[58:59] op_sel:[0,1]
	v_pk_fma_f32 v[80:81], v[68:69], v[8:9], v[80:81] op_sel:[0,0,1] op_sel_hi:[1,1,0] neg_lo:[0,0,1] neg_hi:[0,0,1]
	v_pk_mul_f32 v[50:51], v[62:63], v[22:23] op_sel:[0,1]
	v_pk_add_f32 v[26:27], v[26:27], v[72:73]
	v_mov_b32_e32 v81, v79
	v_pk_fma_f32 v[78:79], v[60:61], v[58:59], v[82:83] op_sel:[0,0,1] op_sel_hi:[1,1,0] neg_lo:[0,0,1] neg_hi:[0,0,1]
	v_pk_fma_f32 v[82:83], v[60:61], v[58:59], v[82:83] op_sel:[0,0,1] op_sel_hi:[1,0,0]
	v_pk_fma_f32 v[72:73], v[62:63], v[22:23], v[50:51] op_sel:[0,0,1] op_sel_hi:[1,1,0] neg_lo:[0,0,1] neg_hi:[0,0,1]
	v_pk_fma_f32 v[50:51], v[62:63], v[22:23], v[50:51] op_sel:[0,0,1] op_sel_hi:[1,0,0]
	ds_load_b128 v[60:63], v55 offset:48
	v_pk_add_f32 v[26:27], v[26:27], v[74:75]
	s_wait_dscnt 0x2
	v_pk_mul_f32 v[74:75], v[70:71], v[4:5] op_sel:[0,1]
	v_mov_b32_e32 v79, v83
	v_pk_mul_f32 v[82:83], v[64:65], v[18:19] op_sel:[0,1]
	v_mov_b32_e32 v73, v51
	v_pk_add_f32 v[76:77], v[26:27], v[76:77]
	v_pk_fma_f32 v[50:51], v[70:71], v[4:5], v[74:75] op_sel:[0,0,1] op_sel_hi:[1,0,0]
	v_pk_add_f32 v[78:79], v[24:25], v[78:79]
	v_pk_fma_f32 v[74:75], v[70:71], v[4:5], v[74:75] op_sel:[0,0,1] op_sel_hi:[1,1,0] neg_lo:[0,0,1] neg_hi:[0,0,1]
	ds_load_2addr_b64 v[24:27], v54 offset0:224 offset1:240
	v_mov_b32_e32 v75, v51
	v_pk_add_f32 v[50:51], v[76:77], v[80:81]
	v_pk_fma_f32 v[76:77], v[64:65], v[18:19], v[82:83] op_sel:[0,0,1] op_sel_hi:[1,0,0]
	v_pk_add_f32 v[72:73], v[78:79], v[72:73]
	v_pk_mul_f32 v[78:79], v[66:67], v[14:15] op_sel:[0,1]
	v_pk_fma_f32 v[64:65], v[64:65], v[18:19], v[82:83] op_sel:[0,0,1] op_sel_hi:[1,1,0] neg_lo:[0,0,1] neg_hi:[0,0,1]
	v_pk_add_f32 v[50:51], v[50:51], v[74:75]
	v_mov_b32_e32 v65, v77
	v_pk_mul_f32 v[82:83], v[68:69], v[10:11] op_sel:[0,1]
	v_pk_fma_f32 v[76:77], v[66:67], v[14:15], v[78:79] op_sel:[0,0,1] op_sel_hi:[1,0,0]
	v_pk_fma_f32 v[78:79], v[66:67], v[14:15], v[78:79] op_sel:[0,0,1] op_sel_hi:[1,1,0] neg_lo:[0,0,1] neg_hi:[0,0,1]
	s_delay_alu instid0(VALU_DEP_2)
	v_mov_b32_e32 v79, v77
	v_pk_add_f32 v[72:73], v[72:73], v[64:65]
	ds_load_b128 v[64:67], v55 offset:1024
	s_wait_dscnt 0x2
	v_pk_mul_f32 v[80:81], v[60:61], v[0:1] op_sel:[0,1]
	v_pk_add_f32 v[72:73], v[72:73], v[78:79]
	v_pk_mul_f32 v[78:79], v[70:71], v[6:7] op_sel:[0,1]
	s_delay_alu instid0(VALU_DEP_3) | instskip(SKIP_3) | instid1(VALU_DEP_3)
	v_pk_fma_f32 v[74:75], v[60:61], v[0:1], v[80:81] op_sel:[0,0,1] op_sel_hi:[1,0,0]
	v_pk_fma_f32 v[76:77], v[60:61], v[0:1], v[80:81] op_sel:[0,0,1] op_sel_hi:[1,1,0] neg_lo:[0,0,1] neg_hi:[0,0,1]
	s_wait_dscnt 0x1
	v_pk_mul_f32 v[80:81], v[62:63], v[24:25] op_sel:[0,1]
	v_mov_b32_e32 v77, v75
	v_pk_fma_f32 v[74:75], v[68:69], v[10:11], v[82:83] op_sel:[0,0,1] op_sel_hi:[1,0,0]
	v_pk_fma_f32 v[68:69], v[68:69], v[10:11], v[82:83] op_sel:[0,0,1] op_sel_hi:[1,1,0] neg_lo:[0,0,1] neg_hi:[0,0,1]
	s_delay_alu instid0(VALU_DEP_2)
	v_mov_b32_e32 v69, v75
	v_pk_fma_f32 v[74:75], v[62:63], v[24:25], v[80:81] op_sel:[0,0,1] op_sel_hi:[1,0,0]
	v_pk_fma_f32 v[80:81], v[62:63], v[24:25], v[80:81] op_sel:[0,0,1] op_sel_hi:[1,1,0] neg_lo:[0,0,1] neg_hi:[0,0,1]
	v_pk_add_f32 v[50:51], v[50:51], v[76:77]
	v_pk_fma_f32 v[76:77], v[70:71], v[6:7], v[78:79] op_sel:[0,0,1] op_sel_hi:[1,0,0]
	v_pk_add_f32 v[72:73], v[72:73], v[68:69]
	v_mov_b32_e32 v81, v75
	v_pk_fma_f32 v[74:75], v[70:71], v[6:7], v[78:79] op_sel:[0,0,1] op_sel_hi:[1,1,0] neg_lo:[0,0,1] neg_hi:[0,0,1]
	ds_load_b128 v[68:71], v55 offset:1040
	v_mov_b32_e32 v75, v77
	s_wait_dscnt 0x1
	v_pk_mul_f32 v[76:77], v[64:65], v[56:57] op_sel:[0,1]
	v_pk_mul_f32 v[78:79], v[60:61], v[2:3] op_sel:[0,1]
	v_pk_add_f32 v[50:51], v[50:51], v[80:81]
	v_pk_add_f32 v[72:73], v[72:73], v[74:75]
	s_delay_alu instid0(VALU_DEP_4) | instskip(NEXT) | instid1(VALU_DEP_4)
	v_pk_fma_f32 v[74:75], v[64:65], v[56:57], v[76:77] op_sel:[0,0,1] op_sel_hi:[1,0,0]
	v_pk_fma_f32 v[80:81], v[60:61], v[2:3], v[78:79] op_sel:[0,0,1] op_sel_hi:[1,1,0] neg_lo:[0,0,1] neg_hi:[0,0,1]
	v_pk_fma_f32 v[60:61], v[60:61], v[2:3], v[78:79] op_sel:[0,0,1] op_sel_hi:[1,0,0]
	v_pk_mul_f32 v[78:79], v[66:67], v[20:21] op_sel:[0,1]
	v_pk_fma_f32 v[56:57], v[64:65], v[56:57], v[76:77] op_sel:[0,0,1] op_sel_hi:[1,1,0] neg_lo:[0,0,1] neg_hi:[0,0,1]
	v_mov_b32_e32 v57, v75
	v_pk_mul_f32 v[74:75], v[62:63], v[26:27] op_sel:[0,1]
	v_mov_b32_e32 v81, v61
	v_pk_fma_f32 v[60:61], v[66:67], v[20:21], v[78:79] op_sel:[0,0,1] op_sel_hi:[1,0,0]
	v_pk_fma_f32 v[20:21], v[66:67], v[20:21], v[78:79] op_sel:[0,0,1] op_sel_hi:[1,1,0] neg_lo:[0,0,1] neg_hi:[0,0,1]
	v_pk_add_f32 v[48:49], v[48:49], v[56:57]
	v_pk_fma_f32 v[76:77], v[62:63], v[26:27], v[74:75] op_sel:[0,0,1] op_sel_hi:[1,1,0] neg_lo:[0,0,1] neg_hi:[0,0,1]
	v_pk_fma_f32 v[74:75], v[62:63], v[26:27], v[74:75] op_sel:[0,0,1] op_sel_hi:[1,0,0]
	v_mov_b32_e32 v21, v61
	ds_load_b128 v[60:63], v55 offset:1056
	s_wait_dscnt 0x1
	v_pk_mul_f32 v[56:57], v[68:69], v[16:17] op_sel:[0,1]
	v_mov_b32_e32 v77, v75
	v_pk_add_f32 v[20:21], v[48:49], v[20:21]
	s_delay_alu instid0(VALU_DEP_3) | instskip(SKIP_2) | instid1(VALU_DEP_3)
	v_pk_fma_f32 v[48:49], v[68:69], v[16:17], v[56:57] op_sel:[0,0,1] op_sel_hi:[1,0,0]
	v_pk_fma_f32 v[16:17], v[68:69], v[16:17], v[56:57] op_sel:[0,0,1] op_sel_hi:[1,1,0] neg_lo:[0,0,1] neg_hi:[0,0,1]
	v_pk_mul_f32 v[56:57], v[64:65], v[58:59] op_sel:[0,1]
	v_mov_b32_e32 v17, v49
	v_pk_mul_f32 v[48:49], v[70:71], v[12:13] op_sel:[0,1]
	s_delay_alu instid0(VALU_DEP_2) | instskip(NEXT) | instid1(VALU_DEP_2)
	v_pk_add_f32 v[16:17], v[20:21], v[16:17]
	v_pk_fma_f32 v[20:21], v[70:71], v[12:13], v[48:49] op_sel:[0,0,1] op_sel_hi:[1,0,0]
	v_pk_fma_f32 v[12:13], v[70:71], v[12:13], v[48:49] op_sel:[0,0,1] op_sel_hi:[1,1,0] neg_lo:[0,0,1] neg_hi:[0,0,1]
	v_pk_add_f32 v[48:49], v[72:73], v[80:81]
	s_delay_alu instid0(VALU_DEP_3) | instskip(SKIP_2) | instid1(VALU_DEP_2)
	v_mov_b32_e32 v13, v21
	s_wait_dscnt 0x0
	v_pk_mul_f32 v[20:21], v[60:61], v[8:9] op_sel:[0,1]
	v_pk_add_f32 v[12:13], v[16:17], v[12:13]
	s_delay_alu instid0(VALU_DEP_2) | instskip(SKIP_2) | instid1(VALU_DEP_3)
	v_pk_fma_f32 v[16:17], v[60:61], v[8:9], v[20:21] op_sel:[0,0,1] op_sel_hi:[1,0,0]
	v_pk_fma_f32 v[8:9], v[60:61], v[8:9], v[20:21] op_sel:[0,0,1] op_sel_hi:[1,1,0] neg_lo:[0,0,1] neg_hi:[0,0,1]
	v_pk_fma_f32 v[20:21], v[64:65], v[58:59], v[56:57] op_sel:[0,0,1] op_sel_hi:[1,1,0] neg_lo:[0,0,1] neg_hi:[0,0,1]
	v_mov_b32_e32 v9, v17
	v_pk_fma_f32 v[16:17], v[64:65], v[58:59], v[56:57] op_sel:[0,0,1] op_sel_hi:[1,0,0]
	ds_load_b128 v[56:59], v55 offset:1072
	s_wait_dscnt 0x0
	s_barrier_signal -1
	v_pk_add_f32 v[8:9], v[12:13], v[8:9]
	v_mov_b32_e32 v21, v17
	v_pk_mul_f32 v[16:17], v[66:67], v[22:23] op_sel:[0,1]
	v_pk_mul_f32 v[12:13], v[62:63], v[4:5] op_sel:[0,1]
	s_barrier_wait -1
	s_delay_alu instid0(VALU_DEP_3) | instskip(NEXT) | instid1(VALU_DEP_3)
	v_pk_add_f32 v[20:21], v[42:43], v[20:21]
	v_pk_fma_f32 v[64:65], v[66:67], v[22:23], v[16:17] op_sel:[0,0,1] op_sel_hi:[1,0,0]
	v_pk_mul_f32 v[42:43], v[68:69], v[18:19] op_sel:[0,1]
	v_pk_fma_f32 v[16:17], v[66:67], v[22:23], v[16:17] op_sel:[0,0,1] op_sel_hi:[1,1,0] neg_lo:[0,0,1] neg_hi:[0,0,1]
	v_pk_fma_f32 v[22:23], v[62:63], v[4:5], v[12:13] op_sel:[0,0,1] op_sel_hi:[1,1,0] neg_lo:[0,0,1] neg_hi:[0,0,1]
	v_pk_fma_f32 v[4:5], v[62:63], v[4:5], v[12:13] op_sel:[0,0,1] op_sel_hi:[1,0,0]
	v_mov_b32_e32 v17, v65
	v_pk_fma_f32 v[64:65], v[68:69], v[18:19], v[42:43] op_sel:[0,0,1] op_sel_hi:[1,0,0]
	v_pk_mul_f32 v[12:13], v[70:71], v[14:15] op_sel:[0,1]
	v_pk_fma_f32 v[18:19], v[68:69], v[18:19], v[42:43] op_sel:[0,0,1] op_sel_hi:[1,1,0] neg_lo:[0,0,1] neg_hi:[0,0,1]
	v_mov_b32_e32 v23, v5
	v_pk_mul_f32 v[42:43], v[60:61], v[10:11] op_sel:[0,1]
	v_mov_b32_e32 v19, v65
	v_pk_add_f32 v[16:17], v[20:21], v[16:17]
	v_pk_fma_f32 v[4:5], v[70:71], v[14:15], v[12:13] op_sel:[0,0,1] op_sel_hi:[1,0,0]
	v_pk_fma_f32 v[12:13], v[70:71], v[14:15], v[12:13] op_sel:[0,0,1] op_sel_hi:[1,1,0] neg_lo:[0,0,1] neg_hi:[0,0,1]
	v_pk_mul_f32 v[20:21], v[56:57], v[0:1] op_sel:[0,1]
	s_delay_alu instid0(VALU_DEP_4) | instskip(NEXT) | instid1(VALU_DEP_4)
	v_pk_add_f32 v[16:17], v[16:17], v[18:19]
	v_mov_b32_e32 v13, v5
	v_pk_add_f32 v[4:5], v[8:9], v[22:23]
	v_pk_fma_f32 v[8:9], v[60:61], v[10:11], v[42:43] op_sel:[0,0,1] op_sel_hi:[1,0,0]
	v_pk_mul_f32 v[18:19], v[62:63], v[6:7] op_sel:[0,1]
	v_pk_fma_f32 v[10:11], v[60:61], v[10:11], v[42:43] op_sel:[0,0,1] op_sel_hi:[1,1,0] neg_lo:[0,0,1] neg_hi:[0,0,1]
	v_pk_fma_f32 v[14:15], v[56:57], v[0:1], v[20:21] op_sel:[0,0,1] op_sel_hi:[1,1,0] neg_lo:[0,0,1] neg_hi:[0,0,1]
	v_pk_add_f32 v[12:13], v[16:17], v[12:13]
	v_mov_b32_e32 v11, v9
	v_pk_fma_f32 v[0:1], v[56:57], v[0:1], v[20:21] op_sel:[0,0,1] op_sel_hi:[1,0,0]
	v_pk_fma_f32 v[8:9], v[62:63], v[6:7], v[18:19] op_sel:[0,0,1] op_sel_hi:[1,0,0]
	v_pk_mul_f32 v[20:21], v[56:57], v[2:3] op_sel:[0,1]
	v_pk_fma_f32 v[6:7], v[62:63], v[6:7], v[18:19] op_sel:[0,0,1] op_sel_hi:[1,1,0] neg_lo:[0,0,1] neg_hi:[0,0,1]
	v_pk_mul_f32 v[16:17], v[58:59], v[24:25] op_sel:[0,1]
	s_delay_alu instid0(VALU_DEP_4)
	v_dual_mov_b32 v15, v1 :: v_dual_mov_b32 v7, v9
	v_pk_add_f32 v[10:11], v[12:13], v[10:11]
	v_pk_fma_f32 v[0:1], v[56:57], v[2:3], v[20:21] op_sel:[0,0,1] op_sel_hi:[1,0,0]
	v_pk_mul_f32 v[12:13], v[58:59], v[26:27] op_sel:[0,1]
	v_pk_fma_f32 v[2:3], v[56:57], v[2:3], v[20:21] op_sel:[0,0,1] op_sel_hi:[1,1,0] neg_lo:[0,0,1] neg_hi:[0,0,1]
	v_pk_fma_f32 v[8:9], v[58:59], v[24:25], v[16:17] op_sel:[0,0,1] op_sel_hi:[1,0,0]
	v_pk_add_f32 v[6:7], v[10:11], v[6:7]
	v_mov_b32_e32 v3, v1
	v_pk_add_f32 v[0:1], v[4:5], v[14:15]
	v_pk_fma_f32 v[4:5], v[58:59], v[26:27], v[12:13] op_sel:[0,0,1] op_sel_hi:[1,0,0]
	v_pk_fma_f32 v[10:11], v[58:59], v[24:25], v[16:17] op_sel:[0,0,1] op_sel_hi:[1,1,0] neg_lo:[0,0,1] neg_hi:[0,0,1]
	v_mov_b32_e32 v11, v9
	v_pk_add_f32 v[2:3], v[6:7], v[2:3]
	v_pk_fma_f32 v[6:7], v[58:59], v[26:27], v[12:13] op_sel:[0,0,1] op_sel_hi:[1,1,0] neg_lo:[0,0,1] neg_hi:[0,0,1]
	v_mov_b32_e32 v7, v5
	v_pk_add_f32 v[24:25], v[48:49], v[76:77]
	v_pk_add_f32 v[48:49], v[0:1], v[10:11]
	s_delay_alu instid0(VALU_DEP_3)
	v_pk_add_f32 v[42:43], v[2:3], v[6:7]
	s_cbranch_vccz .LBB527_13
.LBB527_7:                              ;   Parent Loop BB527_4 Depth=1
                                        ; =>  This Inner Loop Header: Depth=2
	v_add_nc_u64_e32 v[0:1], s[28:29], v[28:29]
	s_delay_alu instid0(VALU_DEP_1) | instskip(SKIP_2) | instid1(SALU_CYCLE_1)
	v_cmp_gt_i64_e32 vcc_lo, s[8:9], v[0:1]
	v_dual_mov_b32 v0, 0 :: v_dual_mov_b32 v1, 0
	s_and_b32 s38, s0, vcc_lo
	s_and_saveexec_b32 s37, s38
	s_cbranch_execz .LBB527_9
; %bb.8:                                ;   in Loop: Header=BB527_7 Depth=2
	global_load_b64 v[0:1], v[46:47], off
.LBB527_9:                              ;   in Loop: Header=BB527_7 Depth=2
	s_wait_xcnt 0x0
	s_or_b32 exec_lo, exec_lo, s37
	v_add_nc_u64_e32 v[2:3], s[28:29], v[30:31]
	s_wait_loadcnt 0x0
	ds_store_b64 v52, v[0:1]
	v_cmp_le_i64_e32 vcc_lo, s[8:9], v[2:3]
	s_or_b32 s37, vcc_lo, s36
	s_delay_alu instid0(SALU_CYCLE_1) | instskip(NEXT) | instid1(SALU_CYCLE_1)
	s_and_saveexec_b32 s38, s37
	s_xor_b32 s37, exec_lo, s38
; %bb.10:                               ;   in Loop: Header=BB527_7 Depth=2
	ds_store_b32 v53, v29
; %bb.11:                               ;   in Loop: Header=BB527_7 Depth=2
	s_or_saveexec_b32 s37, s37
	v_mov_b32_e32 v0, 0
	s_xor_b32 exec_lo, exec_lo, s37
	s_cbranch_execz .LBB527_6
; %bb.12:                               ;   in Loop: Header=BB527_7 Depth=2
	global_load_b64 v[2:3], v[44:45], off offset:-4
	s_wait_loadcnt 0x0
	v_xor_b32_e32 v0, 0x80000000, v3
	ds_store_b32 v53, v2
	s_branch .LBB527_6
.LBB527_13:                             ;   in Loop: Header=BB527_4 Depth=1
	s_mul_u64 s[28:29], s[30:31], s[34:35]
	s_and_not1_b32 vcc_lo, exec_lo, s42
	s_lshl_b64 s[28:29], s[28:29], 3
	s_mov_b32 s37, -1
	s_add_nc_u64 s[28:29], s[18:19], s[28:29]
	s_cbranch_vccz .LBB527_15
; %bb.14:                               ;   in Loop: Header=BB527_4 Depth=1
	s_and_not1_b32 vcc_lo, exec_lo, s37
	s_cbranch_vccnz .LBB527_3
	s_branch .LBB527_26
.LBB527_15:                             ;   in Loop: Header=BB527_4 Depth=1
	s_and_saveexec_b32 s37, s1
	s_cbranch_execz .LBB527_25
; %bb.16:                               ;   in Loop: Header=BB527_4 Depth=1
	v_lshl_add_u64 v[0:1], v[34:35], 3, s[28:29]
	s_delay_alu instid0(VALU_DEP_1)
	v_lshl_add_u64 v[2:3], v[32:33], 3, v[0:1]
	s_and_saveexec_b32 s38, s2
	s_cbranch_execnz .LBB527_19
; %bb.17:                               ;   in Loop: Header=BB527_4 Depth=1
	s_or_b32 exec_lo, exec_lo, s38
	s_and_saveexec_b32 s38, s3
	s_cbranch_execnz .LBB527_20
.LBB527_18:                             ;   in Loop: Header=BB527_4 Depth=1
	s_or_b32 exec_lo, exec_lo, s38
	s_delay_alu instid0(SALU_CYCLE_1)
	s_and_b32 exec_lo, exec_lo, s4
	s_cbranch_execnz .LBB527_21
	s_branch .LBB527_25
.LBB527_19:                             ;   in Loop: Header=BB527_4 Depth=1
	v_mov_b64_e32 v[4:5], s[22:23]
	v_mov_b64_e32 v[6:7], s[10:11]
	s_delay_alu instid0(VALU_DEP_2) | instskip(NEXT) | instid1(VALU_DEP_1)
	v_pk_mul_f32 v[4:5], v[50:51], v[4:5] op_sel:[1,0] op_sel_hi:[0,1]
	v_pk_fma_f32 v[8:9], v[50:51], v[6:7], v[4:5]
	v_pk_fma_f32 v[4:5], v[50:51], v[6:7], v[4:5] neg_lo:[0,0,1] neg_hi:[0,0,1]
	s_delay_alu instid0(VALU_DEP_2)
	v_mov_b32_e32 v5, v9
	global_store_b64 v[2:3], v[4:5], off
	s_wait_xcnt 0x0
	s_or_b32 exec_lo, exec_lo, s38
	s_and_saveexec_b32 s38, s3
	s_cbranch_execz .LBB527_18
.LBB527_20:                             ;   in Loop: Header=BB527_4 Depth=1
	v_mov_b64_e32 v[4:5], s[22:23]
	v_mov_b64_e32 v[6:7], s[10:11]
	s_delay_alu instid0(VALU_DEP_2) | instskip(NEXT) | instid1(VALU_DEP_1)
	v_pk_mul_f32 v[4:5], v[24:25], v[4:5] op_sel:[1,0] op_sel_hi:[0,1]
	v_pk_fma_f32 v[8:9], v[24:25], v[6:7], v[4:5]
	v_pk_fma_f32 v[4:5], v[24:25], v[6:7], v[4:5] neg_lo:[0,0,1] neg_hi:[0,0,1]
	s_delay_alu instid0(VALU_DEP_2) | instskip(SKIP_3) | instid1(SALU_CYCLE_1)
	v_mov_b32_e32 v5, v9
	global_store_b64 v[2:3], v[4:5], off offset:128
	s_wait_xcnt 0x0
	s_or_b32 exec_lo, exec_lo, s38
	s_and_b32 exec_lo, exec_lo, s4
	s_cbranch_execz .LBB527_25
.LBB527_21:                             ;   in Loop: Header=BB527_4 Depth=1
	v_lshl_add_u64 v[0:1], s[6:7], 3, v[0:1]
	s_delay_alu instid0(VALU_DEP_1)
	v_lshl_add_u64 v[0:1], v[32:33], 3, v[0:1]
	s_and_saveexec_b32 s38, s2
	s_cbranch_execz .LBB527_23
; %bb.22:                               ;   in Loop: Header=BB527_4 Depth=1
	v_mov_b64_e32 v[2:3], s[22:23]
	v_mov_b64_e32 v[4:5], s[10:11]
	s_delay_alu instid0(VALU_DEP_2) | instskip(NEXT) | instid1(VALU_DEP_1)
	v_pk_mul_f32 v[2:3], v[48:49], v[2:3] op_sel:[1,0] op_sel_hi:[0,1]
	v_pk_fma_f32 v[6:7], v[48:49], v[4:5], v[2:3]
	v_pk_fma_f32 v[2:3], v[48:49], v[4:5], v[2:3] neg_lo:[0,0,1] neg_hi:[0,0,1]
	s_delay_alu instid0(VALU_DEP_2)
	v_mov_b32_e32 v3, v7
	global_store_b64 v[0:1], v[2:3], off
.LBB527_23:                             ;   in Loop: Header=BB527_4 Depth=1
	s_wait_xcnt 0x0
	s_or_b32 exec_lo, exec_lo, s38
	s_delay_alu instid0(SALU_CYCLE_1)
	s_and_b32 exec_lo, exec_lo, s3
	s_cbranch_execz .LBB527_25
; %bb.24:                               ;   in Loop: Header=BB527_4 Depth=1
	v_mov_b64_e32 v[2:3], s[22:23]
	v_mov_b64_e32 v[4:5], s[10:11]
	s_delay_alu instid0(VALU_DEP_2) | instskip(NEXT) | instid1(VALU_DEP_1)
	v_pk_mul_f32 v[2:3], v[42:43], v[2:3] op_sel:[1,0] op_sel_hi:[0,1]
	v_pk_fma_f32 v[6:7], v[42:43], v[4:5], v[2:3]
	v_pk_fma_f32 v[2:3], v[42:43], v[4:5], v[2:3] neg_lo:[0,0,1] neg_hi:[0,0,1]
	s_delay_alu instid0(VALU_DEP_2)
	v_mov_b32_e32 v3, v7
	global_store_b64 v[0:1], v[2:3], off offset:128
.LBB527_25:                             ;   in Loop: Header=BB527_4 Depth=1
	s_wait_xcnt 0x0
	s_or_b32 exec_lo, exec_lo, s37
	s_cbranch_execnz .LBB527_3
.LBB527_26:                             ;   in Loop: Header=BB527_4 Depth=1
	s_and_saveexec_b32 s37, s1
	s_cbranch_execz .LBB527_2
; %bb.27:                               ;   in Loop: Header=BB527_4 Depth=1
	s_mul_u64 s[38:39], s[16:17], s[34:35]
	v_lshlrev_b64_e32 v[0:1], 3, v[32:33]
	v_lshl_add_u64 v[2:3], s[38:39], 3, v[36:37]
	v_lshl_add_u64 v[4:5], v[34:35], 3, s[28:29]
	s_delay_alu instid0(VALU_DEP_2) | instskip(NEXT) | instid1(VALU_DEP_2)
	v_add_nc_u64_e32 v[8:9], v[2:3], v[0:1]
	v_add_nc_u64_e32 v[6:7], v[4:5], v[0:1]
	s_and_saveexec_b32 s28, s2
	s_cbranch_execnz .LBB527_30
; %bb.28:                               ;   in Loop: Header=BB527_4 Depth=1
	s_or_b32 exec_lo, exec_lo, s28
	s_and_saveexec_b32 s28, s3
	s_cbranch_execnz .LBB527_31
.LBB527_29:                             ;   in Loop: Header=BB527_4 Depth=1
	s_or_b32 exec_lo, exec_lo, s28
	s_delay_alu instid0(SALU_CYCLE_1)
	s_and_b32 exec_lo, exec_lo, s4
	s_cbranch_execz .LBB527_2
	s_branch .LBB527_32
.LBB527_30:                             ;   in Loop: Header=BB527_4 Depth=1
	global_load_b64 v[10:11], v[8:9], off
	v_mov_b64_e32 v[12:13], s[22:23]
	v_mov_b64_e32 v[14:15], s[26:27]
	;; [unrolled: 1-line block ×4, first 2 shown]
	s_delay_alu instid0(VALU_DEP_4) | instskip(NEXT) | instid1(VALU_DEP_1)
	v_pk_mul_f32 v[12:13], v[50:51], v[12:13] op_sel:[1,0] op_sel_hi:[0,1]
	v_pk_fma_f32 v[20:21], v[50:51], v[16:17], v[12:13]
	v_pk_fma_f32 v[12:13], v[50:51], v[16:17], v[12:13] neg_lo:[0,0,1] neg_hi:[0,0,1]
	s_wait_loadcnt 0x0
	v_pk_mul_f32 v[14:15], v[10:11], v[14:15] op_sel:[1,0] op_sel_hi:[0,1]
	s_delay_alu instid0(VALU_DEP_1) | instskip(SKIP_1) | instid1(VALU_DEP_2)
	v_pk_fma_f32 v[22:23], v[10:11], v[18:19], v[14:15]
	v_pk_fma_f32 v[10:11], v[10:11], v[18:19], v[14:15] neg_lo:[0,0,1] neg_hi:[0,0,1]
	v_dual_mov_b32 v13, v21 :: v_dual_mov_b32 v11, v23
	s_delay_alu instid0(VALU_DEP_1)
	v_pk_add_f32 v[10:11], v[12:13], v[10:11]
	global_store_b64 v[6:7], v[10:11], off
	s_wait_xcnt 0x0
	s_or_b32 exec_lo, exec_lo, s28
	s_and_saveexec_b32 s28, s3
	s_cbranch_execz .LBB527_29
.LBB527_31:                             ;   in Loop: Header=BB527_4 Depth=1
	global_load_b64 v[8:9], v[8:9], off offset:128
	v_mov_b64_e32 v[10:11], s[22:23]
	v_mov_b64_e32 v[12:13], s[26:27]
	;; [unrolled: 1-line block ×4, first 2 shown]
	s_delay_alu instid0(VALU_DEP_4) | instskip(NEXT) | instid1(VALU_DEP_1)
	v_pk_mul_f32 v[10:11], v[24:25], v[10:11] op_sel:[1,0] op_sel_hi:[0,1]
	v_pk_fma_f32 v[18:19], v[24:25], v[14:15], v[10:11]
	v_pk_fma_f32 v[10:11], v[24:25], v[14:15], v[10:11] neg_lo:[0,0,1] neg_hi:[0,0,1]
	s_wait_loadcnt 0x0
	v_pk_mul_f32 v[12:13], v[8:9], v[12:13] op_sel:[1,0] op_sel_hi:[0,1]
	s_delay_alu instid0(VALU_DEP_1) | instskip(SKIP_2) | instid1(VALU_DEP_2)
	v_pk_fma_f32 v[20:21], v[8:9], v[16:17], v[12:13]
	s_wait_xcnt 0x0
	v_pk_fma_f32 v[8:9], v[8:9], v[16:17], v[12:13] neg_lo:[0,0,1] neg_hi:[0,0,1]
	v_dual_mov_b32 v11, v19 :: v_dual_mov_b32 v9, v21
	s_delay_alu instid0(VALU_DEP_1) | instskip(SKIP_3) | instid1(SALU_CYCLE_1)
	v_pk_add_f32 v[8:9], v[10:11], v[8:9]
	global_store_b64 v[6:7], v[8:9], off offset:128
	s_wait_xcnt 0x0
	s_or_b32 exec_lo, exec_lo, s28
	s_and_b32 exec_lo, exec_lo, s4
	s_cbranch_execz .LBB527_2
.LBB527_32:                             ;   in Loop: Header=BB527_4 Depth=1
	v_lshl_add_u64 v[2:3], s[14:15], 3, v[2:3]
	v_lshl_add_u64 v[4:5], s[6:7], 3, v[4:5]
	s_delay_alu instid0(VALU_DEP_2) | instskip(NEXT) | instid1(VALU_DEP_2)
	v_add_nc_u64_e32 v[2:3], v[2:3], v[0:1]
	v_add_nc_u64_e32 v[0:1], v[4:5], v[0:1]
	s_and_saveexec_b32 s28, s2
	s_cbranch_execz .LBB527_34
; %bb.33:                               ;   in Loop: Header=BB527_4 Depth=1
	global_load_b64 v[4:5], v[2:3], off
	v_mov_b64_e32 v[6:7], s[22:23]
	v_mov_b64_e32 v[8:9], s[26:27]
	;; [unrolled: 1-line block ×4, first 2 shown]
	s_delay_alu instid0(VALU_DEP_4) | instskip(NEXT) | instid1(VALU_DEP_1)
	v_pk_mul_f32 v[6:7], v[48:49], v[6:7] op_sel:[1,0] op_sel_hi:[0,1]
	v_pk_fma_f32 v[14:15], v[48:49], v[10:11], v[6:7]
	v_pk_fma_f32 v[6:7], v[48:49], v[10:11], v[6:7] neg_lo:[0,0,1] neg_hi:[0,0,1]
	s_wait_loadcnt 0x0
	v_pk_mul_f32 v[8:9], v[4:5], v[8:9] op_sel:[1,0] op_sel_hi:[0,1]
	s_delay_alu instid0(VALU_DEP_1) | instskip(SKIP_1) | instid1(VALU_DEP_2)
	v_pk_fma_f32 v[16:17], v[4:5], v[12:13], v[8:9]
	v_pk_fma_f32 v[4:5], v[4:5], v[12:13], v[8:9] neg_lo:[0,0,1] neg_hi:[0,0,1]
	v_dual_mov_b32 v7, v15 :: v_dual_mov_b32 v5, v17
	s_delay_alu instid0(VALU_DEP_1)
	v_pk_add_f32 v[4:5], v[6:7], v[4:5]
	global_store_b64 v[0:1], v[4:5], off
.LBB527_34:                             ;   in Loop: Header=BB527_4 Depth=1
	s_wait_xcnt 0x0
	s_or_b32 exec_lo, exec_lo, s28
	s_delay_alu instid0(SALU_CYCLE_1)
	s_and_b32 exec_lo, exec_lo, s3
	s_cbranch_execz .LBB527_2
; %bb.35:                               ;   in Loop: Header=BB527_4 Depth=1
	global_load_b64 v[2:3], v[2:3], off offset:128
	v_mov_b64_e32 v[4:5], s[22:23]
	v_mov_b64_e32 v[6:7], s[26:27]
	;; [unrolled: 1-line block ×4, first 2 shown]
	s_delay_alu instid0(VALU_DEP_4) | instskip(NEXT) | instid1(VALU_DEP_1)
	v_pk_mul_f32 v[4:5], v[42:43], v[4:5] op_sel:[1,0] op_sel_hi:[0,1]
	v_pk_fma_f32 v[12:13], v[42:43], v[8:9], v[4:5]
	v_pk_fma_f32 v[4:5], v[42:43], v[8:9], v[4:5] neg_lo:[0,0,1] neg_hi:[0,0,1]
	s_wait_loadcnt 0x0
	v_pk_mul_f32 v[6:7], v[2:3], v[6:7] op_sel:[1,0] op_sel_hi:[0,1]
	s_delay_alu instid0(VALU_DEP_1) | instskip(SKIP_2) | instid1(VALU_DEP_2)
	v_pk_fma_f32 v[14:15], v[2:3], v[10:11], v[6:7]
	s_wait_xcnt 0x0
	v_pk_fma_f32 v[2:3], v[2:3], v[10:11], v[6:7] neg_lo:[0,0,1] neg_hi:[0,0,1]
	v_dual_mov_b32 v5, v13 :: v_dual_mov_b32 v3, v15
	s_delay_alu instid0(VALU_DEP_1)
	v_pk_add_f32 v[2:3], v[4:5], v[2:3]
	global_store_b64 v[0:1], v[2:3], off offset:128
	s_branch .LBB527_2
.LBB527_36:
	s_sendmsg sendmsg(MSG_DEALLOC_VGPRS)
	s_endpgm
	.section	.rodata,"a",@progbits
	.p2align	6, 0x0
	.amdhsa_kernel _ZN12_GLOBAL__N_135rocblas_gemm_batched_general_kernelI19rocblas_complex_numIfELi16ELi16ELi32ELi32ELi8ELi32ELi8ELi8ELi32ELc84ELc67EKS2_S3_S2_EEvlllT_PT11_llS6_llS4_PT12_llPT13_lli
		.amdhsa_group_segment_fixed_size 4096
		.amdhsa_private_segment_fixed_size 0
		.amdhsa_kernarg_size 140
		.amdhsa_user_sgpr_count 2
		.amdhsa_user_sgpr_dispatch_ptr 0
		.amdhsa_user_sgpr_queue_ptr 0
		.amdhsa_user_sgpr_kernarg_segment_ptr 1
		.amdhsa_user_sgpr_dispatch_id 0
		.amdhsa_user_sgpr_kernarg_preload_length 0
		.amdhsa_user_sgpr_kernarg_preload_offset 0
		.amdhsa_user_sgpr_private_segment_size 0
		.amdhsa_wavefront_size32 1
		.amdhsa_uses_dynamic_stack 0
		.amdhsa_enable_private_segment 0
		.amdhsa_system_sgpr_workgroup_id_x 1
		.amdhsa_system_sgpr_workgroup_id_y 1
		.amdhsa_system_sgpr_workgroup_id_z 1
		.amdhsa_system_sgpr_workgroup_info 0
		.amdhsa_system_vgpr_workitem_id 1
		.amdhsa_next_free_vgpr 84
		.amdhsa_next_free_sgpr 45
		.amdhsa_named_barrier_count 0
		.amdhsa_reserve_vcc 1
		.amdhsa_float_round_mode_32 0
		.amdhsa_float_round_mode_16_64 0
		.amdhsa_float_denorm_mode_32 3
		.amdhsa_float_denorm_mode_16_64 3
		.amdhsa_fp16_overflow 0
		.amdhsa_memory_ordered 1
		.amdhsa_forward_progress 1
		.amdhsa_inst_pref_size 27
		.amdhsa_round_robin_scheduling 0
		.amdhsa_exception_fp_ieee_invalid_op 0
		.amdhsa_exception_fp_denorm_src 0
		.amdhsa_exception_fp_ieee_div_zero 0
		.amdhsa_exception_fp_ieee_overflow 0
		.amdhsa_exception_fp_ieee_underflow 0
		.amdhsa_exception_fp_ieee_inexact 0
		.amdhsa_exception_int_div_zero 0
	.end_amdhsa_kernel
	.section	.text._ZN12_GLOBAL__N_135rocblas_gemm_batched_general_kernelI19rocblas_complex_numIfELi16ELi16ELi32ELi32ELi8ELi32ELi8ELi8ELi32ELc84ELc67EKS2_S3_S2_EEvlllT_PT11_llS6_llS4_PT12_llPT13_lli,"axG",@progbits,_ZN12_GLOBAL__N_135rocblas_gemm_batched_general_kernelI19rocblas_complex_numIfELi16ELi16ELi32ELi32ELi8ELi32ELi8ELi8ELi32ELc84ELc67EKS2_S3_S2_EEvlllT_PT11_llS6_llS4_PT12_llPT13_lli,comdat
.Lfunc_end527:
	.size	_ZN12_GLOBAL__N_135rocblas_gemm_batched_general_kernelI19rocblas_complex_numIfELi16ELi16ELi32ELi32ELi8ELi32ELi8ELi8ELi32ELc84ELc67EKS2_S3_S2_EEvlllT_PT11_llS6_llS4_PT12_llPT13_lli, .Lfunc_end527-_ZN12_GLOBAL__N_135rocblas_gemm_batched_general_kernelI19rocblas_complex_numIfELi16ELi16ELi32ELi32ELi8ELi32ELi8ELi8ELi32ELc84ELc67EKS2_S3_S2_EEvlllT_PT11_llS6_llS4_PT12_llPT13_lli
                                        ; -- End function
	.set _ZN12_GLOBAL__N_135rocblas_gemm_batched_general_kernelI19rocblas_complex_numIfELi16ELi16ELi32ELi32ELi8ELi32ELi8ELi8ELi32ELc84ELc67EKS2_S3_S2_EEvlllT_PT11_llS6_llS4_PT12_llPT13_lli.num_vgpr, 84
	.set _ZN12_GLOBAL__N_135rocblas_gemm_batched_general_kernelI19rocblas_complex_numIfELi16ELi16ELi32ELi32ELi8ELi32ELi8ELi8ELi32ELc84ELc67EKS2_S3_S2_EEvlllT_PT11_llS6_llS4_PT12_llPT13_lli.num_agpr, 0
	.set _ZN12_GLOBAL__N_135rocblas_gemm_batched_general_kernelI19rocblas_complex_numIfELi16ELi16ELi32ELi32ELi8ELi32ELi8ELi8ELi32ELc84ELc67EKS2_S3_S2_EEvlllT_PT11_llS6_llS4_PT12_llPT13_lli.numbered_sgpr, 45
	.set _ZN12_GLOBAL__N_135rocblas_gemm_batched_general_kernelI19rocblas_complex_numIfELi16ELi16ELi32ELi32ELi8ELi32ELi8ELi8ELi32ELc84ELc67EKS2_S3_S2_EEvlllT_PT11_llS6_llS4_PT12_llPT13_lli.num_named_barrier, 0
	.set _ZN12_GLOBAL__N_135rocblas_gemm_batched_general_kernelI19rocblas_complex_numIfELi16ELi16ELi32ELi32ELi8ELi32ELi8ELi8ELi32ELc84ELc67EKS2_S3_S2_EEvlllT_PT11_llS6_llS4_PT12_llPT13_lli.private_seg_size, 0
	.set _ZN12_GLOBAL__N_135rocblas_gemm_batched_general_kernelI19rocblas_complex_numIfELi16ELi16ELi32ELi32ELi8ELi32ELi8ELi8ELi32ELc84ELc67EKS2_S3_S2_EEvlllT_PT11_llS6_llS4_PT12_llPT13_lli.uses_vcc, 1
	.set _ZN12_GLOBAL__N_135rocblas_gemm_batched_general_kernelI19rocblas_complex_numIfELi16ELi16ELi32ELi32ELi8ELi32ELi8ELi8ELi32ELc84ELc67EKS2_S3_S2_EEvlllT_PT11_llS6_llS4_PT12_llPT13_lli.uses_flat_scratch, 0
	.set _ZN12_GLOBAL__N_135rocblas_gemm_batched_general_kernelI19rocblas_complex_numIfELi16ELi16ELi32ELi32ELi8ELi32ELi8ELi8ELi32ELc84ELc67EKS2_S3_S2_EEvlllT_PT11_llS6_llS4_PT12_llPT13_lli.has_dyn_sized_stack, 0
	.set _ZN12_GLOBAL__N_135rocblas_gemm_batched_general_kernelI19rocblas_complex_numIfELi16ELi16ELi32ELi32ELi8ELi32ELi8ELi8ELi32ELc84ELc67EKS2_S3_S2_EEvlllT_PT11_llS6_llS4_PT12_llPT13_lli.has_recursion, 0
	.set _ZN12_GLOBAL__N_135rocblas_gemm_batched_general_kernelI19rocblas_complex_numIfELi16ELi16ELi32ELi32ELi8ELi32ELi8ELi8ELi32ELc84ELc67EKS2_S3_S2_EEvlllT_PT11_llS6_llS4_PT12_llPT13_lli.has_indirect_call, 0
	.section	.AMDGPU.csdata,"",@progbits
; Kernel info:
; codeLenInByte = 3440
; TotalNumSgprs: 47
; NumVgprs: 84
; ScratchSize: 0
; MemoryBound: 0
; FloatMode: 240
; IeeeMode: 1
; LDSByteSize: 4096 bytes/workgroup (compile time only)
; SGPRBlocks: 0
; VGPRBlocks: 5
; NumSGPRsForWavesPerEU: 47
; NumVGPRsForWavesPerEU: 84
; NamedBarCnt: 0
; Occupancy: 10
; WaveLimiterHint : 0
; COMPUTE_PGM_RSRC2:SCRATCH_EN: 0
; COMPUTE_PGM_RSRC2:USER_SGPR: 2
; COMPUTE_PGM_RSRC2:TRAP_HANDLER: 0
; COMPUTE_PGM_RSRC2:TGID_X_EN: 1
; COMPUTE_PGM_RSRC2:TGID_Y_EN: 1
; COMPUTE_PGM_RSRC2:TGID_Z_EN: 1
; COMPUTE_PGM_RSRC2:TIDIG_COMP_CNT: 1
	.section	.text._ZN12_GLOBAL__N_120gemm_ex_scale_kernelILi32ELi32E19rocblas_complex_numIdEPKS2_PS2_EEviiT1_T2_lllT3_llli,"axG",@progbits,_ZN12_GLOBAL__N_120gemm_ex_scale_kernelILi32ELi32E19rocblas_complex_numIdEPKS2_PS2_EEviiT1_T2_lllT3_llli,comdat
	.globl	_ZN12_GLOBAL__N_120gemm_ex_scale_kernelILi32ELi32E19rocblas_complex_numIdEPKS2_PS2_EEviiT1_T2_lllT3_llli ; -- Begin function _ZN12_GLOBAL__N_120gemm_ex_scale_kernelILi32ELi32E19rocblas_complex_numIdEPKS2_PS2_EEviiT1_T2_lllT3_llli
	.p2align	8
	.type	_ZN12_GLOBAL__N_120gemm_ex_scale_kernelILi32ELi32E19rocblas_complex_numIdEPKS2_PS2_EEviiT1_T2_lllT3_llli,@function
_ZN12_GLOBAL__N_120gemm_ex_scale_kernelILi32ELi32E19rocblas_complex_numIdEPKS2_PS2_EEviiT1_T2_lllT3_llli: ; @_ZN12_GLOBAL__N_120gemm_ex_scale_kernelILi32ELi32E19rocblas_complex_numIdEPKS2_PS2_EEviiT1_T2_lllT3_llli
; %bb.0:
	s_load_b32 s24, s[0:1], 0x58
	s_bfe_u32 s2, ttmp6, 0x40014
	s_lshr_b32 s3, ttmp7, 16
	s_add_co_i32 s2, s2, 1
	s_bfe_u32 s4, ttmp6, 0x40008
	s_mul_i32 s2, s3, s2
	s_getreg_b32 s25, hwreg(HW_REG_IB_STS2, 6, 4)
	s_add_co_i32 s4, s4, s2
	s_cmp_eq_u32 s25, 0
	s_cselect_b32 s2, s3, s4
	s_mov_b32 s3, 0
	s_wait_kmcnt 0x0
	s_cmp_ge_u32 s2, s24
	s_cbranch_scc1 .LBB528_7
; %bb.1:
	s_clause 0x1
	s_load_b512 s[4:19], s[0:1], 0x8
	s_load_b128 s[20:23], s[0:1], 0x48
	s_bfe_u32 s27, ttmp6, 0x40010
	s_bfe_u32 s30, ttmp6, 0x4000c
	s_and_b32 s26, ttmp7, 0xffff
	s_add_co_i32 s27, s27, 1
	s_add_co_i32 s30, s30, 1
	s_bfe_u32 s28, ttmp6, 0x40004
	s_and_b32 s29, ttmp6, 15
	s_mul_i32 s27, s26, s27
	s_mul_i32 s30, ttmp9, s30
	v_bfe_u32 v1, v0, 10, 10
	s_add_co_i32 s28, s28, s27
	s_add_co_i32 s29, s29, s30
	v_mov_b32_e32 v3, 0
	s_wait_xcnt 0x0
	s_load_b64 s[0:1], s[0:1], 0x0
	v_and_b32_e32 v0, 0x3ff, v0
	s_wait_kmcnt 0x0
	s_lshl_b64 s[18:19], s[18:19], 4
	s_lshl_b64 s[10:11], s[10:11], 4
	s_cmp_eq_u32 s25, 0
	s_add_nc_u64 s[8:9], s[8:9], s[10:11]
	s_cselect_b32 s25, s26, s28
	s_add_nc_u64 s[10:11], s[16:17], s[18:19]
	v_lshl_add_u32 v2, s25, 5, v1
	v_mov_b32_e32 v1, v3
	s_delay_alu instid0(VALU_DEP_2) | instskip(SKIP_4) | instid1(SALU_CYCLE_1)
	v_mul_u64_e32 v[4:5], s[12:13], v[2:3]
	v_mul_u64_e32 v[6:7], s[20:21], v[2:3]
	v_cmp_neq_f64_e64 s12, s[6:7], 0
	v_cmp_neq_f64_e64 s13, s[4:5], 0
	s_cselect_b32 s20, ttmp9, s29
	v_lshl_add_u32 v0, s20, 5, v0
	s_delay_alu instid0(VALU_DEP_1)
	v_lshlrev_b64_e32 v[8:9], 4, v[0:1]
	v_cmp_gt_u32_e32 vcc_lo, s0, v0
	v_cmp_gt_u32_e64 s0, s1, v2
	s_and_b32 s0, vcc_lo, s0
	v_lshl_add_u64 v[4:5], v[4:5], 4, s[8:9]
	v_lshl_add_u64 v[6:7], v[6:7], 4, s[10:11]
	s_or_b32 s1, s13, s12
	s_delay_alu instid0(VALU_DEP_2) | instskip(NEXT) | instid1(VALU_DEP_2)
	v_add_nc_u64_e32 v[4:5], v[4:5], v[8:9]
	v_add_nc_u64_e32 v[6:7], v[6:7], v[8:9]
	s_branch .LBB528_4
.LBB528_2:                              ;   in Loop: Header=BB528_4 Depth=1
	s_mul_u64 s[10:11], s[22:23], s[2:3]
	s_delay_alu instid0(SALU_CYCLE_1)
	v_lshl_add_u64 v[8:9], s[10:11], 4, v[6:7]
	global_store_b128 v[8:9], v[0:3], off
.LBB528_3:                              ;   in Loop: Header=BB528_4 Depth=1
	s_wait_xcnt 0x0
	s_or_b32 exec_lo, exec_lo, s8
	s_add_co_i32 s2, s2, 0x10000
	s_delay_alu instid0(SALU_CYCLE_1)
	s_cmp_lt_u32 s2, s24
	s_cbranch_scc0 .LBB528_7
.LBB528_4:                              ; =>This Inner Loop Header: Depth=1
	s_and_saveexec_b32 s8, s0
	s_cbranch_execz .LBB528_3
; %bb.5:                                ;   in Loop: Header=BB528_4 Depth=1
	v_mov_b64_e32 v[2:3], 0
	v_mov_b64_e32 v[0:1], 0
	s_and_not1_b32 vcc_lo, exec_lo, s1
	s_cbranch_vccnz .LBB528_2
; %bb.6:                                ;   in Loop: Header=BB528_4 Depth=1
	s_mul_u64 s[10:11], s[14:15], s[2:3]
	s_delay_alu instid0(SALU_CYCLE_1)
	v_lshl_add_u64 v[0:1], s[10:11], 4, v[4:5]
	global_load_b128 v[8:11], v[0:1], off
	s_wait_loadcnt 0x0
	s_wait_xcnt 0x0
	v_mul_f64_e32 v[0:1], s[6:7], v[10:11]
	v_mul_f64_e32 v[2:3], s[4:5], v[10:11]
	s_delay_alu instid0(VALU_DEP_2) | instskip(NEXT) | instid1(VALU_DEP_2)
	v_fma_f64 v[0:1], s[4:5], v[8:9], -v[0:1]
	v_fmac_f64_e32 v[2:3], s[6:7], v[8:9]
	s_branch .LBB528_2
.LBB528_7:
	s_endpgm
	.section	.rodata,"a",@progbits
	.p2align	6, 0x0
	.amdhsa_kernel _ZN12_GLOBAL__N_120gemm_ex_scale_kernelILi32ELi32E19rocblas_complex_numIdEPKS2_PS2_EEviiT1_T2_lllT3_llli
		.amdhsa_group_segment_fixed_size 0
		.amdhsa_private_segment_fixed_size 0
		.amdhsa_kernarg_size 92
		.amdhsa_user_sgpr_count 2
		.amdhsa_user_sgpr_dispatch_ptr 0
		.amdhsa_user_sgpr_queue_ptr 0
		.amdhsa_user_sgpr_kernarg_segment_ptr 1
		.amdhsa_user_sgpr_dispatch_id 0
		.amdhsa_user_sgpr_kernarg_preload_length 0
		.amdhsa_user_sgpr_kernarg_preload_offset 0
		.amdhsa_user_sgpr_private_segment_size 0
		.amdhsa_wavefront_size32 1
		.amdhsa_uses_dynamic_stack 0
		.amdhsa_enable_private_segment 0
		.amdhsa_system_sgpr_workgroup_id_x 1
		.amdhsa_system_sgpr_workgroup_id_y 1
		.amdhsa_system_sgpr_workgroup_id_z 1
		.amdhsa_system_sgpr_workgroup_info 0
		.amdhsa_system_vgpr_workitem_id 1
		.amdhsa_next_free_vgpr 12
		.amdhsa_next_free_sgpr 31
		.amdhsa_named_barrier_count 0
		.amdhsa_reserve_vcc 1
		.amdhsa_float_round_mode_32 0
		.amdhsa_float_round_mode_16_64 0
		.amdhsa_float_denorm_mode_32 3
		.amdhsa_float_denorm_mode_16_64 3
		.amdhsa_fp16_overflow 0
		.amdhsa_memory_ordered 1
		.amdhsa_forward_progress 1
		.amdhsa_inst_pref_size 4
		.amdhsa_round_robin_scheduling 0
		.amdhsa_exception_fp_ieee_invalid_op 0
		.amdhsa_exception_fp_denorm_src 0
		.amdhsa_exception_fp_ieee_div_zero 0
		.amdhsa_exception_fp_ieee_overflow 0
		.amdhsa_exception_fp_ieee_underflow 0
		.amdhsa_exception_fp_ieee_inexact 0
		.amdhsa_exception_int_div_zero 0
	.end_amdhsa_kernel
	.section	.text._ZN12_GLOBAL__N_120gemm_ex_scale_kernelILi32ELi32E19rocblas_complex_numIdEPKS2_PS2_EEviiT1_T2_lllT3_llli,"axG",@progbits,_ZN12_GLOBAL__N_120gemm_ex_scale_kernelILi32ELi32E19rocblas_complex_numIdEPKS2_PS2_EEviiT1_T2_lllT3_llli,comdat
.Lfunc_end528:
	.size	_ZN12_GLOBAL__N_120gemm_ex_scale_kernelILi32ELi32E19rocblas_complex_numIdEPKS2_PS2_EEviiT1_T2_lllT3_llli, .Lfunc_end528-_ZN12_GLOBAL__N_120gemm_ex_scale_kernelILi32ELi32E19rocblas_complex_numIdEPKS2_PS2_EEviiT1_T2_lllT3_llli
                                        ; -- End function
	.set _ZN12_GLOBAL__N_120gemm_ex_scale_kernelILi32ELi32E19rocblas_complex_numIdEPKS2_PS2_EEviiT1_T2_lllT3_llli.num_vgpr, 12
	.set _ZN12_GLOBAL__N_120gemm_ex_scale_kernelILi32ELi32E19rocblas_complex_numIdEPKS2_PS2_EEviiT1_T2_lllT3_llli.num_agpr, 0
	.set _ZN12_GLOBAL__N_120gemm_ex_scale_kernelILi32ELi32E19rocblas_complex_numIdEPKS2_PS2_EEviiT1_T2_lllT3_llli.numbered_sgpr, 31
	.set _ZN12_GLOBAL__N_120gemm_ex_scale_kernelILi32ELi32E19rocblas_complex_numIdEPKS2_PS2_EEviiT1_T2_lllT3_llli.num_named_barrier, 0
	.set _ZN12_GLOBAL__N_120gemm_ex_scale_kernelILi32ELi32E19rocblas_complex_numIdEPKS2_PS2_EEviiT1_T2_lllT3_llli.private_seg_size, 0
	.set _ZN12_GLOBAL__N_120gemm_ex_scale_kernelILi32ELi32E19rocblas_complex_numIdEPKS2_PS2_EEviiT1_T2_lllT3_llli.uses_vcc, 1
	.set _ZN12_GLOBAL__N_120gemm_ex_scale_kernelILi32ELi32E19rocblas_complex_numIdEPKS2_PS2_EEviiT1_T2_lllT3_llli.uses_flat_scratch, 0
	.set _ZN12_GLOBAL__N_120gemm_ex_scale_kernelILi32ELi32E19rocblas_complex_numIdEPKS2_PS2_EEviiT1_T2_lllT3_llli.has_dyn_sized_stack, 0
	.set _ZN12_GLOBAL__N_120gemm_ex_scale_kernelILi32ELi32E19rocblas_complex_numIdEPKS2_PS2_EEviiT1_T2_lllT3_llli.has_recursion, 0
	.set _ZN12_GLOBAL__N_120gemm_ex_scale_kernelILi32ELi32E19rocblas_complex_numIdEPKS2_PS2_EEviiT1_T2_lllT3_llli.has_indirect_call, 0
	.section	.AMDGPU.csdata,"",@progbits
; Kernel info:
; codeLenInByte = 468
; TotalNumSgprs: 33
; NumVgprs: 12
; ScratchSize: 0
; MemoryBound: 0
; FloatMode: 240
; IeeeMode: 1
; LDSByteSize: 0 bytes/workgroup (compile time only)
; SGPRBlocks: 0
; VGPRBlocks: 0
; NumSGPRsForWavesPerEU: 33
; NumVGPRsForWavesPerEU: 12
; NamedBarCnt: 0
; Occupancy: 16
; WaveLimiterHint : 0
; COMPUTE_PGM_RSRC2:SCRATCH_EN: 0
; COMPUTE_PGM_RSRC2:USER_SGPR: 2
; COMPUTE_PGM_RSRC2:TRAP_HANDLER: 0
; COMPUTE_PGM_RSRC2:TGID_X_EN: 1
; COMPUTE_PGM_RSRC2:TGID_Y_EN: 1
; COMPUTE_PGM_RSRC2:TGID_Z_EN: 1
; COMPUTE_PGM_RSRC2:TIDIG_COMP_CNT: 1
	.section	.text._ZN12_GLOBAL__N_127rocblas_gemm_batched_kernelI19rocblas_complex_numIdELi16ELi16ELi64ELi64ELi4ELi64ELi4ELi4ELi64ELc78ELc78EKS2_S3_S2_EEvlllT_PT11_llS6_llS4_PT12_llPT13_lli,"axG",@progbits,_ZN12_GLOBAL__N_127rocblas_gemm_batched_kernelI19rocblas_complex_numIdELi16ELi16ELi64ELi64ELi4ELi64ELi4ELi4ELi64ELc78ELc78EKS2_S3_S2_EEvlllT_PT11_llS6_llS4_PT12_llPT13_lli,comdat
	.globl	_ZN12_GLOBAL__N_127rocblas_gemm_batched_kernelI19rocblas_complex_numIdELi16ELi16ELi64ELi64ELi4ELi64ELi4ELi4ELi64ELc78ELc78EKS2_S3_S2_EEvlllT_PT11_llS6_llS4_PT12_llPT13_lli ; -- Begin function _ZN12_GLOBAL__N_127rocblas_gemm_batched_kernelI19rocblas_complex_numIdELi16ELi16ELi64ELi64ELi4ELi64ELi4ELi4ELi64ELc78ELc78EKS2_S3_S2_EEvlllT_PT11_llS6_llS4_PT12_llPT13_lli
	.p2align	8
	.type	_ZN12_GLOBAL__N_127rocblas_gemm_batched_kernelI19rocblas_complex_numIdELi16ELi16ELi64ELi64ELi4ELi64ELi4ELi4ELi64ELc78ELc78EKS2_S3_S2_EEvlllT_PT11_llS6_llS4_PT12_llPT13_lli,@function
_ZN12_GLOBAL__N_127rocblas_gemm_batched_kernelI19rocblas_complex_numIdELi16ELi16ELi64ELi64ELi4ELi64ELi4ELi4ELi64ELc78ELc78EKS2_S3_S2_EEvlllT_PT11_llS6_llS4_PT12_llPT13_lli: ; @_ZN12_GLOBAL__N_127rocblas_gemm_batched_kernelI19rocblas_complex_numIdELi16ELi16ELi64ELi64ELi4ELi64ELi4ELi4ELi64ELc78ELc78EKS2_S3_S2_EEvlllT_PT11_llS6_llS4_PT12_llPT13_lli
; %bb.0:
	s_load_b32 s24, s[0:1], 0x98
	s_bfe_u32 s2, ttmp6, 0x40014
	s_lshr_b32 s3, ttmp7, 16
	s_add_co_i32 s2, s2, 1
	s_bfe_u32 s4, ttmp6, 0x40008
	s_mul_i32 s2, s3, s2
	s_getreg_b32 s20, hwreg(HW_REG_IB_STS2, 6, 4)
	s_add_co_i32 s4, s4, s2
	s_cmp_eq_u32 s20, 0
	s_cselect_b32 s2, s3, s4
	s_mov_b32 s3, 0
	s_wait_kmcnt 0x0
	s_cmp_ge_i32 s2, s24
	s_cbranch_scc1 .LBB529_11
; %bb.1:
	v_bfe_u32 v2, v0, 10, 10
	v_and_b32_e32 v4, 0x3ff, v0
	s_bfe_u32 s22, ttmp6, 0x4000c
	s_bfe_u32 s23, ttmp6, 0x40010
	s_clause 0x1
	s_load_b512 s[4:19], s[0:1], 0x10
	s_load_b512 s[36:51], s[0:1], 0x50
	s_add_co_i32 s22, s22, 1
	s_and_b32 s25, ttmp7, 0xffff
	s_add_co_i32 s23, s23, 1
	v_lshl_add_u32 v1, v2, 4, v4
	v_mov_b32_e32 v3, 0
	s_and_b32 s21, ttmp6, 15
	s_mul_i32 s22, ttmp9, s22
	s_mul_i32 s23, s25, s23
	s_bfe_u32 s26, ttmp6, 0x40004
	s_add_co_i32 s21, s21, s22
	s_add_co_i32 s26, s26, s23
	s_cmp_eq_u32 s20, 0
	v_dual_mov_b32 v7, v3 :: v_dual_lshrrev_b32 v6, 2, v1
	v_lshlrev_b32_e32 v16, 4, v0
	s_cselect_b32 s22, s25, s26
	s_cselect_b32 s20, ttmp9, s21
	s_lshl_b32 s22, s22, 6
	s_mov_b32 s23, s3
	s_ashr_i32 s21, s20, 31
	v_add_nc_u64_e32 v[10:11], s[22:23], v[6:7]
	v_add_nc_u64_e32 v[8:9], s[22:23], v[2:3]
	v_dual_lshrrev_b32 v7, 6, v1 :: v_dual_mov_b32 v5, v3
	s_wait_kmcnt 0x0
	v_cmp_eq_f64_e64 s22, s[38:39], 0
	v_cmp_eq_f64_e64 s23, s[40:41], 0
	s_lshl_b64 s[20:21], s[20:21], 6
	v_mul_u64_e32 v[10:11], s[18:19], v[10:11]
	v_mul_u64_e32 v[12:13], s[44:45], v[8:9]
	v_mad_nc_u64_u32 v[14:15], s12, v7, s[20:21]
	v_mul_u64_e32 v[24:25], s[50:51], v[8:9]
	s_load_b64 s[18:19], s[0:1], 0x90
	v_dual_mov_b32 v1, v3 :: v_dual_bitop2_b32 v0, 63, v1 bitop3:0x40
	v_dual_mov_b32 v9, v3 :: v_dual_bitop2_b32 v8, 48, v16 bitop3:0x40
	s_wait_xcnt 0x0
	v_cmp_gt_i64_e64 s0, s[4:5], 0
	s_delay_alu instid0(VALU_DEP_3)
	v_lshlrev_b32_e32 v16, 4, v0
	v_lshl_add_u32 v99, v2, 6, 0x1000
	v_lshlrev_b32_e32 v98, 4, v4
	v_mad_u32 v15, s13, v7, v15
	v_lshl_or_b32 v6, v6, 6, v8
	v_add_nc_u64_e32 v[26:27], s[20:21], v[4:5]
	v_cndmask_b32_e64 v4, 0, 1, s0
	v_lshl_or_b32 v100, v7, 10, v16
	s_lshl_b64 s[20:21], s[50:51], 4
	v_add_nc_u32_e32 v101, 0x1000, v6
	s_lshl_b64 s[12:13], s[12:13], 6
	v_cmp_ne_u32_e64 s0, 1, v4
	s_lshl_b64 s[20:21], s[20:21], 4
	v_add_nc_u64_e32 v[0:1], v[14:15], v[0:1]
	s_and_b32 s1, s22, s23
	s_delay_alu instid0(VALU_DEP_1)
	v_lshl_add_u64 v[30:31], v[0:1], 4, s[10:11]
	v_lshl_add_u64 v[2:3], v[10:11], 4, v[8:9]
	;; [unrolled: 1-line block ×3, first 2 shown]
	s_lshl_b64 s[22:23], s[44:45], 4
	s_lshl_b64 s[10:11], s[14:15], 4
	;; [unrolled: 1-line block ×3, first 2 shown]
	v_add_nc_u64_e32 v[32:33], s[16:17], v[2:3]
	s_lshl_b64 s[16:17], s[22:23], 4
	s_branch .LBB529_3
.LBB529_2:                              ;   in Loop: Header=BB529_3 Depth=1
	s_add_co_i32 s2, s2, 0x10000
	global_store_b64 v[2:3], v[0:1], off offset:8
	s_cmp_lt_i32 s2, s24
	s_cbranch_scc0 .LBB529_11
.LBB529_3:                              ; =>This Loop Header: Depth=1
                                        ;     Child Loop BB529_5 Depth 2
	s_and_b32 vcc_lo, exec_lo, s0
	s_cbranch_vccnz .LBB529_6
; %bb.4:                                ;   in Loop: Header=BB529_3 Depth=1
	s_wait_xcnt 0x7
	v_mad_nc_u64_u32 v[34:35], s10, s2, v[30:31]
	v_mad_nc_u64_u32 v[36:37], s14, s2, v[32:33]
	v_mov_b64_e32 v[84:85], 0
	v_mov_b64_e32 v[82:83], 0
	;; [unrolled: 1-line block ×9, first 2 shown]
	v_mad_u32 v35, s11, s2, v35
	v_mad_u32 v37, s15, s2, v37
	v_mov_b64_e32 v[44:45], 0
	v_mov_b64_e32 v[56:57], 0
	;; [unrolled: 1-line block ×23, first 2 shown]
	s_mov_b64 s[22:23], 0
.LBB529_5:                              ;   Parent Loop BB529_3 Depth=1
                                        ; =>  This Inner Loop Header: Depth=2
	global_load_b128 v[0:3], v[34:35], off
	s_add_nc_u64 s[22:23], s[22:23], 4
	s_wait_xcnt 0x0
	v_add_nc_u64_e32 v[34:35], s[12:13], v[34:35]
	v_cmp_lt_i64_e64 s25, s[22:23], s[4:5]
	s_and_b32 vcc_lo, exec_lo, s25
	s_wait_loadcnt 0x0
	ds_store_2addr_b64 v100, v[0:1], v[2:3] offset1:1
	global_load_b128 v[0:3], v[36:37], off
	s_wait_xcnt 0x0
	v_add_nc_u64_e32 v[36:37], 64, v[36:37]
	s_wait_loadcnt 0x0
	ds_store_2addr_b64 v101, v[0:1], v[2:3] offset1:1
	s_wait_dscnt 0x0
	s_barrier_signal -1
	s_barrier_wait -1
	ds_load_b128 v[86:89], v99
	ds_load_b128 v[90:93], v99 offset:16
	ds_load_b128 v[4:7], v99 offset:32
	;; [unrolled: 1-line block ×3, first 2 shown]
	ds_load_b128 v[94:97], v98
	s_wait_dscnt 0x0
	v_mul_f64_e32 v[102:103], v[88:89], v[96:97]
	v_mul_f64_e32 v[104:105], v[86:87], v[96:97]
	s_delay_alu instid0(VALU_DEP_2) | instskip(NEXT) | instid1(VALU_DEP_2)
	v_fma_f64 v[102:103], v[86:87], v[94:95], -v[102:103]
	v_fmac_f64_e32 v[104:105], v[88:89], v[94:95]
	s_delay_alu instid0(VALU_DEP_2) | instskip(NEXT) | instid1(VALU_DEP_2)
	v_add_f64_e32 v[106:107], v[58:59], v[102:103]
	v_add_f64_e32 v[108:109], v[104:105], v[60:61]
	ds_load_b128 v[58:61], v98 offset:256
	s_wait_dscnt 0x0
	v_mul_f64_e32 v[102:103], v[88:89], v[60:61]
	v_mul_f64_e32 v[104:105], v[86:87], v[60:61]
	s_delay_alu instid0(VALU_DEP_2) | instskip(NEXT) | instid1(VALU_DEP_2)
	v_fma_f64 v[102:103], v[86:87], v[58:59], -v[102:103]
	v_fmac_f64_e32 v[104:105], v[88:89], v[58:59]
	s_delay_alu instid0(VALU_DEP_2) | instskip(NEXT) | instid1(VALU_DEP_2)
	v_add_f64_e32 v[42:43], v[42:43], v[102:103]
	v_add_f64_e32 v[110:111], v[104:105], v[46:47]
	ds_load_b128 v[102:105], v98 offset:512
	;; [unrolled: 10-line block ×3, first 2 shown]
	s_wait_dscnt 0x0
	v_mul_f64_e32 v[46:47], v[88:89], v[40:41]
	s_delay_alu instid0(VALU_DEP_1) | instskip(SKIP_1) | instid1(VALU_DEP_1)
	v_fma_f64 v[46:47], v[86:87], v[38:39], -v[46:47]
	v_mul_f64_e32 v[86:87], v[86:87], v[40:41]
	v_fmac_f64_e32 v[86:87], v[88:89], v[38:39]
	s_delay_alu instid0(VALU_DEP_3) | instskip(NEXT) | instid1(VALU_DEP_2)
	v_add_f64_e32 v[88:89], v[20:21], v[46:47]
	v_add_f64_e32 v[86:87], v[86:87], v[22:23]
	ds_load_b128 v[20:23], v99 offset:1024
	s_wait_dscnt 0x0
	v_mul_f64_e32 v[46:47], v[22:23], v[96:97]
	v_mul_f64_e32 v[116:117], v[20:21], v[96:97]
	s_delay_alu instid0(VALU_DEP_2) | instskip(NEXT) | instid1(VALU_DEP_2)
	v_fma_f64 v[46:47], v[20:21], v[94:95], -v[46:47]
	v_fmac_f64_e32 v[116:117], v[22:23], v[94:95]
	s_delay_alu instid0(VALU_DEP_2) | instskip(SKIP_1) | instid1(VALU_DEP_3)
	v_add_f64_e32 v[78:79], v[78:79], v[46:47]
	v_mul_f64_e32 v[46:47], v[22:23], v[60:61]
	v_add_f64_e32 v[80:81], v[116:117], v[80:81]
	v_mul_f64_e32 v[116:117], v[20:21], v[60:61]
	s_delay_alu instid0(VALU_DEP_3) | instskip(NEXT) | instid1(VALU_DEP_2)
	v_fma_f64 v[46:47], v[20:21], v[58:59], -v[46:47]
	v_fmac_f64_e32 v[116:117], v[22:23], v[58:59]
	s_delay_alu instid0(VALU_DEP_2) | instskip(SKIP_2) | instid1(VALU_DEP_4)
	v_add_f64_e32 v[118:119], v[70:71], v[46:47]
	v_mul_f64_e32 v[46:47], v[22:23], v[104:105]
	v_mul_f64_e32 v[70:71], v[20:21], v[104:105]
	v_add_f64_e32 v[116:117], v[116:117], v[74:75]
	s_delay_alu instid0(VALU_DEP_3) | instskip(NEXT) | instid1(VALU_DEP_3)
	v_fma_f64 v[46:47], v[20:21], v[102:103], -v[46:47]
	v_fmac_f64_e32 v[70:71], v[22:23], v[102:103]
	s_delay_alu instid0(VALU_DEP_2) | instskip(SKIP_1) | instid1(VALU_DEP_3)
	v_add_f64_e32 v[120:121], v[62:63], v[46:47]
	v_mul_f64_e32 v[46:47], v[22:23], v[40:41]
	v_add_f64_e32 v[122:123], v[70:71], v[66:67]
	s_delay_alu instid0(VALU_DEP_2) | instskip(SKIP_1) | instid1(VALU_DEP_2)
	v_fma_f64 v[46:47], v[20:21], v[38:39], -v[46:47]
	v_mul_f64_e32 v[20:21], v[20:21], v[40:41]
	v_add_f64_e32 v[124:125], v[50:51], v[46:47]
	s_delay_alu instid0(VALU_DEP_2) | instskip(NEXT) | instid1(VALU_DEP_1)
	v_fmac_f64_e32 v[20:21], v[22:23], v[38:39]
	v_add_f64_e32 v[126:127], v[20:21], v[54:55]
	ds_load_b128 v[20:23], v99 offset:2048
	s_wait_dscnt 0x0
	v_mul_f64_e32 v[46:47], v[22:23], v[96:97]
	v_mul_f64_e32 v[50:51], v[20:21], v[96:97]
	s_delay_alu instid0(VALU_DEP_2) | instskip(NEXT) | instid1(VALU_DEP_2)
	v_fma_f64 v[46:47], v[20:21], v[94:95], -v[46:47]
	v_fmac_f64_e32 v[50:51], v[22:23], v[94:95]
	s_delay_alu instid0(VALU_DEP_2) | instskip(SKIP_1) | instid1(VALU_DEP_3)
	v_add_f64_e32 v[128:129], v[72:73], v[46:47]
	v_mul_f64_e32 v[46:47], v[22:23], v[60:61]
	v_add_f64_e32 v[130:131], v[50:51], v[76:77]
	v_mul_f64_e32 v[50:51], v[20:21], v[60:61]
	s_delay_alu instid0(VALU_DEP_3) | instskip(NEXT) | instid1(VALU_DEP_2)
	v_fma_f64 v[46:47], v[20:21], v[58:59], -v[46:47]
	v_fmac_f64_e32 v[50:51], v[22:23], v[58:59]
	s_delay_alu instid0(VALU_DEP_2) | instskip(SKIP_1) | instid1(VALU_DEP_3)
	v_add_f64_e32 v[132:133], v[64:65], v[46:47]
	v_mul_f64_e32 v[46:47], v[22:23], v[104:105]
	v_add_f64_e32 v[134:135], v[50:51], v[68:69]
	v_mul_f64_e32 v[50:51], v[20:21], v[104:105]
	s_delay_alu instid0(VALU_DEP_3) | instskip(NEXT) | instid1(VALU_DEP_2)
	v_fma_f64 v[46:47], v[20:21], v[102:103], -v[46:47]
	v_fmac_f64_e32 v[50:51], v[22:23], v[102:103]
	s_delay_alu instid0(VALU_DEP_2) | instskip(SKIP_1) | instid1(VALU_DEP_3)
	v_add_f64_e32 v[136:137], v[52:53], v[46:47]
	v_mul_f64_e32 v[46:47], v[22:23], v[40:41]
	v_add_f64_e32 v[138:139], v[50:51], v[56:57]
	s_delay_alu instid0(VALU_DEP_2) | instskip(SKIP_1) | instid1(VALU_DEP_2)
	v_fma_f64 v[46:47], v[20:21], v[38:39], -v[46:47]
	v_mul_f64_e32 v[20:21], v[20:21], v[40:41]
	v_add_f64_e32 v[140:141], v[44:45], v[46:47]
	s_delay_alu instid0(VALU_DEP_2) | instskip(NEXT) | instid1(VALU_DEP_1)
	v_fmac_f64_e32 v[20:21], v[22:23], v[38:39]
	v_add_f64_e32 v[142:143], v[20:21], v[48:49]
	ds_load_b128 v[20:23], v99 offset:3072
	s_wait_dscnt 0x0
	v_mul_f64_e32 v[44:45], v[22:23], v[96:97]
	v_mul_f64_e32 v[46:47], v[20:21], v[96:97]
	s_delay_alu instid0(VALU_DEP_2) | instskip(NEXT) | instid1(VALU_DEP_2)
	v_fma_f64 v[44:45], v[20:21], v[94:95], -v[44:45]
	v_fmac_f64_e32 v[46:47], v[22:23], v[94:95]
	s_delay_alu instid0(VALU_DEP_2) | instskip(NEXT) | instid1(VALU_DEP_2)
	v_add_f64_e32 v[66:67], v[16:17], v[44:45]
	v_add_f64_e32 v[68:69], v[46:47], v[18:19]
	v_mul_f64_e32 v[16:17], v[22:23], v[60:61]
	v_mul_f64_e32 v[18:19], v[20:21], v[60:61]
	s_delay_alu instid0(VALU_DEP_2) | instskip(NEXT) | instid1(VALU_DEP_2)
	v_fma_f64 v[16:17], v[20:21], v[58:59], -v[16:17]
	v_fmac_f64_e32 v[18:19], v[22:23], v[58:59]
	s_delay_alu instid0(VALU_DEP_2) | instskip(NEXT) | instid1(VALU_DEP_2)
	v_add_f64_e32 v[62:63], v[12:13], v[16:17]
	v_add_f64_e32 v[64:65], v[18:19], v[14:15]
	v_mul_f64_e32 v[12:13], v[22:23], v[104:105]
	v_mul_f64_e32 v[14:15], v[20:21], v[104:105]
	ds_load_b128 v[16:19], v98 offset:1280
	v_fma_f64 v[12:13], v[20:21], v[102:103], -v[12:13]
	v_fmac_f64_e32 v[14:15], v[22:23], v[102:103]
	s_delay_alu instid0(VALU_DEP_2) | instskip(NEXT) | instid1(VALU_DEP_2)
	v_add_f64_e32 v[58:59], v[8:9], v[12:13]
	v_add_f64_e32 v[60:61], v[14:15], v[10:11]
	v_mul_f64_e32 v[8:9], v[22:23], v[40:41]
	v_mul_f64_e32 v[10:11], v[20:21], v[40:41]
	ds_load_b128 v[12:15], v98 offset:1536
	v_fma_f64 v[8:9], v[20:21], v[38:39], -v[8:9]
	v_fmac_f64_e32 v[10:11], v[22:23], v[38:39]
	ds_load_b128 v[20:23], v98 offset:1024
	v_add_f64_e32 v[54:55], v[82:83], v[8:9]
	v_add_f64_e32 v[56:57], v[10:11], v[84:85]
	s_wait_dscnt 0x0
	v_mul_f64_e32 v[8:9], v[92:93], v[22:23]
	v_mul_f64_e32 v[10:11], v[90:91], v[22:23]
	ds_load_b128 v[82:85], v99 offset:1040
	s_wait_dscnt 0x0
	v_mul_f64_e32 v[70:71], v[84:85], v[22:23]
	v_mul_f64_e32 v[72:73], v[82:83], v[22:23]
	;; [unrolled: 1-line block ×4, first 2 shown]
	v_fma_f64 v[8:9], v[90:91], v[20:21], -v[8:9]
	v_fmac_f64_e32 v[10:11], v[92:93], v[20:21]
	v_fma_f64 v[70:71], v[82:83], v[20:21], -v[70:71]
	v_fmac_f64_e32 v[72:73], v[84:85], v[20:21]
	;; [unrolled: 2-line block ×3, first 2 shown]
	v_add_f64_e32 v[50:51], v[106:107], v[8:9]
	v_add_f64_e32 v[52:53], v[10:11], v[108:109]
	v_mul_f64_e32 v[8:9], v[92:93], v[18:19]
	v_mul_f64_e32 v[10:11], v[90:91], v[18:19]
	v_add_f64_e32 v[70:71], v[78:79], v[70:71]
	v_add_f64_e32 v[72:73], v[72:73], v[80:81]
	v_mul_f64_e32 v[78:79], v[84:85], v[14:15]
	v_mul_f64_e32 v[80:81], v[82:83], v[14:15]
	v_add_f64_e32 v[74:75], v[118:119], v[74:75]
	v_add_f64_e32 v[76:77], v[76:77], v[116:117]
	v_fma_f64 v[8:9], v[90:91], v[16:17], -v[8:9]
	v_fmac_f64_e32 v[10:11], v[92:93], v[16:17]
	v_fma_f64 v[78:79], v[82:83], v[12:13], -v[78:79]
	v_fmac_f64_e32 v[80:81], v[84:85], v[12:13]
	s_delay_alu instid0(VALU_DEP_4) | instskip(NEXT) | instid1(VALU_DEP_4)
	v_add_f64_e32 v[46:47], v[42:43], v[8:9]
	v_add_f64_e32 v[48:49], v[10:11], v[110:111]
	v_mul_f64_e32 v[8:9], v[92:93], v[14:15]
	v_mul_f64_e32 v[10:11], v[90:91], v[14:15]
	v_add_f64_e32 v[78:79], v[120:121], v[78:79]
	v_add_f64_e32 v[80:81], v[80:81], v[122:123]
	s_delay_alu instid0(VALU_DEP_4) | instskip(NEXT) | instid1(VALU_DEP_4)
	v_fma_f64 v[8:9], v[90:91], v[12:13], -v[8:9]
	v_fmac_f64_e32 v[10:11], v[92:93], v[12:13]
	s_delay_alu instid0(VALU_DEP_2) | instskip(NEXT) | instid1(VALU_DEP_2)
	v_add_f64_e32 v[42:43], v[114:115], v[8:9]
	v_add_f64_e32 v[44:45], v[10:11], v[112:113]
	ds_load_b128 v[8:11], v98 offset:1792
	s_wait_dscnt 0x0
	v_mul_f64_e32 v[38:39], v[92:93], v[10:11]
	v_mul_f64_e32 v[40:41], v[90:91], v[10:11]
	s_delay_alu instid0(VALU_DEP_2) | instskip(NEXT) | instid1(VALU_DEP_2)
	v_fma_f64 v[38:39], v[90:91], v[8:9], -v[38:39]
	v_fmac_f64_e32 v[40:41], v[92:93], v[8:9]
	s_delay_alu instid0(VALU_DEP_2) | instskip(NEXT) | instid1(VALU_DEP_2)
	v_add_f64_e32 v[38:39], v[88:89], v[38:39]
	v_add_f64_e32 v[40:41], v[40:41], v[86:87]
	v_mul_f64_e32 v[86:87], v[84:85], v[10:11]
	v_mul_f64_e32 v[88:89], v[82:83], v[10:11]
	s_delay_alu instid0(VALU_DEP_2) | instskip(NEXT) | instid1(VALU_DEP_2)
	v_fma_f64 v[86:87], v[82:83], v[8:9], -v[86:87]
	v_fmac_f64_e32 v[88:89], v[84:85], v[8:9]
	s_delay_alu instid0(VALU_DEP_2) | instskip(NEXT) | instid1(VALU_DEP_2)
	v_add_f64_e32 v[82:83], v[124:125], v[86:87]
	v_add_f64_e32 v[84:85], v[88:89], v[126:127]
	ds_load_b128 v[86:89], v99 offset:2064
	s_wait_dscnt 0x0
	v_mul_f64_e32 v[90:91], v[88:89], v[22:23]
	v_mul_f64_e32 v[94:95], v[88:89], v[18:19]
	;; [unrolled: 1-line block ×7, first 2 shown]
	v_fma_f64 v[90:91], v[86:87], v[20:21], -v[90:91]
	v_fma_f64 v[94:95], v[86:87], v[16:17], -v[94:95]
	;; [unrolled: 1-line block ×4, first 2 shown]
	v_mul_f64_e32 v[86:87], v[86:87], v[10:11]
	v_fmac_f64_e32 v[92:93], v[88:89], v[20:21]
	v_fmac_f64_e32 v[96:97], v[88:89], v[16:17]
	;; [unrolled: 1-line block ×3, first 2 shown]
	v_add_f64_e32 v[90:91], v[128:129], v[90:91]
	v_add_f64_e32 v[94:95], v[132:133], v[94:95]
	;; [unrolled: 1-line block ×4, first 2 shown]
	v_fmac_f64_e32 v[86:87], v[88:89], v[8:9]
	v_add_f64_e32 v[92:93], v[92:93], v[130:131]
	v_add_f64_e32 v[96:97], v[96:97], v[134:135]
	;; [unrolled: 1-line block ×3, first 2 shown]
	s_delay_alu instid0(VALU_DEP_4) | instskip(SKIP_4) | instid1(VALU_DEP_2)
	v_add_f64_e32 v[108:109], v[86:87], v[142:143]
	ds_load_b128 v[86:89], v99 offset:3088
	s_wait_dscnt 0x0
	v_mul_f64_e32 v[110:111], v[88:89], v[22:23]
	v_mul_f64_e32 v[22:23], v[86:87], v[22:23]
	v_fma_f64 v[110:111], v[86:87], v[20:21], -v[110:111]
	s_delay_alu instid0(VALU_DEP_2) | instskip(SKIP_2) | instid1(VALU_DEP_4)
	v_fmac_f64_e32 v[22:23], v[88:89], v[20:21]
	v_mul_f64_e32 v[20:21], v[88:89], v[18:19]
	v_mul_f64_e32 v[18:19], v[86:87], v[18:19]
	v_add_f64_e32 v[66:67], v[66:67], v[110:111]
	s_delay_alu instid0(VALU_DEP_4) | instskip(NEXT) | instid1(VALU_DEP_4)
	v_add_f64_e32 v[68:69], v[22:23], v[68:69]
	v_fma_f64 v[20:21], v[86:87], v[16:17], -v[20:21]
	s_delay_alu instid0(VALU_DEP_4) | instskip(SKIP_2) | instid1(VALU_DEP_4)
	v_fmac_f64_e32 v[18:19], v[88:89], v[16:17]
	v_mul_f64_e32 v[16:17], v[88:89], v[14:15]
	v_mul_f64_e32 v[14:15], v[86:87], v[14:15]
	v_add_f64_e32 v[62:63], v[62:63], v[20:21]
	s_delay_alu instid0(VALU_DEP_4) | instskip(NEXT) | instid1(VALU_DEP_4)
	v_add_f64_e32 v[64:65], v[18:19], v[64:65]
	v_fma_f64 v[16:17], v[86:87], v[12:13], -v[16:17]
	s_delay_alu instid0(VALU_DEP_4) | instskip(SKIP_2) | instid1(VALU_DEP_4)
	v_fmac_f64_e32 v[14:15], v[88:89], v[12:13]
	v_mul_f64_e32 v[12:13], v[88:89], v[10:11]
	v_mul_f64_e32 v[10:11], v[86:87], v[10:11]
	v_add_f64_e32 v[58:59], v[58:59], v[16:17]
	s_delay_alu instid0(VALU_DEP_4) | instskip(NEXT) | instid1(VALU_DEP_4)
	v_add_f64_e32 v[60:61], v[14:15], v[60:61]
	v_fma_f64 v[12:13], v[86:87], v[8:9], -v[12:13]
	s_delay_alu instid0(VALU_DEP_4) | instskip(NEXT) | instid1(VALU_DEP_2)
	v_fmac_f64_e32 v[10:11], v[88:89], v[8:9]
	v_add_f64_e32 v[54:55], v[54:55], v[12:13]
	s_delay_alu instid0(VALU_DEP_2) | instskip(SKIP_4) | instid1(VALU_DEP_2)
	v_add_f64_e32 v[56:57], v[10:11], v[56:57]
	ds_load_b128 v[8:11], v98 offset:2048
	s_wait_dscnt 0x0
	v_mul_f64_e32 v[12:13], v[6:7], v[10:11]
	v_mul_f64_e32 v[14:15], v[4:5], v[10:11]
	v_fma_f64 v[12:13], v[4:5], v[8:9], -v[12:13]
	s_delay_alu instid0(VALU_DEP_2) | instskip(NEXT) | instid1(VALU_DEP_2)
	v_fmac_f64_e32 v[14:15], v[6:7], v[8:9]
	v_add_f64_e32 v[50:51], v[50:51], v[12:13]
	s_delay_alu instid0(VALU_DEP_2) | instskip(SKIP_4) | instid1(VALU_DEP_2)
	v_add_f64_e32 v[52:53], v[14:15], v[52:53]
	ds_load_b128 v[12:15], v98 offset:2304
	s_wait_dscnt 0x0
	v_mul_f64_e32 v[16:17], v[6:7], v[14:15]
	v_mul_f64_e32 v[18:19], v[4:5], v[14:15]
	v_fma_f64 v[16:17], v[4:5], v[12:13], -v[16:17]
	s_delay_alu instid0(VALU_DEP_2) | instskip(NEXT) | instid1(VALU_DEP_2)
	;; [unrolled: 10-line block ×3, first 2 shown]
	v_fmac_f64_e32 v[22:23], v[6:7], v[16:17]
	v_add_f64_e32 v[110:111], v[42:43], v[20:21]
	s_delay_alu instid0(VALU_DEP_2) | instskip(SKIP_3) | instid1(VALU_DEP_1)
	v_add_f64_e32 v[44:45], v[22:23], v[44:45]
	ds_load_b128 v[20:23], v98 offset:2816
	s_wait_dscnt 0x0
	v_mul_f64_e32 v[42:43], v[6:7], v[22:23]
	v_fma_f64 v[42:43], v[4:5], v[20:21], -v[42:43]
	v_mul_f64_e32 v[4:5], v[4:5], v[22:23]
	s_delay_alu instid0(VALU_DEP_2) | instskip(NEXT) | instid1(VALU_DEP_2)
	v_add_f64_e32 v[112:113], v[38:39], v[42:43]
	v_fmac_f64_e32 v[4:5], v[6:7], v[20:21]
	s_delay_alu instid0(VALU_DEP_1) | instskip(SKIP_4) | instid1(VALU_DEP_2)
	v_add_f64_e32 v[114:115], v[4:5], v[40:41]
	ds_load_b128 v[4:7], v99 offset:1056
	s_wait_dscnt 0x0
	v_mul_f64_e32 v[38:39], v[6:7], v[10:11]
	v_mul_f64_e32 v[40:41], v[4:5], v[10:11]
	v_fma_f64 v[38:39], v[4:5], v[8:9], -v[38:39]
	s_delay_alu instid0(VALU_DEP_2) | instskip(NEXT) | instid1(VALU_DEP_2)
	v_fmac_f64_e32 v[40:41], v[6:7], v[8:9]
	v_add_f64_e32 v[70:71], v[70:71], v[38:39]
	v_mul_f64_e32 v[38:39], v[6:7], v[14:15]
	s_delay_alu instid0(VALU_DEP_3) | instskip(SKIP_1) | instid1(VALU_DEP_3)
	v_add_f64_e32 v[72:73], v[40:41], v[72:73]
	v_mul_f64_e32 v[40:41], v[4:5], v[14:15]
	v_fma_f64 v[38:39], v[4:5], v[12:13], -v[38:39]
	s_delay_alu instid0(VALU_DEP_2) | instskip(NEXT) | instid1(VALU_DEP_2)
	v_fmac_f64_e32 v[40:41], v[6:7], v[12:13]
	v_add_f64_e32 v[74:75], v[74:75], v[38:39]
	v_mul_f64_e32 v[38:39], v[6:7], v[18:19]
	s_delay_alu instid0(VALU_DEP_3) | instskip(SKIP_1) | instid1(VALU_DEP_3)
	v_add_f64_e32 v[76:77], v[40:41], v[76:77]
	v_mul_f64_e32 v[40:41], v[4:5], v[18:19]
	v_fma_f64 v[38:39], v[4:5], v[16:17], -v[38:39]
	s_delay_alu instid0(VALU_DEP_2) | instskip(NEXT) | instid1(VALU_DEP_2)
	v_fmac_f64_e32 v[40:41], v[6:7], v[16:17]
	v_add_f64_e32 v[116:117], v[78:79], v[38:39]
	v_mul_f64_e32 v[38:39], v[6:7], v[22:23]
	s_delay_alu instid0(VALU_DEP_3) | instskip(NEXT) | instid1(VALU_DEP_2)
	v_add_f64_e32 v[118:119], v[40:41], v[80:81]
	v_fma_f64 v[38:39], v[4:5], v[20:21], -v[38:39]
	v_mul_f64_e32 v[4:5], v[4:5], v[22:23]
	s_delay_alu instid0(VALU_DEP_2) | instskip(NEXT) | instid1(VALU_DEP_2)
	v_add_f64_e32 v[120:121], v[82:83], v[38:39]
	v_fmac_f64_e32 v[4:5], v[6:7], v[20:21]
	s_delay_alu instid0(VALU_DEP_1) | instskip(SKIP_4) | instid1(VALU_DEP_2)
	v_add_f64_e32 v[122:123], v[4:5], v[84:85]
	ds_load_b128 v[4:7], v99 offset:2080
	s_wait_dscnt 0x0
	v_mul_f64_e32 v[38:39], v[6:7], v[10:11]
	v_mul_f64_e32 v[40:41], v[4:5], v[10:11]
	v_fma_f64 v[38:39], v[4:5], v[8:9], -v[38:39]
	s_delay_alu instid0(VALU_DEP_2) | instskip(NEXT) | instid1(VALU_DEP_2)
	v_fmac_f64_e32 v[40:41], v[6:7], v[8:9]
	v_add_f64_e32 v[124:125], v[90:91], v[38:39]
	v_mul_f64_e32 v[38:39], v[6:7], v[14:15]
	s_delay_alu instid0(VALU_DEP_3) | instskip(SKIP_1) | instid1(VALU_DEP_3)
	v_add_f64_e32 v[126:127], v[40:41], v[92:93]
	v_mul_f64_e32 v[40:41], v[4:5], v[14:15]
	v_fma_f64 v[38:39], v[4:5], v[12:13], -v[38:39]
	s_delay_alu instid0(VALU_DEP_2) | instskip(NEXT) | instid1(VALU_DEP_2)
	v_fmac_f64_e32 v[40:41], v[6:7], v[12:13]
	v_add_f64_e32 v[128:129], v[94:95], v[38:39]
	v_mul_f64_e32 v[38:39], v[6:7], v[18:19]
	s_delay_alu instid0(VALU_DEP_3) | instskip(SKIP_1) | instid1(VALU_DEP_3)
	v_add_f64_e32 v[130:131], v[40:41], v[96:97]
	v_mul_f64_e32 v[40:41], v[4:5], v[18:19]
	v_fma_f64 v[38:39], v[4:5], v[16:17], -v[38:39]
	s_delay_alu instid0(VALU_DEP_2) | instskip(NEXT) | instid1(VALU_DEP_2)
	v_fmac_f64_e32 v[40:41], v[6:7], v[16:17]
	v_add_f64_e32 v[102:103], v[102:103], v[38:39]
	v_mul_f64_e32 v[38:39], v[6:7], v[22:23]
	s_delay_alu instid0(VALU_DEP_3) | instskip(NEXT) | instid1(VALU_DEP_2)
	v_add_f64_e32 v[104:105], v[40:41], v[104:105]
	v_fma_f64 v[38:39], v[4:5], v[20:21], -v[38:39]
	v_mul_f64_e32 v[4:5], v[4:5], v[22:23]
	s_delay_alu instid0(VALU_DEP_2) | instskip(NEXT) | instid1(VALU_DEP_2)
	v_add_f64_e32 v[106:107], v[106:107], v[38:39]
	v_fmac_f64_e32 v[4:5], v[6:7], v[20:21]
	s_delay_alu instid0(VALU_DEP_1) | instskip(SKIP_4) | instid1(VALU_DEP_2)
	v_add_f64_e32 v[108:109], v[4:5], v[108:109]
	ds_load_b128 v[4:7], v99 offset:3104
	s_wait_dscnt 0x0
	v_mul_f64_e32 v[38:39], v[6:7], v[10:11]
	v_mul_f64_e32 v[10:11], v[4:5], v[10:11]
	v_fma_f64 v[38:39], v[4:5], v[8:9], -v[38:39]
	s_delay_alu instid0(VALU_DEP_2) | instskip(SKIP_1) | instid1(VALU_DEP_3)
	v_fmac_f64_e32 v[10:11], v[6:7], v[8:9]
	v_mul_f64_e32 v[8:9], v[6:7], v[14:15]
	v_add_f64_e32 v[94:95], v[66:67], v[38:39]
	s_delay_alu instid0(VALU_DEP_3) | instskip(NEXT) | instid1(VALU_DEP_3)
	v_add_f64_e32 v[96:97], v[10:11], v[68:69]
	v_fma_f64 v[8:9], v[4:5], v[12:13], -v[8:9]
	v_mul_f64_e32 v[10:11], v[4:5], v[14:15]
	s_delay_alu instid0(VALU_DEP_2) | instskip(SKIP_1) | instid1(VALU_DEP_3)
	v_add_f64_e32 v[90:91], v[62:63], v[8:9]
	v_mul_f64_e32 v[8:9], v[6:7], v[18:19]
	v_fmac_f64_e32 v[10:11], v[6:7], v[12:13]
	ds_load_b128 v[12:15], v98 offset:3328
	v_fma_f64 v[8:9], v[4:5], v[16:17], -v[8:9]
	v_add_f64_e32 v[92:93], v[10:11], v[64:65]
	v_mul_f64_e32 v[10:11], v[4:5], v[18:19]
	s_delay_alu instid0(VALU_DEP_3) | instskip(SKIP_1) | instid1(VALU_DEP_3)
	v_add_f64_e32 v[86:87], v[58:59], v[8:9]
	v_mul_f64_e32 v[8:9], v[6:7], v[22:23]
	v_fmac_f64_e32 v[10:11], v[6:7], v[16:17]
	ds_load_b128 v[16:19], v98 offset:3072
	v_fma_f64 v[8:9], v[4:5], v[20:21], -v[8:9]
	v_mul_f64_e32 v[4:5], v[4:5], v[22:23]
	v_add_f64_e32 v[88:89], v[10:11], v[60:61]
	s_delay_alu instid0(VALU_DEP_3) | instskip(NEXT) | instid1(VALU_DEP_3)
	v_add_f64_e32 v[82:83], v[54:55], v[8:9]
	v_fmac_f64_e32 v[4:5], v[6:7], v[20:21]
	s_wait_dscnt 0x0
	v_mul_f64_e32 v[6:7], v[0:1], v[18:19]
	ds_load_b128 v[8:11], v98 offset:3584
	v_add_f64_e32 v[84:85], v[4:5], v[56:57]
	v_mul_f64_e32 v[4:5], v[2:3], v[18:19]
	v_fmac_f64_e32 v[6:7], v[2:3], v[16:17]
	s_delay_alu instid0(VALU_DEP_2) | instskip(NEXT) | instid1(VALU_DEP_2)
	v_fma_f64 v[4:5], v[0:1], v[16:17], -v[4:5]
	v_add_f64_e32 v[60:61], v[6:7], v[52:53]
	v_mul_f64_e32 v[6:7], v[0:1], v[14:15]
	s_delay_alu instid0(VALU_DEP_3) | instskip(SKIP_1) | instid1(VALU_DEP_3)
	v_add_f64_e32 v[58:59], v[50:51], v[4:5]
	v_mul_f64_e32 v[4:5], v[2:3], v[14:15]
	v_fmac_f64_e32 v[6:7], v[2:3], v[12:13]
	s_delay_alu instid0(VALU_DEP_2) | instskip(NEXT) | instid1(VALU_DEP_1)
	v_fma_f64 v[4:5], v[0:1], v[12:13], -v[4:5]
	v_add_f64_e32 v[42:43], v[46:47], v[4:5]
	s_delay_alu instid0(VALU_DEP_3) | instskip(SKIP_3) | instid1(VALU_DEP_2)
	v_add_f64_e32 v[46:47], v[6:7], v[48:49]
	s_wait_dscnt 0x0
	v_mul_f64_e32 v[4:5], v[2:3], v[10:11]
	v_mul_f64_e32 v[6:7], v[0:1], v[10:11]
	v_fma_f64 v[4:5], v[0:1], v[8:9], -v[4:5]
	s_delay_alu instid0(VALU_DEP_2) | instskip(NEXT) | instid1(VALU_DEP_2)
	v_fmac_f64_e32 v[6:7], v[2:3], v[8:9]
	v_add_f64_e32 v[38:39], v[110:111], v[4:5]
	s_delay_alu instid0(VALU_DEP_2) | instskip(SKIP_3) | instid1(VALU_DEP_1)
	v_add_f64_e32 v[40:41], v[6:7], v[44:45]
	ds_load_b128 v[4:7], v98 offset:3840
	s_wait_dscnt 0x0
	v_mul_f64_e32 v[20:21], v[2:3], v[6:7]
	v_fma_f64 v[20:21], v[0:1], v[4:5], -v[20:21]
	v_mul_f64_e32 v[0:1], v[0:1], v[6:7]
	s_delay_alu instid0(VALU_DEP_2) | instskip(NEXT) | instid1(VALU_DEP_2)
	v_add_f64_e32 v[20:21], v[112:113], v[20:21]
	v_fmac_f64_e32 v[0:1], v[2:3], v[4:5]
	s_delay_alu instid0(VALU_DEP_1) | instskip(SKIP_4) | instid1(VALU_DEP_2)
	v_add_f64_e32 v[22:23], v[0:1], v[114:115]
	ds_load_b128 v[0:3], v99 offset:1072
	s_wait_dscnt 0x0
	v_mul_f64_e32 v[44:45], v[2:3], v[18:19]
	v_mul_f64_e32 v[48:49], v[0:1], v[18:19]
	v_fma_f64 v[44:45], v[0:1], v[16:17], -v[44:45]
	s_delay_alu instid0(VALU_DEP_2) | instskip(NEXT) | instid1(VALU_DEP_2)
	v_fmac_f64_e32 v[48:49], v[2:3], v[16:17]
	v_add_f64_e32 v[78:79], v[70:71], v[44:45]
	v_mul_f64_e32 v[44:45], v[2:3], v[14:15]
	s_delay_alu instid0(VALU_DEP_3) | instskip(SKIP_1) | instid1(VALU_DEP_3)
	v_add_f64_e32 v[80:81], v[48:49], v[72:73]
	v_mul_f64_e32 v[48:49], v[0:1], v[14:15]
	v_fma_f64 v[44:45], v[0:1], v[12:13], -v[44:45]
	s_delay_alu instid0(VALU_DEP_2) | instskip(NEXT) | instid1(VALU_DEP_2)
	v_fmac_f64_e32 v[48:49], v[2:3], v[12:13]
	v_add_f64_e32 v[70:71], v[74:75], v[44:45]
	v_mul_f64_e32 v[44:45], v[2:3], v[10:11]
	s_delay_alu instid0(VALU_DEP_3) | instskip(SKIP_1) | instid1(VALU_DEP_3)
	v_add_f64_e32 v[74:75], v[48:49], v[76:77]
	v_mul_f64_e32 v[48:49], v[0:1], v[10:11]
	v_fma_f64 v[44:45], v[0:1], v[8:9], -v[44:45]
	s_delay_alu instid0(VALU_DEP_2) | instskip(NEXT) | instid1(VALU_DEP_2)
	v_fmac_f64_e32 v[48:49], v[2:3], v[8:9]
	v_add_f64_e32 v[62:63], v[116:117], v[44:45]
	v_mul_f64_e32 v[44:45], v[2:3], v[6:7]
	s_delay_alu instid0(VALU_DEP_3) | instskip(NEXT) | instid1(VALU_DEP_2)
	v_add_f64_e32 v[66:67], v[48:49], v[118:119]
	v_fma_f64 v[44:45], v[0:1], v[4:5], -v[44:45]
	v_mul_f64_e32 v[0:1], v[0:1], v[6:7]
	s_delay_alu instid0(VALU_DEP_2) | instskip(NEXT) | instid1(VALU_DEP_2)
	v_add_f64_e32 v[50:51], v[120:121], v[44:45]
	v_fmac_f64_e32 v[0:1], v[2:3], v[4:5]
	s_delay_alu instid0(VALU_DEP_1) | instskip(SKIP_4) | instid1(VALU_DEP_2)
	v_add_f64_e32 v[54:55], v[0:1], v[122:123]
	ds_load_b128 v[0:3], v99 offset:2096
	s_wait_dscnt 0x0
	v_mul_f64_e32 v[44:45], v[2:3], v[18:19]
	v_mul_f64_e32 v[48:49], v[0:1], v[18:19]
	v_fma_f64 v[44:45], v[0:1], v[16:17], -v[44:45]
	s_delay_alu instid0(VALU_DEP_2) | instskip(NEXT) | instid1(VALU_DEP_2)
	v_fmac_f64_e32 v[48:49], v[2:3], v[16:17]
	v_add_f64_e32 v[72:73], v[124:125], v[44:45]
	v_mul_f64_e32 v[44:45], v[2:3], v[14:15]
	s_delay_alu instid0(VALU_DEP_3) | instskip(SKIP_1) | instid1(VALU_DEP_3)
	v_add_f64_e32 v[76:77], v[48:49], v[126:127]
	v_mul_f64_e32 v[48:49], v[0:1], v[14:15]
	v_fma_f64 v[44:45], v[0:1], v[12:13], -v[44:45]
	s_delay_alu instid0(VALU_DEP_2) | instskip(NEXT) | instid1(VALU_DEP_2)
	v_fmac_f64_e32 v[48:49], v[2:3], v[12:13]
	v_add_f64_e32 v[64:65], v[128:129], v[44:45]
	v_mul_f64_e32 v[44:45], v[2:3], v[10:11]
	s_delay_alu instid0(VALU_DEP_3) | instskip(SKIP_1) | instid1(VALU_DEP_3)
	v_add_f64_e32 v[68:69], v[48:49], v[130:131]
	v_mul_f64_e32 v[48:49], v[0:1], v[10:11]
	v_fma_f64 v[44:45], v[0:1], v[8:9], -v[44:45]
	s_delay_alu instid0(VALU_DEP_2) | instskip(NEXT) | instid1(VALU_DEP_2)
	v_fmac_f64_e32 v[48:49], v[2:3], v[8:9]
	v_add_f64_e32 v[52:53], v[102:103], v[44:45]
	v_mul_f64_e32 v[44:45], v[2:3], v[6:7]
	s_delay_alu instid0(VALU_DEP_3) | instskip(NEXT) | instid1(VALU_DEP_2)
	v_add_f64_e32 v[56:57], v[48:49], v[104:105]
	v_fma_f64 v[44:45], v[0:1], v[4:5], -v[44:45]
	v_mul_f64_e32 v[0:1], v[0:1], v[6:7]
	s_delay_alu instid0(VALU_DEP_2) | instskip(NEXT) | instid1(VALU_DEP_2)
	v_add_f64_e32 v[44:45], v[106:107], v[44:45]
	v_fmac_f64_e32 v[0:1], v[2:3], v[4:5]
	s_delay_alu instid0(VALU_DEP_1)
	v_add_f64_e32 v[48:49], v[0:1], v[108:109]
	ds_load_b128 v[0:3], v99 offset:3120
	s_wait_dscnt 0x0
	s_barrier_signal -1
	s_barrier_wait -1
	v_mul_f64_e32 v[102:103], v[2:3], v[18:19]
	v_mul_f64_e32 v[18:19], v[0:1], v[18:19]
	s_delay_alu instid0(VALU_DEP_2) | instskip(NEXT) | instid1(VALU_DEP_2)
	v_fma_f64 v[102:103], v[0:1], v[16:17], -v[102:103]
	v_fmac_f64_e32 v[18:19], v[2:3], v[16:17]
	s_delay_alu instid0(VALU_DEP_2) | instskip(SKIP_2) | instid1(VALU_DEP_4)
	v_add_f64_e32 v[16:17], v[94:95], v[102:103]
	v_mul_f64_e32 v[94:95], v[2:3], v[14:15]
	v_mul_f64_e32 v[14:15], v[0:1], v[14:15]
	v_add_f64_e32 v[18:19], v[18:19], v[96:97]
	s_delay_alu instid0(VALU_DEP_3) | instskip(NEXT) | instid1(VALU_DEP_3)
	v_fma_f64 v[94:95], v[0:1], v[12:13], -v[94:95]
	v_fmac_f64_e32 v[14:15], v[2:3], v[12:13]
	s_delay_alu instid0(VALU_DEP_2) | instskip(SKIP_2) | instid1(VALU_DEP_4)
	v_add_f64_e32 v[12:13], v[90:91], v[94:95]
	v_mul_f64_e32 v[90:91], v[2:3], v[10:11]
	v_mul_f64_e32 v[10:11], v[0:1], v[10:11]
	v_add_f64_e32 v[14:15], v[14:15], v[92:93]
	s_delay_alu instid0(VALU_DEP_3) | instskip(NEXT) | instid1(VALU_DEP_3)
	v_fma_f64 v[90:91], v[0:1], v[8:9], -v[90:91]
	v_fmac_f64_e32 v[10:11], v[2:3], v[8:9]
	s_delay_alu instid0(VALU_DEP_2) | instskip(SKIP_1) | instid1(VALU_DEP_3)
	v_add_f64_e32 v[8:9], v[86:87], v[90:91]
	v_mul_f64_e32 v[86:87], v[2:3], v[6:7]
	v_add_f64_e32 v[10:11], v[10:11], v[88:89]
	s_delay_alu instid0(VALU_DEP_2) | instskip(SKIP_1) | instid1(VALU_DEP_2)
	v_fma_f64 v[86:87], v[0:1], v[4:5], -v[86:87]
	v_mul_f64_e32 v[0:1], v[0:1], v[6:7]
	v_add_f64_e32 v[82:83], v[82:83], v[86:87]
	s_delay_alu instid0(VALU_DEP_2) | instskip(NEXT) | instid1(VALU_DEP_1)
	v_fmac_f64_e32 v[0:1], v[2:3], v[4:5]
	v_add_f64_e32 v[84:85], v[0:1], v[84:85]
	s_cbranch_vccnz .LBB529_5
	s_branch .LBB529_7
.LBB529_6:                              ;   in Loop: Header=BB529_3 Depth=1
	v_mov_b64_e32 v[58:59], 0
	v_mov_b64_e32 v[60:61], 0
	v_mov_b64_e32 v[42:43], 0
	v_mov_b64_e32 v[46:47], 0
	v_mov_b64_e32 v[38:39], 0
	v_mov_b64_e32 v[40:41], 0
	v_mov_b64_e32 v[20:21], 0
	v_mov_b64_e32 v[22:23], 0
	v_mov_b64_e32 v[78:79], 0
	v_mov_b64_e32 v[80:81], 0
	v_mov_b64_e32 v[70:71], 0
	v_mov_b64_e32 v[74:75], 0
	v_mov_b64_e32 v[62:63], 0
	v_mov_b64_e32 v[66:67], 0
	v_mov_b64_e32 v[50:51], 0
	v_mov_b64_e32 v[54:55], 0
	v_mov_b64_e32 v[72:73], 0
	v_mov_b64_e32 v[76:77], 0
	v_mov_b64_e32 v[64:65], 0
	v_mov_b64_e32 v[68:69], 0
	v_mov_b64_e32 v[52:53], 0
	v_mov_b64_e32 v[56:57], 0
	v_mov_b64_e32 v[44:45], 0
	v_mov_b64_e32 v[48:49], 0
	v_mov_b64_e32 v[16:17], 0
	v_mov_b64_e32 v[18:19], 0
	v_mov_b64_e32 v[12:13], 0
	v_mov_b64_e32 v[14:15], 0
	v_mov_b64_e32 v[8:9], 0
	v_mov_b64_e32 v[10:11], 0
	v_mov_b64_e32 v[82:83], 0
	v_mov_b64_e32 v[84:85], 0
.LBB529_7:                              ;   in Loop: Header=BB529_3 Depth=1
	s_wait_kmcnt 0x0
	s_mul_u64 s[22:23], s[18:19], s[2:3]
	s_and_not1_b32 vcc_lo, exec_lo, s1
	s_lshl_b64 s[22:23], s[22:23], 4
	s_mov_b32 s25, -1
	s_add_nc_u64 s[22:23], s[48:49], s[22:23]
                                        ; implicit-def: $vgpr0_vgpr1
                                        ; implicit-def: $vgpr2_vgpr3
	s_cbranch_vccz .LBB529_9
; %bb.8:                                ;   in Loop: Header=BB529_3 Depth=1
	s_and_not1_b32 vcc_lo, exec_lo, s25
	s_cbranch_vccnz .LBB529_2
	s_branch .LBB529_10
.LBB529_9:                              ;   in Loop: Header=BB529_3 Depth=1
	s_wait_xcnt 0x0
	v_mul_f64_e32 v[0:1], s[8:9], v[60:61]
	v_mul_f64_e32 v[2:3], s[6:7], v[60:61]
	;; [unrolled: 1-line block ×8, first 2 shown]
	v_lshlrev_b64_e32 v[130:131], 4, v[26:27]
	v_lshl_add_u64 v[122:123], v[24:25], 4, s[22:23]
	v_mul_f64_e32 v[92:93], s[8:9], v[80:81]
	v_mul_f64_e32 v[90:91], s[6:7], v[80:81]
	;; [unrolled: 1-line block ×5, first 2 shown]
	v_add_nc_u64_e32 v[112:113], v[122:123], v[130:131]
	v_mul_f64_e32 v[104:105], s[6:7], v[66:67]
	v_mul_f64_e32 v[106:107], s[8:9], v[54:55]
	;; [unrolled: 1-line block ×13, first 2 shown]
	v_fma_f64 v[0:1], s[6:7], v[58:59], -v[0:1]
	v_fmac_f64_e32 v[2:3], s[8:9], v[58:59]
	v_fma_f64 v[4:5], s[6:7], v[42:43], -v[4:5]
	v_fmac_f64_e32 v[6:7], s[8:9], v[42:43]
	;; [unrolled: 2-line block ×4, first 2 shown]
	v_fmac_f64_e32 v[90:91], s[8:9], v[78:79]
	v_fmac_f64_e32 v[94:95], s[8:9], v[70:71]
	v_fma_f64 v[102:103], s[6:7], v[62:63], -v[102:103]
	v_fmac_f64_e32 v[104:105], s[8:9], v[62:63]
	v_fma_f64 v[106:107], s[6:7], v[50:51], -v[106:107]
	v_fmac_f64_e32 v[108:109], s[8:9], v[50:51]
	v_fmac_f64_e32 v[128:129], s[8:9], v[8:9]
	;; [unrolled: 1-line block ×5, first 2 shown]
	global_store_b128 v[112:113], v[0:3], off
	s_wait_xcnt 0x0
	v_mul_f64_e32 v[0:1], s[6:7], v[84:85]
	global_store_b128 v[112:113], v[4:7], off offset:256
	s_wait_xcnt 0x0
	v_mul_f64_e32 v[4:5], s[6:7], v[76:77]
	global_store_b128 v[112:113], v[34:37], off offset:512
	;; [unrolled: 3-line block ×3, first 2 shown]
	s_wait_xcnt 0x0
	v_mul_f64_e32 v[112:113], s[6:7], v[56:57]
	v_mul_f64_e32 v[6:7], s[8:9], v[10:11]
	;; [unrolled: 1-line block ×3, first 2 shown]
	v_fma_f64 v[88:89], s[6:7], v[78:79], -v[92:93]
	v_fma_f64 v[92:93], s[6:7], v[70:71], -v[96:97]
	;; [unrolled: 1-line block ×3, first 2 shown]
	v_add_nc_u64_e32 v[96:97], s[20:21], v[122:123]
	v_fma_f64 v[34:35], s[6:7], v[64:65], -v[114:115]
	v_fma_f64 v[110:111], s[6:7], v[52:53], -v[118:119]
	;; [unrolled: 1-line block ×5, first 2 shown]
	v_fmac_f64_e32 v[0:1], s[8:9], v[82:83]
	v_fmac_f64_e32 v[4:5], s[8:9], v[72:73]
	;; [unrolled: 1-line block ×4, first 2 shown]
	v_fma_f64 v[126:127], s[6:7], v[8:9], -v[6:7]
	v_fma_f64 v[6:7], s[6:7], v[82:83], -v[86:87]
	v_add_nc_u64_e32 v[86:87], s[20:21], v[96:97]
	v_add_nc_u64_e32 v[96:97], v[96:97], v[130:131]
	s_delay_alu instid0(VALU_DEP_2)
	v_add_nc_u64_e32 v[132:133], s[20:21], v[86:87]
	v_add_nc_u64_e32 v[86:87], v[86:87], v[130:131]
	s_clause 0x5
	global_store_b128 v[96:97], v[88:91], off
	global_store_b128 v[96:97], v[92:95], off offset:256
	global_store_b128 v[96:97], v[102:105], off offset:512
	;; [unrolled: 1-line block ×3, first 2 shown]
	global_store_b128 v[86:87], v[2:5], off
	global_store_b128 v[86:87], v[34:37], off offset:256
	v_add_nc_u64_e32 v[130:131], v[132:133], v[130:131]
	s_clause 0x3
	global_store_b128 v[86:87], v[110:113], off offset:512
	global_store_b128 v[86:87], v[114:117], off offset:768
	global_store_b128 v[130:131], v[118:121], off
	global_store_b128 v[130:131], v[122:125], off offset:256
	s_wait_xcnt 0x5
	v_add_nc_u64_e32 v[2:3], 0x300, v[130:131]
	s_clause 0x1
	global_store_b128 v[130:131], v[126:129], off offset:512
	global_store_b64 v[130:131], v[6:7], off offset:768
	s_cbranch_execnz .LBB529_2
.LBB529_10:                             ;   in Loop: Header=BB529_3 Depth=1
	s_mul_u64 s[26:27], s[46:47], s[2:3]
	s_wait_xcnt 0x1
	v_lshlrev_b64_e32 v[4:5], 4, v[26:27]
	s_wait_xcnt 0x0
	v_lshl_add_u64 v[6:7], s[26:27], 4, v[28:29]
	v_mul_f64_e32 v[36:37], s[8:9], v[60:61]
	v_mul_f64_e32 v[60:61], s[6:7], v[60:61]
	s_delay_alu instid0(VALU_DEP_3)
	v_add_nc_u64_e32 v[34:35], v[6:7], v[4:5]
	v_add_nc_u64_e32 v[6:7], s[16:17], v[6:7]
	global_load_b128 v[0:3], v[34:35], off
	v_fma_f64 v[36:37], s[6:7], v[58:59], -v[36:37]
	v_fmac_f64_e32 v[60:61], s[8:9], v[58:59]
	s_wait_loadcnt 0x0
	v_mul_f64_e32 v[86:87], s[40:41], v[2:3]
	v_mul_f64_e32 v[2:3], s[38:39], v[2:3]
	s_delay_alu instid0(VALU_DEP_2) | instskip(NEXT) | instid1(VALU_DEP_2)
	v_fma_f64 v[58:59], s[38:39], v[0:1], -v[86:87]
	v_fmac_f64_e32 v[2:3], s[40:41], v[0:1]
	s_delay_alu instid0(VALU_DEP_2) | instskip(NEXT) | instid1(VALU_DEP_2)
	v_add_f64_e32 v[0:1], v[36:37], v[58:59]
	v_add_f64_e32 v[2:3], v[60:61], v[2:3]
	v_lshl_add_u64 v[36:37], v[24:25], 4, s[22:23]
	v_mul_f64_e32 v[60:61], s[8:9], v[46:47]
	v_mul_f64_e32 v[46:47], s[6:7], v[46:47]
	s_delay_alu instid0(VALU_DEP_3)
	v_add_nc_u64_e32 v[58:59], v[36:37], v[4:5]
	global_store_b128 v[58:59], v[0:3], off
	global_load_b128 v[0:3], v[34:35], off offset:256
	v_fma_f64 v[60:61], s[6:7], v[42:43], -v[60:61]
	v_fmac_f64_e32 v[46:47], s[8:9], v[42:43]
	s_wait_loadcnt 0x0
	v_mul_f64_e32 v[86:87], s[40:41], v[2:3]
	v_mul_f64_e32 v[2:3], s[38:39], v[2:3]
	s_delay_alu instid0(VALU_DEP_2) | instskip(NEXT) | instid1(VALU_DEP_2)
	v_fma_f64 v[42:43], s[38:39], v[0:1], -v[86:87]
	v_fmac_f64_e32 v[2:3], s[40:41], v[0:1]
	s_delay_alu instid0(VALU_DEP_2) | instskip(NEXT) | instid1(VALU_DEP_2)
	v_add_f64_e32 v[0:1], v[60:61], v[42:43]
	v_add_f64_e32 v[2:3], v[46:47], v[2:3]
	v_mul_f64_e32 v[42:43], s[8:9], v[40:41]
	v_mul_f64_e32 v[40:41], s[6:7], v[40:41]
	global_store_b128 v[58:59], v[0:3], off offset:256
	global_load_b128 v[0:3], v[34:35], off offset:512
	v_fma_f64 v[42:43], s[6:7], v[38:39], -v[42:43]
	v_fmac_f64_e32 v[40:41], s[8:9], v[38:39]
	s_wait_loadcnt 0x0
	v_mul_f64_e32 v[46:47], s[40:41], v[2:3]
	v_mul_f64_e32 v[2:3], s[38:39], v[2:3]
	s_delay_alu instid0(VALU_DEP_2) | instskip(NEXT) | instid1(VALU_DEP_2)
	v_fma_f64 v[38:39], s[38:39], v[0:1], -v[46:47]
	v_fmac_f64_e32 v[2:3], s[40:41], v[0:1]
	s_delay_alu instid0(VALU_DEP_2) | instskip(NEXT) | instid1(VALU_DEP_2)
	v_add_f64_e32 v[0:1], v[42:43], v[38:39]
	v_add_f64_e32 v[2:3], v[40:41], v[2:3]
	global_store_b128 v[58:59], v[0:3], off offset:512
	global_load_b128 v[0:3], v[34:35], off offset:768
	s_wait_xcnt 0x0
	v_mul_f64_e32 v[34:35], s[8:9], v[22:23]
	v_mul_f64_e32 v[22:23], s[6:7], v[22:23]
	s_delay_alu instid0(VALU_DEP_2) | instskip(NEXT) | instid1(VALU_DEP_2)
	v_fma_f64 v[34:35], s[6:7], v[20:21], -v[34:35]
	v_fmac_f64_e32 v[22:23], s[8:9], v[20:21]
	s_wait_loadcnt 0x0
	v_mul_f64_e32 v[38:39], s[40:41], v[2:3]
	v_mul_f64_e32 v[2:3], s[38:39], v[2:3]
	s_delay_alu instid0(VALU_DEP_2) | instskip(NEXT) | instid1(VALU_DEP_2)
	v_fma_f64 v[20:21], s[38:39], v[0:1], -v[38:39]
	v_fmac_f64_e32 v[2:3], s[40:41], v[0:1]
	s_delay_alu instid0(VALU_DEP_2) | instskip(NEXT) | instid1(VALU_DEP_2)
	v_add_f64_e32 v[0:1], v[34:35], v[20:21]
	v_add_f64_e32 v[2:3], v[22:23], v[2:3]
	v_add_nc_u64_e32 v[20:21], v[6:7], v[4:5]
	v_mul_f64_e32 v[22:23], s[8:9], v[80:81]
	v_mul_f64_e32 v[34:35], s[6:7], v[80:81]
	v_add_nc_u64_e32 v[6:7], s[16:17], v[6:7]
	global_store_b128 v[58:59], v[0:3], off offset:768
	global_load_b128 v[0:3], v[20:21], off
	v_fma_f64 v[22:23], s[6:7], v[78:79], -v[22:23]
	v_fmac_f64_e32 v[34:35], s[8:9], v[78:79]
	s_wait_loadcnt 0x0
	v_mul_f64_e32 v[38:39], s[40:41], v[2:3]
	v_mul_f64_e32 v[2:3], s[38:39], v[2:3]
	s_delay_alu instid0(VALU_DEP_2) | instskip(NEXT) | instid1(VALU_DEP_2)
	v_fma_f64 v[38:39], s[38:39], v[0:1], -v[38:39]
	v_fmac_f64_e32 v[2:3], s[40:41], v[0:1]
	s_delay_alu instid0(VALU_DEP_2) | instskip(NEXT) | instid1(VALU_DEP_2)
	v_add_f64_e32 v[0:1], v[22:23], v[38:39]
	v_add_f64_e32 v[2:3], v[34:35], v[2:3]
	v_add_nc_u64_e32 v[22:23], s[20:21], v[36:37]
	v_mul_f64_e32 v[36:37], s[8:9], v[74:75]
	v_mul_f64_e32 v[38:39], s[6:7], v[74:75]
	s_delay_alu instid0(VALU_DEP_3)
	v_add_nc_u64_e32 v[34:35], v[22:23], v[4:5]
	v_add_nc_u64_e32 v[22:23], s[20:21], v[22:23]
	global_store_b128 v[34:35], v[0:3], off
	global_load_b128 v[0:3], v[20:21], off offset:256
	v_fma_f64 v[36:37], s[6:7], v[70:71], -v[36:37]
	v_fmac_f64_e32 v[38:39], s[8:9], v[70:71]
	s_wait_loadcnt 0x0
	v_mul_f64_e32 v[40:41], s[40:41], v[2:3]
	v_mul_f64_e32 v[2:3], s[38:39], v[2:3]
	s_delay_alu instid0(VALU_DEP_2) | instskip(NEXT) | instid1(VALU_DEP_2)
	v_fma_f64 v[40:41], s[38:39], v[0:1], -v[40:41]
	v_fmac_f64_e32 v[2:3], s[40:41], v[0:1]
	s_delay_alu instid0(VALU_DEP_2) | instskip(NEXT) | instid1(VALU_DEP_2)
	v_add_f64_e32 v[0:1], v[36:37], v[40:41]
	v_add_f64_e32 v[2:3], v[38:39], v[2:3]
	v_mul_f64_e32 v[36:37], s[8:9], v[66:67]
	v_mul_f64_e32 v[38:39], s[6:7], v[66:67]
	global_store_b128 v[34:35], v[0:3], off offset:256
	global_load_b128 v[0:3], v[20:21], off offset:512
	v_fma_f64 v[36:37], s[6:7], v[62:63], -v[36:37]
	v_fmac_f64_e32 v[38:39], s[8:9], v[62:63]
	s_wait_loadcnt 0x0
	v_mul_f64_e32 v[40:41], s[40:41], v[2:3]
	v_mul_f64_e32 v[2:3], s[38:39], v[2:3]
	s_delay_alu instid0(VALU_DEP_2) | instskip(NEXT) | instid1(VALU_DEP_2)
	v_fma_f64 v[40:41], s[38:39], v[0:1], -v[40:41]
	v_fmac_f64_e32 v[2:3], s[40:41], v[0:1]
	s_delay_alu instid0(VALU_DEP_2) | instskip(NEXT) | instid1(VALU_DEP_2)
	v_add_f64_e32 v[0:1], v[36:37], v[40:41]
	v_add_f64_e32 v[2:3], v[38:39], v[2:3]
	v_mul_f64_e32 v[36:37], s[6:7], v[54:55]
	global_store_b128 v[34:35], v[0:3], off offset:512
	global_load_b128 v[0:3], v[20:21], off offset:768
	s_wait_xcnt 0x0
	v_mul_f64_e32 v[20:21], s[8:9], v[54:55]
	v_fmac_f64_e32 v[36:37], s[8:9], v[50:51]
	s_delay_alu instid0(VALU_DEP_2) | instskip(SKIP_3) | instid1(VALU_DEP_2)
	v_fma_f64 v[20:21], s[6:7], v[50:51], -v[20:21]
	s_wait_loadcnt 0x0
	v_mul_f64_e32 v[38:39], s[40:41], v[2:3]
	v_mul_f64_e32 v[2:3], s[38:39], v[2:3]
	v_fma_f64 v[38:39], s[38:39], v[0:1], -v[38:39]
	s_delay_alu instid0(VALU_DEP_2) | instskip(NEXT) | instid1(VALU_DEP_2)
	v_fmac_f64_e32 v[2:3], s[40:41], v[0:1]
	v_add_f64_e32 v[0:1], v[20:21], v[38:39]
	s_delay_alu instid0(VALU_DEP_2) | instskip(SKIP_3) | instid1(VALU_DEP_1)
	v_add_f64_e32 v[2:3], v[36:37], v[2:3]
	v_add_nc_u64_e32 v[20:21], v[6:7], v[4:5]
	v_mul_f64_e32 v[36:37], s[6:7], v[76:77]
	v_add_nc_u64_e32 v[6:7], s[16:17], v[6:7]
	v_add_nc_u64_e32 v[6:7], v[6:7], v[4:5]
	global_store_b128 v[34:35], v[0:3], off offset:768
	global_load_b128 v[0:3], v[20:21], off
	v_mul_f64_e32 v[34:35], s[8:9], v[76:77]
	v_fmac_f64_e32 v[36:37], s[8:9], v[72:73]
	s_delay_alu instid0(VALU_DEP_2) | instskip(SKIP_3) | instid1(VALU_DEP_2)
	v_fma_f64 v[34:35], s[6:7], v[72:73], -v[34:35]
	s_wait_loadcnt 0x0
	v_mul_f64_e32 v[38:39], s[40:41], v[2:3]
	v_mul_f64_e32 v[2:3], s[38:39], v[2:3]
	v_fma_f64 v[38:39], s[38:39], v[0:1], -v[38:39]
	s_delay_alu instid0(VALU_DEP_2) | instskip(NEXT) | instid1(VALU_DEP_2)
	v_fmac_f64_e32 v[2:3], s[40:41], v[0:1]
	v_add_f64_e32 v[0:1], v[34:35], v[38:39]
	s_delay_alu instid0(VALU_DEP_2)
	v_add_f64_e32 v[2:3], v[36:37], v[2:3]
	v_add_nc_u64_e32 v[34:35], v[22:23], v[4:5]
	v_mul_f64_e32 v[36:37], s[8:9], v[68:69]
	v_mul_f64_e32 v[38:39], s[6:7], v[68:69]
	global_store_b128 v[34:35], v[0:3], off
	global_load_b128 v[0:3], v[20:21], off offset:256
	v_fma_f64 v[36:37], s[6:7], v[64:65], -v[36:37]
	v_fmac_f64_e32 v[38:39], s[8:9], v[64:65]
	s_wait_loadcnt 0x0
	v_mul_f64_e32 v[40:41], s[40:41], v[2:3]
	v_mul_f64_e32 v[2:3], s[38:39], v[2:3]
	s_delay_alu instid0(VALU_DEP_2) | instskip(NEXT) | instid1(VALU_DEP_2)
	v_fma_f64 v[40:41], s[38:39], v[0:1], -v[40:41]
	v_fmac_f64_e32 v[2:3], s[40:41], v[0:1]
	s_delay_alu instid0(VALU_DEP_2) | instskip(NEXT) | instid1(VALU_DEP_2)
	v_add_f64_e32 v[0:1], v[36:37], v[40:41]
	v_add_f64_e32 v[2:3], v[38:39], v[2:3]
	v_mul_f64_e32 v[36:37], s[8:9], v[56:57]
	v_mul_f64_e32 v[38:39], s[6:7], v[56:57]
	global_store_b128 v[34:35], v[0:3], off offset:256
	global_load_b128 v[0:3], v[20:21], off offset:512
	v_fma_f64 v[36:37], s[6:7], v[52:53], -v[36:37]
	v_fmac_f64_e32 v[38:39], s[8:9], v[52:53]
	s_wait_loadcnt 0x0
	v_mul_f64_e32 v[40:41], s[40:41], v[2:3]
	v_mul_f64_e32 v[2:3], s[38:39], v[2:3]
	s_delay_alu instid0(VALU_DEP_2) | instskip(NEXT) | instid1(VALU_DEP_2)
	v_fma_f64 v[40:41], s[38:39], v[0:1], -v[40:41]
	v_fmac_f64_e32 v[2:3], s[40:41], v[0:1]
	s_delay_alu instid0(VALU_DEP_2) | instskip(NEXT) | instid1(VALU_DEP_2)
	v_add_f64_e32 v[0:1], v[36:37], v[40:41]
	v_add_f64_e32 v[2:3], v[38:39], v[2:3]
	v_mul_f64_e32 v[36:37], s[6:7], v[48:49]
	global_store_b128 v[34:35], v[0:3], off offset:512
	global_load_b128 v[0:3], v[20:21], off offset:768
	s_wait_xcnt 0x0
	v_mul_f64_e32 v[20:21], s[8:9], v[48:49]
	v_fmac_f64_e32 v[36:37], s[8:9], v[44:45]
	s_delay_alu instid0(VALU_DEP_2) | instskip(SKIP_3) | instid1(VALU_DEP_2)
	v_fma_f64 v[20:21], s[6:7], v[44:45], -v[20:21]
	s_wait_loadcnt 0x0
	v_mul_f64_e32 v[38:39], s[40:41], v[2:3]
	v_mul_f64_e32 v[2:3], s[38:39], v[2:3]
	v_fma_f64 v[38:39], s[38:39], v[0:1], -v[38:39]
	s_delay_alu instid0(VALU_DEP_2) | instskip(NEXT) | instid1(VALU_DEP_2)
	v_fmac_f64_e32 v[2:3], s[40:41], v[0:1]
	v_add_f64_e32 v[0:1], v[20:21], v[38:39]
	s_delay_alu instid0(VALU_DEP_2)
	v_add_f64_e32 v[2:3], v[36:37], v[2:3]
	v_mul_f64_e32 v[20:21], s[8:9], v[18:19]
	v_mul_f64_e32 v[18:19], s[6:7], v[18:19]
	global_store_b128 v[34:35], v[0:3], off offset:768
	global_load_b128 v[0:3], v[6:7], off
	v_fma_f64 v[20:21], s[6:7], v[16:17], -v[20:21]
	v_fmac_f64_e32 v[18:19], s[8:9], v[16:17]
	s_wait_loadcnt 0x0
	v_mul_f64_e32 v[34:35], s[40:41], v[2:3]
	v_mul_f64_e32 v[2:3], s[38:39], v[2:3]
	s_delay_alu instid0(VALU_DEP_2) | instskip(NEXT) | instid1(VALU_DEP_2)
	v_fma_f64 v[16:17], s[38:39], v[0:1], -v[34:35]
	v_fmac_f64_e32 v[2:3], s[40:41], v[0:1]
	s_delay_alu instid0(VALU_DEP_2) | instskip(NEXT) | instid1(VALU_DEP_2)
	v_add_f64_e32 v[0:1], v[20:21], v[16:17]
	v_add_f64_e32 v[2:3], v[18:19], v[2:3]
	v_add_nc_u64_e32 v[16:17], s[20:21], v[22:23]
	s_delay_alu instid0(VALU_DEP_1)
	v_add_nc_u64_e32 v[4:5], v[16:17], v[4:5]
	v_mul_f64_e32 v[16:17], s[8:9], v[14:15]
	v_mul_f64_e32 v[14:15], s[6:7], v[14:15]
	global_store_b128 v[4:5], v[0:3], off
	global_load_b128 v[0:3], v[6:7], off offset:256
	v_fma_f64 v[16:17], s[6:7], v[12:13], -v[16:17]
	v_fmac_f64_e32 v[14:15], s[8:9], v[12:13]
	s_wait_loadcnt 0x0
	v_mul_f64_e32 v[18:19], s[40:41], v[2:3]
	v_mul_f64_e32 v[2:3], s[38:39], v[2:3]
	s_delay_alu instid0(VALU_DEP_2) | instskip(NEXT) | instid1(VALU_DEP_2)
	v_fma_f64 v[12:13], s[38:39], v[0:1], -v[18:19]
	v_fmac_f64_e32 v[2:3], s[40:41], v[0:1]
	s_delay_alu instid0(VALU_DEP_2) | instskip(NEXT) | instid1(VALU_DEP_2)
	v_add_f64_e32 v[0:1], v[16:17], v[12:13]
	v_add_f64_e32 v[2:3], v[14:15], v[2:3]
	v_mul_f64_e32 v[12:13], s[8:9], v[10:11]
	v_mul_f64_e32 v[10:11], s[6:7], v[10:11]
	global_store_b128 v[4:5], v[0:3], off offset:256
	global_load_b128 v[0:3], v[6:7], off offset:512
	v_fma_f64 v[12:13], s[6:7], v[8:9], -v[12:13]
	v_fmac_f64_e32 v[10:11], s[8:9], v[8:9]
	s_wait_loadcnt 0x0
	v_mul_f64_e32 v[14:15], s[40:41], v[2:3]
	v_mul_f64_e32 v[2:3], s[38:39], v[2:3]
	s_delay_alu instid0(VALU_DEP_2) | instskip(NEXT) | instid1(VALU_DEP_2)
	v_fma_f64 v[8:9], s[38:39], v[0:1], -v[14:15]
	v_fmac_f64_e32 v[2:3], s[40:41], v[0:1]
	s_delay_alu instid0(VALU_DEP_2) | instskip(NEXT) | instid1(VALU_DEP_2)
	v_add_f64_e32 v[0:1], v[12:13], v[8:9]
	v_add_f64_e32 v[2:3], v[10:11], v[2:3]
	v_mul_f64_e32 v[8:9], s[6:7], v[84:85]
	global_store_b128 v[4:5], v[0:3], off offset:512
	global_load_b128 v[0:3], v[6:7], off offset:768
	s_wait_xcnt 0x0
	v_mul_f64_e32 v[6:7], s[8:9], v[84:85]
	v_fmac_f64_e32 v[8:9], s[8:9], v[82:83]
	s_delay_alu instid0(VALU_DEP_2) | instskip(SKIP_3) | instid1(VALU_DEP_2)
	v_fma_f64 v[6:7], s[6:7], v[82:83], -v[6:7]
	s_wait_loadcnt 0x0
	v_mul_f64_e32 v[10:11], s[40:41], v[2:3]
	v_mul_f64_e32 v[2:3], s[38:39], v[2:3]
	v_fma_f64 v[10:11], s[38:39], v[0:1], -v[10:11]
	s_delay_alu instid0(VALU_DEP_2) | instskip(NEXT) | instid1(VALU_DEP_2)
	v_fmac_f64_e32 v[2:3], s[40:41], v[0:1]
	v_add_f64_e32 v[6:7], v[6:7], v[10:11]
	s_delay_alu instid0(VALU_DEP_2)
	v_add_f64_e32 v[0:1], v[8:9], v[2:3]
	v_add_nc_u64_e32 v[2:3], 0x300, v[4:5]
	global_store_b64 v[4:5], v[6:7], off offset:768
	s_branch .LBB529_2
.LBB529_11:
	s_sendmsg sendmsg(MSG_DEALLOC_VGPRS)
	s_endpgm
	.section	.rodata,"a",@progbits
	.p2align	6, 0x0
	.amdhsa_kernel _ZN12_GLOBAL__N_127rocblas_gemm_batched_kernelI19rocblas_complex_numIdELi16ELi16ELi64ELi64ELi4ELi64ELi4ELi4ELi64ELc78ELc78EKS2_S3_S2_EEvlllT_PT11_llS6_llS4_PT12_llPT13_lli
		.amdhsa_group_segment_fixed_size 8192
		.amdhsa_private_segment_fixed_size 0
		.amdhsa_kernarg_size 156
		.amdhsa_user_sgpr_count 2
		.amdhsa_user_sgpr_dispatch_ptr 0
		.amdhsa_user_sgpr_queue_ptr 0
		.amdhsa_user_sgpr_kernarg_segment_ptr 1
		.amdhsa_user_sgpr_dispatch_id 0
		.amdhsa_user_sgpr_kernarg_preload_length 0
		.amdhsa_user_sgpr_kernarg_preload_offset 0
		.amdhsa_user_sgpr_private_segment_size 0
		.amdhsa_wavefront_size32 1
		.amdhsa_uses_dynamic_stack 0
		.amdhsa_enable_private_segment 0
		.amdhsa_system_sgpr_workgroup_id_x 1
		.amdhsa_system_sgpr_workgroup_id_y 1
		.amdhsa_system_sgpr_workgroup_id_z 1
		.amdhsa_system_sgpr_workgroup_info 0
		.amdhsa_system_vgpr_workitem_id 1
		.amdhsa_next_free_vgpr 144
		.amdhsa_next_free_sgpr 52
		.amdhsa_named_barrier_count 0
		.amdhsa_reserve_vcc 1
		.amdhsa_float_round_mode_32 0
		.amdhsa_float_round_mode_16_64 0
		.amdhsa_float_denorm_mode_32 3
		.amdhsa_float_denorm_mode_16_64 3
		.amdhsa_fp16_overflow 0
		.amdhsa_memory_ordered 1
		.amdhsa_forward_progress 1
		.amdhsa_inst_pref_size 44
		.amdhsa_round_robin_scheduling 0
		.amdhsa_exception_fp_ieee_invalid_op 0
		.amdhsa_exception_fp_denorm_src 0
		.amdhsa_exception_fp_ieee_div_zero 0
		.amdhsa_exception_fp_ieee_overflow 0
		.amdhsa_exception_fp_ieee_underflow 0
		.amdhsa_exception_fp_ieee_inexact 0
		.amdhsa_exception_int_div_zero 0
	.end_amdhsa_kernel
	.section	.text._ZN12_GLOBAL__N_127rocblas_gemm_batched_kernelI19rocblas_complex_numIdELi16ELi16ELi64ELi64ELi4ELi64ELi4ELi4ELi64ELc78ELc78EKS2_S3_S2_EEvlllT_PT11_llS6_llS4_PT12_llPT13_lli,"axG",@progbits,_ZN12_GLOBAL__N_127rocblas_gemm_batched_kernelI19rocblas_complex_numIdELi16ELi16ELi64ELi64ELi4ELi64ELi4ELi4ELi64ELc78ELc78EKS2_S3_S2_EEvlllT_PT11_llS6_llS4_PT12_llPT13_lli,comdat
.Lfunc_end529:
	.size	_ZN12_GLOBAL__N_127rocblas_gemm_batched_kernelI19rocblas_complex_numIdELi16ELi16ELi64ELi64ELi4ELi64ELi4ELi4ELi64ELc78ELc78EKS2_S3_S2_EEvlllT_PT11_llS6_llS4_PT12_llPT13_lli, .Lfunc_end529-_ZN12_GLOBAL__N_127rocblas_gemm_batched_kernelI19rocblas_complex_numIdELi16ELi16ELi64ELi64ELi4ELi64ELi4ELi4ELi64ELc78ELc78EKS2_S3_S2_EEvlllT_PT11_llS6_llS4_PT12_llPT13_lli
                                        ; -- End function
	.set _ZN12_GLOBAL__N_127rocblas_gemm_batched_kernelI19rocblas_complex_numIdELi16ELi16ELi64ELi64ELi4ELi64ELi4ELi4ELi64ELc78ELc78EKS2_S3_S2_EEvlllT_PT11_llS6_llS4_PT12_llPT13_lli.num_vgpr, 144
	.set _ZN12_GLOBAL__N_127rocblas_gemm_batched_kernelI19rocblas_complex_numIdELi16ELi16ELi64ELi64ELi4ELi64ELi4ELi4ELi64ELc78ELc78EKS2_S3_S2_EEvlllT_PT11_llS6_llS4_PT12_llPT13_lli.num_agpr, 0
	.set _ZN12_GLOBAL__N_127rocblas_gemm_batched_kernelI19rocblas_complex_numIdELi16ELi16ELi64ELi64ELi4ELi64ELi4ELi4ELi64ELc78ELc78EKS2_S3_S2_EEvlllT_PT11_llS6_llS4_PT12_llPT13_lli.numbered_sgpr, 52
	.set _ZN12_GLOBAL__N_127rocblas_gemm_batched_kernelI19rocblas_complex_numIdELi16ELi16ELi64ELi64ELi4ELi64ELi4ELi4ELi64ELc78ELc78EKS2_S3_S2_EEvlllT_PT11_llS6_llS4_PT12_llPT13_lli.num_named_barrier, 0
	.set _ZN12_GLOBAL__N_127rocblas_gemm_batched_kernelI19rocblas_complex_numIdELi16ELi16ELi64ELi64ELi4ELi64ELi4ELi4ELi64ELc78ELc78EKS2_S3_S2_EEvlllT_PT11_llS6_llS4_PT12_llPT13_lli.private_seg_size, 0
	.set _ZN12_GLOBAL__N_127rocblas_gemm_batched_kernelI19rocblas_complex_numIdELi16ELi16ELi64ELi64ELi4ELi64ELi4ELi4ELi64ELc78ELc78EKS2_S3_S2_EEvlllT_PT11_llS6_llS4_PT12_llPT13_lli.uses_vcc, 1
	.set _ZN12_GLOBAL__N_127rocblas_gemm_batched_kernelI19rocblas_complex_numIdELi16ELi16ELi64ELi64ELi4ELi64ELi4ELi4ELi64ELc78ELc78EKS2_S3_S2_EEvlllT_PT11_llS6_llS4_PT12_llPT13_lli.uses_flat_scratch, 0
	.set _ZN12_GLOBAL__N_127rocblas_gemm_batched_kernelI19rocblas_complex_numIdELi16ELi16ELi64ELi64ELi4ELi64ELi4ELi4ELi64ELc78ELc78EKS2_S3_S2_EEvlllT_PT11_llS6_llS4_PT12_llPT13_lli.has_dyn_sized_stack, 0
	.set _ZN12_GLOBAL__N_127rocblas_gemm_batched_kernelI19rocblas_complex_numIdELi16ELi16ELi64ELi64ELi4ELi64ELi4ELi4ELi64ELc78ELc78EKS2_S3_S2_EEvlllT_PT11_llS6_llS4_PT12_llPT13_lli.has_recursion, 0
	.set _ZN12_GLOBAL__N_127rocblas_gemm_batched_kernelI19rocblas_complex_numIdELi16ELi16ELi64ELi64ELi4ELi64ELi4ELi4ELi64ELc78ELc78EKS2_S3_S2_EEvlllT_PT11_llS6_llS4_PT12_llPT13_lli.has_indirect_call, 0
	.section	.AMDGPU.csdata,"",@progbits
; Kernel info:
; codeLenInByte = 5628
; TotalNumSgprs: 54
; NumVgprs: 144
; ScratchSize: 0
; MemoryBound: 0
; FloatMode: 240
; IeeeMode: 1
; LDSByteSize: 8192 bytes/workgroup (compile time only)
; SGPRBlocks: 0
; VGPRBlocks: 8
; NumSGPRsForWavesPerEU: 54
; NumVGPRsForWavesPerEU: 144
; NamedBarCnt: 0
; Occupancy: 7
; WaveLimiterHint : 1
; COMPUTE_PGM_RSRC2:SCRATCH_EN: 0
; COMPUTE_PGM_RSRC2:USER_SGPR: 2
; COMPUTE_PGM_RSRC2:TRAP_HANDLER: 0
; COMPUTE_PGM_RSRC2:TGID_X_EN: 1
; COMPUTE_PGM_RSRC2:TGID_Y_EN: 1
; COMPUTE_PGM_RSRC2:TGID_Z_EN: 1
; COMPUTE_PGM_RSRC2:TIDIG_COMP_CNT: 1
	.section	.text._ZN12_GLOBAL__N_127rocblas_gemm_batched_kernelI19rocblas_complex_numIdELi16ELi16ELi64ELi64ELi4ELi64ELi4ELi4ELi64ELc84ELc78EKS2_S3_S2_EEvlllT_PT11_llS6_llS4_PT12_llPT13_lli,"axG",@progbits,_ZN12_GLOBAL__N_127rocblas_gemm_batched_kernelI19rocblas_complex_numIdELi16ELi16ELi64ELi64ELi4ELi64ELi4ELi4ELi64ELc84ELc78EKS2_S3_S2_EEvlllT_PT11_llS6_llS4_PT12_llPT13_lli,comdat
	.globl	_ZN12_GLOBAL__N_127rocblas_gemm_batched_kernelI19rocblas_complex_numIdELi16ELi16ELi64ELi64ELi4ELi64ELi4ELi4ELi64ELc84ELc78EKS2_S3_S2_EEvlllT_PT11_llS6_llS4_PT12_llPT13_lli ; -- Begin function _ZN12_GLOBAL__N_127rocblas_gemm_batched_kernelI19rocblas_complex_numIdELi16ELi16ELi64ELi64ELi4ELi64ELi4ELi4ELi64ELc84ELc78EKS2_S3_S2_EEvlllT_PT11_llS6_llS4_PT12_llPT13_lli
	.p2align	8
	.type	_ZN12_GLOBAL__N_127rocblas_gemm_batched_kernelI19rocblas_complex_numIdELi16ELi16ELi64ELi64ELi4ELi64ELi4ELi4ELi64ELc84ELc78EKS2_S3_S2_EEvlllT_PT11_llS6_llS4_PT12_llPT13_lli,@function
_ZN12_GLOBAL__N_127rocblas_gemm_batched_kernelI19rocblas_complex_numIdELi16ELi16ELi64ELi64ELi4ELi64ELi4ELi4ELi64ELc84ELc78EKS2_S3_S2_EEvlllT_PT11_llS6_llS4_PT12_llPT13_lli: ; @_ZN12_GLOBAL__N_127rocblas_gemm_batched_kernelI19rocblas_complex_numIdELi16ELi16ELi64ELi64ELi4ELi64ELi4ELi4ELi64ELc84ELc78EKS2_S3_S2_EEvlllT_PT11_llS6_llS4_PT12_llPT13_lli
; %bb.0:
	s_load_b32 s22, s[0:1], 0x98
	s_bfe_u32 s2, ttmp6, 0x40014
	s_lshr_b32 s3, ttmp7, 16
	s_add_co_i32 s2, s2, 1
	s_bfe_u32 s4, ttmp6, 0x40008
	s_mul_i32 s2, s3, s2
	s_getreg_b32 s20, hwreg(HW_REG_IB_STS2, 6, 4)
	s_add_co_i32 s4, s4, s2
	s_cmp_eq_u32 s20, 0
	s_cselect_b32 s2, s3, s4
	s_mov_b32 s3, 0
	s_wait_kmcnt 0x0
	s_cmp_ge_i32 s2, s22
	s_cbranch_scc1 .LBB530_11
; %bb.1:
	v_bfe_u32 v2, v0, 10, 10
	v_and_b32_e32 v4, 0x3ff, v0
	s_bfe_u32 s21, ttmp6, 0x4000c
	s_bfe_u32 s24, ttmp6, 0x40010
	s_clause 0x1
	s_load_b512 s[4:19], s[0:1], 0x10
	s_load_b512 s[36:51], s[0:1], 0x50
	s_add_co_i32 s21, s21, 1
	s_and_b32 s25, ttmp7, 0xffff
	s_add_co_i32 s24, s24, 1
	v_lshl_add_u32 v1, v2, 4, v4
	v_mov_b32_e32 v3, 0
	s_and_b32 s23, ttmp6, 15
	s_mul_i32 s21, ttmp9, s21
	s_mul_i32 s24, s25, s24
	s_bfe_u32 s26, ttmp6, 0x40004
	s_add_co_i32 s23, s23, s21
	s_add_co_i32 s26, s26, s24
	s_cmp_eq_u32 s20, 0
	v_dual_lshrrev_b32 v6, 2, v1 :: v_dual_bitop2_b32 v16, 63, v1 bitop3:0x40
	v_mov_b32_e32 v7, v3
	s_cselect_b32 s20, ttmp9, s23
	s_cselect_b32 s23, s25, s26
	s_ashr_i32 s21, s20, 31
	s_lshl_b32 s24, s23, 6
	s_mov_b32 s25, s3
	s_lshl_b64 s[20:21], s[20:21], 6
	v_add_nc_u64_e32 v[8:9], s[24:25], v[6:7]
	v_dual_mov_b32 v11, s21 :: v_dual_bitop2_b32 v10, s20, v16 bitop3:0x54
	v_add_nc_u64_e32 v[12:13], s[24:25], v[2:3]
	s_wait_kmcnt 0x0
	v_cmp_eq_f64_e64 s23, s[38:39], 0
	v_cmp_eq_f64_e64 s24, s[40:41], 0
	v_dual_mov_b32 v5, v3 :: v_dual_lshlrev_b32 v0, 4, v0
	v_mul_u64_e32 v[10:11], s[12:13], v[10:11]
	v_mul_u64_e32 v[8:9], s[18:19], v[8:9]
	;; [unrolled: 1-line block ×4, first 2 shown]
	v_dual_lshrrev_b32 v7, 6, v1 :: v_dual_bitop2_b32 v0, 48, v0 bitop3:0x40
	s_load_b64 s[12:13], s[0:1], 0x90
	v_dual_mov_b32 v1, v3 :: v_dual_lshlrev_b32 v98, 4, v4
	v_lshl_add_u32 v99, v2, 6, 0x1000
	s_delay_alu instid0(VALU_DEP_3)
	v_dual_lshlrev_b32 v12, 4, v16 :: v_dual_lshlrev_b32 v2, 4, v7
	s_wait_xcnt 0x0
	v_cmp_gt_i64_e64 s0, s[4:5], 0
	v_lshl_or_b32 v6, v6, 6, v0
	v_add_nc_u64_e32 v[26:27], s[20:21], v[4:5]
	v_lshl_or_b32 v100, v7, 10, v12
	s_lshl_b64 s[18:19], s[50:51], 4
	s_lshl_b64 s[20:21], s[44:45], 4
	v_add_nc_u32_e32 v101, 0x1000, v6
	v_cndmask_b32_e64 v4, 0, 1, s0
	s_lshl_b64 s[18:19], s[18:19], 4
	s_delay_alu instid0(VALU_DEP_1) | instskip(SKIP_4) | instid1(VALU_DEP_3)
	v_cmp_ne_u32_e64 s0, 1, v4
	s_and_b32 s1, s23, s24
	v_lshl_add_u64 v[2:3], v[10:11], 4, v[2:3]
	v_lshl_add_u64 v[0:1], v[8:9], 4, v[0:1]
	;; [unrolled: 1-line block ×3, first 2 shown]
	v_add_nc_u64_e32 v[30:31], s[10:11], v[2:3]
	s_delay_alu instid0(VALU_DEP_3)
	v_add_nc_u64_e32 v[32:33], s[16:17], v[0:1]
	s_lshl_b64 s[10:11], s[14:15], 4
	s_lshl_b64 s[14:15], s[36:37], 4
	;; [unrolled: 1-line block ×3, first 2 shown]
	s_branch .LBB530_3
.LBB530_2:                              ;   in Loop: Header=BB530_3 Depth=1
	s_add_co_i32 s2, s2, 0x10000
	global_store_b64 v[2:3], v[0:1], off offset:8
	s_cmp_lt_i32 s2, s22
	s_cbranch_scc0 .LBB530_11
.LBB530_3:                              ; =>This Loop Header: Depth=1
                                        ;     Child Loop BB530_5 Depth 2
	s_and_b32 vcc_lo, exec_lo, s0
	s_cbranch_vccnz .LBB530_6
; %bb.4:                                ;   in Loop: Header=BB530_3 Depth=1
	s_wait_xcnt 0x7
	v_mad_nc_u64_u32 v[34:35], s10, s2, v[30:31]
	v_mad_nc_u64_u32 v[36:37], s14, s2, v[32:33]
	v_mov_b64_e32 v[84:85], 0
	v_mov_b64_e32 v[82:83], 0
	;; [unrolled: 1-line block ×9, first 2 shown]
	v_mad_u32 v35, s11, s2, v35
	v_mad_u32 v37, s15, s2, v37
	v_mov_b64_e32 v[44:45], 0
	v_mov_b64_e32 v[56:57], 0
	;; [unrolled: 1-line block ×23, first 2 shown]
	s_mov_b64 s[20:21], 0
.LBB530_5:                              ;   Parent Loop BB530_3 Depth=1
                                        ; =>  This Inner Loop Header: Depth=2
	global_load_b128 v[0:3], v[34:35], off
	s_add_nc_u64 s[20:21], s[20:21], 4
	s_wait_xcnt 0x0
	v_add_nc_u64_e32 v[34:35], 64, v[34:35]
	v_cmp_lt_i64_e64 s23, s[20:21], s[4:5]
	s_and_b32 vcc_lo, exec_lo, s23
	s_wait_loadcnt 0x0
	ds_store_2addr_b64 v100, v[0:1], v[2:3] offset1:1
	global_load_b128 v[0:3], v[36:37], off
	s_wait_xcnt 0x0
	v_add_nc_u64_e32 v[36:37], 64, v[36:37]
	s_wait_loadcnt 0x0
	ds_store_2addr_b64 v101, v[0:1], v[2:3] offset1:1
	s_wait_dscnt 0x0
	s_barrier_signal -1
	s_barrier_wait -1
	ds_load_b128 v[86:89], v99
	ds_load_b128 v[90:93], v99 offset:16
	ds_load_b128 v[4:7], v99 offset:32
	;; [unrolled: 1-line block ×3, first 2 shown]
	ds_load_b128 v[94:97], v98
	s_wait_dscnt 0x0
	v_mul_f64_e32 v[102:103], v[88:89], v[96:97]
	v_mul_f64_e32 v[104:105], v[86:87], v[96:97]
	s_delay_alu instid0(VALU_DEP_2) | instskip(NEXT) | instid1(VALU_DEP_2)
	v_fma_f64 v[102:103], v[86:87], v[94:95], -v[102:103]
	v_fmac_f64_e32 v[104:105], v[88:89], v[94:95]
	s_delay_alu instid0(VALU_DEP_2) | instskip(NEXT) | instid1(VALU_DEP_2)
	v_add_f64_e32 v[106:107], v[58:59], v[102:103]
	v_add_f64_e32 v[108:109], v[104:105], v[60:61]
	ds_load_b128 v[58:61], v98 offset:256
	s_wait_dscnt 0x0
	v_mul_f64_e32 v[102:103], v[88:89], v[60:61]
	v_mul_f64_e32 v[104:105], v[86:87], v[60:61]
	s_delay_alu instid0(VALU_DEP_2) | instskip(NEXT) | instid1(VALU_DEP_2)
	v_fma_f64 v[102:103], v[86:87], v[58:59], -v[102:103]
	v_fmac_f64_e32 v[104:105], v[88:89], v[58:59]
	s_delay_alu instid0(VALU_DEP_2) | instskip(NEXT) | instid1(VALU_DEP_2)
	v_add_f64_e32 v[42:43], v[42:43], v[102:103]
	v_add_f64_e32 v[110:111], v[104:105], v[46:47]
	ds_load_b128 v[102:105], v98 offset:512
	;; [unrolled: 10-line block ×3, first 2 shown]
	s_wait_dscnt 0x0
	v_mul_f64_e32 v[46:47], v[88:89], v[40:41]
	s_delay_alu instid0(VALU_DEP_1) | instskip(SKIP_1) | instid1(VALU_DEP_1)
	v_fma_f64 v[46:47], v[86:87], v[38:39], -v[46:47]
	v_mul_f64_e32 v[86:87], v[86:87], v[40:41]
	v_fmac_f64_e32 v[86:87], v[88:89], v[38:39]
	s_delay_alu instid0(VALU_DEP_3) | instskip(NEXT) | instid1(VALU_DEP_2)
	v_add_f64_e32 v[88:89], v[20:21], v[46:47]
	v_add_f64_e32 v[86:87], v[86:87], v[22:23]
	ds_load_b128 v[20:23], v99 offset:1024
	s_wait_dscnt 0x0
	v_mul_f64_e32 v[46:47], v[22:23], v[96:97]
	v_mul_f64_e32 v[116:117], v[20:21], v[96:97]
	s_delay_alu instid0(VALU_DEP_2) | instskip(NEXT) | instid1(VALU_DEP_2)
	v_fma_f64 v[46:47], v[20:21], v[94:95], -v[46:47]
	v_fmac_f64_e32 v[116:117], v[22:23], v[94:95]
	s_delay_alu instid0(VALU_DEP_2) | instskip(SKIP_1) | instid1(VALU_DEP_3)
	v_add_f64_e32 v[78:79], v[78:79], v[46:47]
	v_mul_f64_e32 v[46:47], v[22:23], v[60:61]
	v_add_f64_e32 v[80:81], v[116:117], v[80:81]
	v_mul_f64_e32 v[116:117], v[20:21], v[60:61]
	s_delay_alu instid0(VALU_DEP_3) | instskip(NEXT) | instid1(VALU_DEP_2)
	v_fma_f64 v[46:47], v[20:21], v[58:59], -v[46:47]
	v_fmac_f64_e32 v[116:117], v[22:23], v[58:59]
	s_delay_alu instid0(VALU_DEP_2) | instskip(SKIP_2) | instid1(VALU_DEP_4)
	v_add_f64_e32 v[118:119], v[70:71], v[46:47]
	v_mul_f64_e32 v[46:47], v[22:23], v[104:105]
	v_mul_f64_e32 v[70:71], v[20:21], v[104:105]
	v_add_f64_e32 v[116:117], v[116:117], v[74:75]
	s_delay_alu instid0(VALU_DEP_3) | instskip(NEXT) | instid1(VALU_DEP_3)
	v_fma_f64 v[46:47], v[20:21], v[102:103], -v[46:47]
	v_fmac_f64_e32 v[70:71], v[22:23], v[102:103]
	s_delay_alu instid0(VALU_DEP_2) | instskip(SKIP_1) | instid1(VALU_DEP_3)
	v_add_f64_e32 v[120:121], v[62:63], v[46:47]
	v_mul_f64_e32 v[46:47], v[22:23], v[40:41]
	v_add_f64_e32 v[122:123], v[70:71], v[66:67]
	s_delay_alu instid0(VALU_DEP_2) | instskip(SKIP_1) | instid1(VALU_DEP_2)
	v_fma_f64 v[46:47], v[20:21], v[38:39], -v[46:47]
	v_mul_f64_e32 v[20:21], v[20:21], v[40:41]
	v_add_f64_e32 v[124:125], v[50:51], v[46:47]
	s_delay_alu instid0(VALU_DEP_2) | instskip(NEXT) | instid1(VALU_DEP_1)
	v_fmac_f64_e32 v[20:21], v[22:23], v[38:39]
	v_add_f64_e32 v[126:127], v[20:21], v[54:55]
	ds_load_b128 v[20:23], v99 offset:2048
	s_wait_dscnt 0x0
	v_mul_f64_e32 v[46:47], v[22:23], v[96:97]
	v_mul_f64_e32 v[50:51], v[20:21], v[96:97]
	s_delay_alu instid0(VALU_DEP_2) | instskip(NEXT) | instid1(VALU_DEP_2)
	v_fma_f64 v[46:47], v[20:21], v[94:95], -v[46:47]
	v_fmac_f64_e32 v[50:51], v[22:23], v[94:95]
	s_delay_alu instid0(VALU_DEP_2) | instskip(SKIP_1) | instid1(VALU_DEP_3)
	v_add_f64_e32 v[128:129], v[72:73], v[46:47]
	v_mul_f64_e32 v[46:47], v[22:23], v[60:61]
	v_add_f64_e32 v[130:131], v[50:51], v[76:77]
	v_mul_f64_e32 v[50:51], v[20:21], v[60:61]
	s_delay_alu instid0(VALU_DEP_3) | instskip(NEXT) | instid1(VALU_DEP_2)
	v_fma_f64 v[46:47], v[20:21], v[58:59], -v[46:47]
	v_fmac_f64_e32 v[50:51], v[22:23], v[58:59]
	s_delay_alu instid0(VALU_DEP_2) | instskip(SKIP_1) | instid1(VALU_DEP_3)
	v_add_f64_e32 v[132:133], v[64:65], v[46:47]
	v_mul_f64_e32 v[46:47], v[22:23], v[104:105]
	v_add_f64_e32 v[134:135], v[50:51], v[68:69]
	v_mul_f64_e32 v[50:51], v[20:21], v[104:105]
	s_delay_alu instid0(VALU_DEP_3) | instskip(NEXT) | instid1(VALU_DEP_2)
	v_fma_f64 v[46:47], v[20:21], v[102:103], -v[46:47]
	v_fmac_f64_e32 v[50:51], v[22:23], v[102:103]
	s_delay_alu instid0(VALU_DEP_2) | instskip(SKIP_1) | instid1(VALU_DEP_3)
	v_add_f64_e32 v[136:137], v[52:53], v[46:47]
	v_mul_f64_e32 v[46:47], v[22:23], v[40:41]
	v_add_f64_e32 v[138:139], v[50:51], v[56:57]
	s_delay_alu instid0(VALU_DEP_2) | instskip(SKIP_1) | instid1(VALU_DEP_2)
	v_fma_f64 v[46:47], v[20:21], v[38:39], -v[46:47]
	v_mul_f64_e32 v[20:21], v[20:21], v[40:41]
	v_add_f64_e32 v[140:141], v[44:45], v[46:47]
	s_delay_alu instid0(VALU_DEP_2) | instskip(NEXT) | instid1(VALU_DEP_1)
	v_fmac_f64_e32 v[20:21], v[22:23], v[38:39]
	v_add_f64_e32 v[142:143], v[20:21], v[48:49]
	ds_load_b128 v[20:23], v99 offset:3072
	s_wait_dscnt 0x0
	v_mul_f64_e32 v[44:45], v[22:23], v[96:97]
	v_mul_f64_e32 v[46:47], v[20:21], v[96:97]
	s_delay_alu instid0(VALU_DEP_2) | instskip(NEXT) | instid1(VALU_DEP_2)
	v_fma_f64 v[44:45], v[20:21], v[94:95], -v[44:45]
	v_fmac_f64_e32 v[46:47], v[22:23], v[94:95]
	s_delay_alu instid0(VALU_DEP_2) | instskip(NEXT) | instid1(VALU_DEP_2)
	v_add_f64_e32 v[66:67], v[16:17], v[44:45]
	v_add_f64_e32 v[68:69], v[46:47], v[18:19]
	v_mul_f64_e32 v[16:17], v[22:23], v[60:61]
	v_mul_f64_e32 v[18:19], v[20:21], v[60:61]
	s_delay_alu instid0(VALU_DEP_2) | instskip(NEXT) | instid1(VALU_DEP_2)
	v_fma_f64 v[16:17], v[20:21], v[58:59], -v[16:17]
	v_fmac_f64_e32 v[18:19], v[22:23], v[58:59]
	s_delay_alu instid0(VALU_DEP_2) | instskip(NEXT) | instid1(VALU_DEP_2)
	v_add_f64_e32 v[62:63], v[12:13], v[16:17]
	v_add_f64_e32 v[64:65], v[18:19], v[14:15]
	v_mul_f64_e32 v[12:13], v[22:23], v[104:105]
	v_mul_f64_e32 v[14:15], v[20:21], v[104:105]
	ds_load_b128 v[16:19], v98 offset:1280
	v_fma_f64 v[12:13], v[20:21], v[102:103], -v[12:13]
	v_fmac_f64_e32 v[14:15], v[22:23], v[102:103]
	s_delay_alu instid0(VALU_DEP_2) | instskip(NEXT) | instid1(VALU_DEP_2)
	v_add_f64_e32 v[58:59], v[8:9], v[12:13]
	v_add_f64_e32 v[60:61], v[14:15], v[10:11]
	v_mul_f64_e32 v[8:9], v[22:23], v[40:41]
	v_mul_f64_e32 v[10:11], v[20:21], v[40:41]
	ds_load_b128 v[12:15], v98 offset:1536
	v_fma_f64 v[8:9], v[20:21], v[38:39], -v[8:9]
	v_fmac_f64_e32 v[10:11], v[22:23], v[38:39]
	ds_load_b128 v[20:23], v98 offset:1024
	v_add_f64_e32 v[54:55], v[82:83], v[8:9]
	v_add_f64_e32 v[56:57], v[10:11], v[84:85]
	s_wait_dscnt 0x0
	v_mul_f64_e32 v[8:9], v[92:93], v[22:23]
	v_mul_f64_e32 v[10:11], v[90:91], v[22:23]
	ds_load_b128 v[82:85], v99 offset:1040
	s_wait_dscnt 0x0
	v_mul_f64_e32 v[70:71], v[84:85], v[22:23]
	v_mul_f64_e32 v[72:73], v[82:83], v[22:23]
	;; [unrolled: 1-line block ×4, first 2 shown]
	v_fma_f64 v[8:9], v[90:91], v[20:21], -v[8:9]
	v_fmac_f64_e32 v[10:11], v[92:93], v[20:21]
	v_fma_f64 v[70:71], v[82:83], v[20:21], -v[70:71]
	v_fmac_f64_e32 v[72:73], v[84:85], v[20:21]
	v_fma_f64 v[74:75], v[82:83], v[16:17], -v[74:75]
	v_fmac_f64_e32 v[76:77], v[84:85], v[16:17]
	v_add_f64_e32 v[50:51], v[106:107], v[8:9]
	v_add_f64_e32 v[52:53], v[10:11], v[108:109]
	v_mul_f64_e32 v[8:9], v[92:93], v[18:19]
	v_mul_f64_e32 v[10:11], v[90:91], v[18:19]
	v_add_f64_e32 v[70:71], v[78:79], v[70:71]
	v_add_f64_e32 v[72:73], v[72:73], v[80:81]
	v_mul_f64_e32 v[78:79], v[84:85], v[14:15]
	v_mul_f64_e32 v[80:81], v[82:83], v[14:15]
	v_add_f64_e32 v[74:75], v[118:119], v[74:75]
	v_add_f64_e32 v[76:77], v[76:77], v[116:117]
	v_fma_f64 v[8:9], v[90:91], v[16:17], -v[8:9]
	v_fmac_f64_e32 v[10:11], v[92:93], v[16:17]
	v_fma_f64 v[78:79], v[82:83], v[12:13], -v[78:79]
	v_fmac_f64_e32 v[80:81], v[84:85], v[12:13]
	s_delay_alu instid0(VALU_DEP_4) | instskip(NEXT) | instid1(VALU_DEP_4)
	v_add_f64_e32 v[46:47], v[42:43], v[8:9]
	v_add_f64_e32 v[48:49], v[10:11], v[110:111]
	v_mul_f64_e32 v[8:9], v[92:93], v[14:15]
	v_mul_f64_e32 v[10:11], v[90:91], v[14:15]
	v_add_f64_e32 v[78:79], v[120:121], v[78:79]
	v_add_f64_e32 v[80:81], v[80:81], v[122:123]
	s_delay_alu instid0(VALU_DEP_4) | instskip(NEXT) | instid1(VALU_DEP_4)
	v_fma_f64 v[8:9], v[90:91], v[12:13], -v[8:9]
	v_fmac_f64_e32 v[10:11], v[92:93], v[12:13]
	s_delay_alu instid0(VALU_DEP_2) | instskip(NEXT) | instid1(VALU_DEP_2)
	v_add_f64_e32 v[42:43], v[114:115], v[8:9]
	v_add_f64_e32 v[44:45], v[10:11], v[112:113]
	ds_load_b128 v[8:11], v98 offset:1792
	s_wait_dscnt 0x0
	v_mul_f64_e32 v[38:39], v[92:93], v[10:11]
	v_mul_f64_e32 v[40:41], v[90:91], v[10:11]
	s_delay_alu instid0(VALU_DEP_2) | instskip(NEXT) | instid1(VALU_DEP_2)
	v_fma_f64 v[38:39], v[90:91], v[8:9], -v[38:39]
	v_fmac_f64_e32 v[40:41], v[92:93], v[8:9]
	s_delay_alu instid0(VALU_DEP_2) | instskip(NEXT) | instid1(VALU_DEP_2)
	v_add_f64_e32 v[38:39], v[88:89], v[38:39]
	v_add_f64_e32 v[40:41], v[40:41], v[86:87]
	v_mul_f64_e32 v[86:87], v[84:85], v[10:11]
	v_mul_f64_e32 v[88:89], v[82:83], v[10:11]
	s_delay_alu instid0(VALU_DEP_2) | instskip(NEXT) | instid1(VALU_DEP_2)
	v_fma_f64 v[86:87], v[82:83], v[8:9], -v[86:87]
	v_fmac_f64_e32 v[88:89], v[84:85], v[8:9]
	s_delay_alu instid0(VALU_DEP_2) | instskip(NEXT) | instid1(VALU_DEP_2)
	v_add_f64_e32 v[82:83], v[124:125], v[86:87]
	v_add_f64_e32 v[84:85], v[88:89], v[126:127]
	ds_load_b128 v[86:89], v99 offset:2064
	s_wait_dscnt 0x0
	v_mul_f64_e32 v[90:91], v[88:89], v[22:23]
	v_mul_f64_e32 v[94:95], v[88:89], v[18:19]
	;; [unrolled: 1-line block ×7, first 2 shown]
	v_fma_f64 v[90:91], v[86:87], v[20:21], -v[90:91]
	v_fma_f64 v[94:95], v[86:87], v[16:17], -v[94:95]
	;; [unrolled: 1-line block ×4, first 2 shown]
	v_mul_f64_e32 v[86:87], v[86:87], v[10:11]
	v_fmac_f64_e32 v[92:93], v[88:89], v[20:21]
	v_fmac_f64_e32 v[96:97], v[88:89], v[16:17]
	;; [unrolled: 1-line block ×3, first 2 shown]
	v_add_f64_e32 v[90:91], v[128:129], v[90:91]
	v_add_f64_e32 v[94:95], v[132:133], v[94:95]
	;; [unrolled: 1-line block ×4, first 2 shown]
	v_fmac_f64_e32 v[86:87], v[88:89], v[8:9]
	v_add_f64_e32 v[92:93], v[92:93], v[130:131]
	v_add_f64_e32 v[96:97], v[96:97], v[134:135]
	;; [unrolled: 1-line block ×3, first 2 shown]
	s_delay_alu instid0(VALU_DEP_4) | instskip(SKIP_4) | instid1(VALU_DEP_2)
	v_add_f64_e32 v[108:109], v[86:87], v[142:143]
	ds_load_b128 v[86:89], v99 offset:3088
	s_wait_dscnt 0x0
	v_mul_f64_e32 v[110:111], v[88:89], v[22:23]
	v_mul_f64_e32 v[22:23], v[86:87], v[22:23]
	v_fma_f64 v[110:111], v[86:87], v[20:21], -v[110:111]
	s_delay_alu instid0(VALU_DEP_2) | instskip(SKIP_2) | instid1(VALU_DEP_4)
	v_fmac_f64_e32 v[22:23], v[88:89], v[20:21]
	v_mul_f64_e32 v[20:21], v[88:89], v[18:19]
	v_mul_f64_e32 v[18:19], v[86:87], v[18:19]
	v_add_f64_e32 v[66:67], v[66:67], v[110:111]
	s_delay_alu instid0(VALU_DEP_4) | instskip(NEXT) | instid1(VALU_DEP_4)
	v_add_f64_e32 v[68:69], v[22:23], v[68:69]
	v_fma_f64 v[20:21], v[86:87], v[16:17], -v[20:21]
	s_delay_alu instid0(VALU_DEP_4) | instskip(SKIP_2) | instid1(VALU_DEP_4)
	v_fmac_f64_e32 v[18:19], v[88:89], v[16:17]
	v_mul_f64_e32 v[16:17], v[88:89], v[14:15]
	v_mul_f64_e32 v[14:15], v[86:87], v[14:15]
	v_add_f64_e32 v[62:63], v[62:63], v[20:21]
	s_delay_alu instid0(VALU_DEP_4) | instskip(NEXT) | instid1(VALU_DEP_4)
	v_add_f64_e32 v[64:65], v[18:19], v[64:65]
	v_fma_f64 v[16:17], v[86:87], v[12:13], -v[16:17]
	s_delay_alu instid0(VALU_DEP_4) | instskip(SKIP_2) | instid1(VALU_DEP_4)
	v_fmac_f64_e32 v[14:15], v[88:89], v[12:13]
	v_mul_f64_e32 v[12:13], v[88:89], v[10:11]
	v_mul_f64_e32 v[10:11], v[86:87], v[10:11]
	v_add_f64_e32 v[58:59], v[58:59], v[16:17]
	s_delay_alu instid0(VALU_DEP_4) | instskip(NEXT) | instid1(VALU_DEP_4)
	v_add_f64_e32 v[60:61], v[14:15], v[60:61]
	v_fma_f64 v[12:13], v[86:87], v[8:9], -v[12:13]
	s_delay_alu instid0(VALU_DEP_4) | instskip(NEXT) | instid1(VALU_DEP_2)
	v_fmac_f64_e32 v[10:11], v[88:89], v[8:9]
	v_add_f64_e32 v[54:55], v[54:55], v[12:13]
	s_delay_alu instid0(VALU_DEP_2) | instskip(SKIP_4) | instid1(VALU_DEP_2)
	v_add_f64_e32 v[56:57], v[10:11], v[56:57]
	ds_load_b128 v[8:11], v98 offset:2048
	s_wait_dscnt 0x0
	v_mul_f64_e32 v[12:13], v[6:7], v[10:11]
	v_mul_f64_e32 v[14:15], v[4:5], v[10:11]
	v_fma_f64 v[12:13], v[4:5], v[8:9], -v[12:13]
	s_delay_alu instid0(VALU_DEP_2) | instskip(NEXT) | instid1(VALU_DEP_2)
	v_fmac_f64_e32 v[14:15], v[6:7], v[8:9]
	v_add_f64_e32 v[50:51], v[50:51], v[12:13]
	s_delay_alu instid0(VALU_DEP_2) | instskip(SKIP_4) | instid1(VALU_DEP_2)
	v_add_f64_e32 v[52:53], v[14:15], v[52:53]
	ds_load_b128 v[12:15], v98 offset:2304
	s_wait_dscnt 0x0
	v_mul_f64_e32 v[16:17], v[6:7], v[14:15]
	v_mul_f64_e32 v[18:19], v[4:5], v[14:15]
	v_fma_f64 v[16:17], v[4:5], v[12:13], -v[16:17]
	s_delay_alu instid0(VALU_DEP_2) | instskip(NEXT) | instid1(VALU_DEP_2)
	;; [unrolled: 10-line block ×3, first 2 shown]
	v_fmac_f64_e32 v[22:23], v[6:7], v[16:17]
	v_add_f64_e32 v[110:111], v[42:43], v[20:21]
	s_delay_alu instid0(VALU_DEP_2) | instskip(SKIP_3) | instid1(VALU_DEP_1)
	v_add_f64_e32 v[44:45], v[22:23], v[44:45]
	ds_load_b128 v[20:23], v98 offset:2816
	s_wait_dscnt 0x0
	v_mul_f64_e32 v[42:43], v[6:7], v[22:23]
	v_fma_f64 v[42:43], v[4:5], v[20:21], -v[42:43]
	v_mul_f64_e32 v[4:5], v[4:5], v[22:23]
	s_delay_alu instid0(VALU_DEP_2) | instskip(NEXT) | instid1(VALU_DEP_2)
	v_add_f64_e32 v[112:113], v[38:39], v[42:43]
	v_fmac_f64_e32 v[4:5], v[6:7], v[20:21]
	s_delay_alu instid0(VALU_DEP_1) | instskip(SKIP_4) | instid1(VALU_DEP_2)
	v_add_f64_e32 v[114:115], v[4:5], v[40:41]
	ds_load_b128 v[4:7], v99 offset:1056
	s_wait_dscnt 0x0
	v_mul_f64_e32 v[38:39], v[6:7], v[10:11]
	v_mul_f64_e32 v[40:41], v[4:5], v[10:11]
	v_fma_f64 v[38:39], v[4:5], v[8:9], -v[38:39]
	s_delay_alu instid0(VALU_DEP_2) | instskip(NEXT) | instid1(VALU_DEP_2)
	v_fmac_f64_e32 v[40:41], v[6:7], v[8:9]
	v_add_f64_e32 v[70:71], v[70:71], v[38:39]
	v_mul_f64_e32 v[38:39], v[6:7], v[14:15]
	s_delay_alu instid0(VALU_DEP_3) | instskip(SKIP_1) | instid1(VALU_DEP_3)
	v_add_f64_e32 v[72:73], v[40:41], v[72:73]
	v_mul_f64_e32 v[40:41], v[4:5], v[14:15]
	v_fma_f64 v[38:39], v[4:5], v[12:13], -v[38:39]
	s_delay_alu instid0(VALU_DEP_2) | instskip(NEXT) | instid1(VALU_DEP_2)
	v_fmac_f64_e32 v[40:41], v[6:7], v[12:13]
	v_add_f64_e32 v[74:75], v[74:75], v[38:39]
	v_mul_f64_e32 v[38:39], v[6:7], v[18:19]
	s_delay_alu instid0(VALU_DEP_3) | instskip(SKIP_1) | instid1(VALU_DEP_3)
	v_add_f64_e32 v[76:77], v[40:41], v[76:77]
	v_mul_f64_e32 v[40:41], v[4:5], v[18:19]
	v_fma_f64 v[38:39], v[4:5], v[16:17], -v[38:39]
	s_delay_alu instid0(VALU_DEP_2) | instskip(NEXT) | instid1(VALU_DEP_2)
	v_fmac_f64_e32 v[40:41], v[6:7], v[16:17]
	v_add_f64_e32 v[116:117], v[78:79], v[38:39]
	v_mul_f64_e32 v[38:39], v[6:7], v[22:23]
	s_delay_alu instid0(VALU_DEP_3) | instskip(NEXT) | instid1(VALU_DEP_2)
	v_add_f64_e32 v[118:119], v[40:41], v[80:81]
	v_fma_f64 v[38:39], v[4:5], v[20:21], -v[38:39]
	v_mul_f64_e32 v[4:5], v[4:5], v[22:23]
	s_delay_alu instid0(VALU_DEP_2) | instskip(NEXT) | instid1(VALU_DEP_2)
	v_add_f64_e32 v[120:121], v[82:83], v[38:39]
	v_fmac_f64_e32 v[4:5], v[6:7], v[20:21]
	s_delay_alu instid0(VALU_DEP_1) | instskip(SKIP_4) | instid1(VALU_DEP_2)
	v_add_f64_e32 v[122:123], v[4:5], v[84:85]
	ds_load_b128 v[4:7], v99 offset:2080
	s_wait_dscnt 0x0
	v_mul_f64_e32 v[38:39], v[6:7], v[10:11]
	v_mul_f64_e32 v[40:41], v[4:5], v[10:11]
	v_fma_f64 v[38:39], v[4:5], v[8:9], -v[38:39]
	s_delay_alu instid0(VALU_DEP_2) | instskip(NEXT) | instid1(VALU_DEP_2)
	v_fmac_f64_e32 v[40:41], v[6:7], v[8:9]
	v_add_f64_e32 v[124:125], v[90:91], v[38:39]
	v_mul_f64_e32 v[38:39], v[6:7], v[14:15]
	s_delay_alu instid0(VALU_DEP_3) | instskip(SKIP_1) | instid1(VALU_DEP_3)
	v_add_f64_e32 v[126:127], v[40:41], v[92:93]
	v_mul_f64_e32 v[40:41], v[4:5], v[14:15]
	v_fma_f64 v[38:39], v[4:5], v[12:13], -v[38:39]
	s_delay_alu instid0(VALU_DEP_2) | instskip(NEXT) | instid1(VALU_DEP_2)
	v_fmac_f64_e32 v[40:41], v[6:7], v[12:13]
	v_add_f64_e32 v[128:129], v[94:95], v[38:39]
	v_mul_f64_e32 v[38:39], v[6:7], v[18:19]
	s_delay_alu instid0(VALU_DEP_3) | instskip(SKIP_1) | instid1(VALU_DEP_3)
	v_add_f64_e32 v[130:131], v[40:41], v[96:97]
	v_mul_f64_e32 v[40:41], v[4:5], v[18:19]
	v_fma_f64 v[38:39], v[4:5], v[16:17], -v[38:39]
	s_delay_alu instid0(VALU_DEP_2) | instskip(NEXT) | instid1(VALU_DEP_2)
	v_fmac_f64_e32 v[40:41], v[6:7], v[16:17]
	v_add_f64_e32 v[102:103], v[102:103], v[38:39]
	v_mul_f64_e32 v[38:39], v[6:7], v[22:23]
	s_delay_alu instid0(VALU_DEP_3) | instskip(NEXT) | instid1(VALU_DEP_2)
	v_add_f64_e32 v[104:105], v[40:41], v[104:105]
	v_fma_f64 v[38:39], v[4:5], v[20:21], -v[38:39]
	v_mul_f64_e32 v[4:5], v[4:5], v[22:23]
	s_delay_alu instid0(VALU_DEP_2) | instskip(NEXT) | instid1(VALU_DEP_2)
	v_add_f64_e32 v[106:107], v[106:107], v[38:39]
	v_fmac_f64_e32 v[4:5], v[6:7], v[20:21]
	s_delay_alu instid0(VALU_DEP_1) | instskip(SKIP_4) | instid1(VALU_DEP_2)
	v_add_f64_e32 v[108:109], v[4:5], v[108:109]
	ds_load_b128 v[4:7], v99 offset:3104
	s_wait_dscnt 0x0
	v_mul_f64_e32 v[38:39], v[6:7], v[10:11]
	v_mul_f64_e32 v[10:11], v[4:5], v[10:11]
	v_fma_f64 v[38:39], v[4:5], v[8:9], -v[38:39]
	s_delay_alu instid0(VALU_DEP_2) | instskip(SKIP_1) | instid1(VALU_DEP_3)
	v_fmac_f64_e32 v[10:11], v[6:7], v[8:9]
	v_mul_f64_e32 v[8:9], v[6:7], v[14:15]
	v_add_f64_e32 v[94:95], v[66:67], v[38:39]
	s_delay_alu instid0(VALU_DEP_3) | instskip(NEXT) | instid1(VALU_DEP_3)
	v_add_f64_e32 v[96:97], v[10:11], v[68:69]
	v_fma_f64 v[8:9], v[4:5], v[12:13], -v[8:9]
	v_mul_f64_e32 v[10:11], v[4:5], v[14:15]
	s_delay_alu instid0(VALU_DEP_2) | instskip(SKIP_1) | instid1(VALU_DEP_3)
	v_add_f64_e32 v[90:91], v[62:63], v[8:9]
	v_mul_f64_e32 v[8:9], v[6:7], v[18:19]
	v_fmac_f64_e32 v[10:11], v[6:7], v[12:13]
	ds_load_b128 v[12:15], v98 offset:3328
	v_fma_f64 v[8:9], v[4:5], v[16:17], -v[8:9]
	v_add_f64_e32 v[92:93], v[10:11], v[64:65]
	v_mul_f64_e32 v[10:11], v[4:5], v[18:19]
	s_delay_alu instid0(VALU_DEP_3) | instskip(SKIP_1) | instid1(VALU_DEP_3)
	v_add_f64_e32 v[86:87], v[58:59], v[8:9]
	v_mul_f64_e32 v[8:9], v[6:7], v[22:23]
	v_fmac_f64_e32 v[10:11], v[6:7], v[16:17]
	ds_load_b128 v[16:19], v98 offset:3072
	v_fma_f64 v[8:9], v[4:5], v[20:21], -v[8:9]
	v_mul_f64_e32 v[4:5], v[4:5], v[22:23]
	v_add_f64_e32 v[88:89], v[10:11], v[60:61]
	s_delay_alu instid0(VALU_DEP_3) | instskip(NEXT) | instid1(VALU_DEP_3)
	v_add_f64_e32 v[82:83], v[54:55], v[8:9]
	v_fmac_f64_e32 v[4:5], v[6:7], v[20:21]
	s_wait_dscnt 0x0
	v_mul_f64_e32 v[6:7], v[0:1], v[18:19]
	ds_load_b128 v[8:11], v98 offset:3584
	v_add_f64_e32 v[84:85], v[4:5], v[56:57]
	v_mul_f64_e32 v[4:5], v[2:3], v[18:19]
	v_fmac_f64_e32 v[6:7], v[2:3], v[16:17]
	s_delay_alu instid0(VALU_DEP_2) | instskip(NEXT) | instid1(VALU_DEP_2)
	v_fma_f64 v[4:5], v[0:1], v[16:17], -v[4:5]
	v_add_f64_e32 v[60:61], v[6:7], v[52:53]
	v_mul_f64_e32 v[6:7], v[0:1], v[14:15]
	s_delay_alu instid0(VALU_DEP_3) | instskip(SKIP_1) | instid1(VALU_DEP_3)
	v_add_f64_e32 v[58:59], v[50:51], v[4:5]
	v_mul_f64_e32 v[4:5], v[2:3], v[14:15]
	v_fmac_f64_e32 v[6:7], v[2:3], v[12:13]
	s_delay_alu instid0(VALU_DEP_2) | instskip(NEXT) | instid1(VALU_DEP_1)
	v_fma_f64 v[4:5], v[0:1], v[12:13], -v[4:5]
	v_add_f64_e32 v[42:43], v[46:47], v[4:5]
	s_delay_alu instid0(VALU_DEP_3) | instskip(SKIP_3) | instid1(VALU_DEP_2)
	v_add_f64_e32 v[46:47], v[6:7], v[48:49]
	s_wait_dscnt 0x0
	v_mul_f64_e32 v[4:5], v[2:3], v[10:11]
	v_mul_f64_e32 v[6:7], v[0:1], v[10:11]
	v_fma_f64 v[4:5], v[0:1], v[8:9], -v[4:5]
	s_delay_alu instid0(VALU_DEP_2) | instskip(NEXT) | instid1(VALU_DEP_2)
	v_fmac_f64_e32 v[6:7], v[2:3], v[8:9]
	v_add_f64_e32 v[38:39], v[110:111], v[4:5]
	s_delay_alu instid0(VALU_DEP_2) | instskip(SKIP_3) | instid1(VALU_DEP_1)
	v_add_f64_e32 v[40:41], v[6:7], v[44:45]
	ds_load_b128 v[4:7], v98 offset:3840
	s_wait_dscnt 0x0
	v_mul_f64_e32 v[20:21], v[2:3], v[6:7]
	v_fma_f64 v[20:21], v[0:1], v[4:5], -v[20:21]
	v_mul_f64_e32 v[0:1], v[0:1], v[6:7]
	s_delay_alu instid0(VALU_DEP_2) | instskip(NEXT) | instid1(VALU_DEP_2)
	v_add_f64_e32 v[20:21], v[112:113], v[20:21]
	v_fmac_f64_e32 v[0:1], v[2:3], v[4:5]
	s_delay_alu instid0(VALU_DEP_1) | instskip(SKIP_4) | instid1(VALU_DEP_2)
	v_add_f64_e32 v[22:23], v[0:1], v[114:115]
	ds_load_b128 v[0:3], v99 offset:1072
	s_wait_dscnt 0x0
	v_mul_f64_e32 v[44:45], v[2:3], v[18:19]
	v_mul_f64_e32 v[48:49], v[0:1], v[18:19]
	v_fma_f64 v[44:45], v[0:1], v[16:17], -v[44:45]
	s_delay_alu instid0(VALU_DEP_2) | instskip(NEXT) | instid1(VALU_DEP_2)
	v_fmac_f64_e32 v[48:49], v[2:3], v[16:17]
	v_add_f64_e32 v[78:79], v[70:71], v[44:45]
	v_mul_f64_e32 v[44:45], v[2:3], v[14:15]
	s_delay_alu instid0(VALU_DEP_3) | instskip(SKIP_1) | instid1(VALU_DEP_3)
	v_add_f64_e32 v[80:81], v[48:49], v[72:73]
	v_mul_f64_e32 v[48:49], v[0:1], v[14:15]
	v_fma_f64 v[44:45], v[0:1], v[12:13], -v[44:45]
	s_delay_alu instid0(VALU_DEP_2) | instskip(NEXT) | instid1(VALU_DEP_2)
	v_fmac_f64_e32 v[48:49], v[2:3], v[12:13]
	v_add_f64_e32 v[70:71], v[74:75], v[44:45]
	v_mul_f64_e32 v[44:45], v[2:3], v[10:11]
	s_delay_alu instid0(VALU_DEP_3) | instskip(SKIP_1) | instid1(VALU_DEP_3)
	v_add_f64_e32 v[74:75], v[48:49], v[76:77]
	v_mul_f64_e32 v[48:49], v[0:1], v[10:11]
	v_fma_f64 v[44:45], v[0:1], v[8:9], -v[44:45]
	s_delay_alu instid0(VALU_DEP_2) | instskip(NEXT) | instid1(VALU_DEP_2)
	v_fmac_f64_e32 v[48:49], v[2:3], v[8:9]
	v_add_f64_e32 v[62:63], v[116:117], v[44:45]
	v_mul_f64_e32 v[44:45], v[2:3], v[6:7]
	s_delay_alu instid0(VALU_DEP_3) | instskip(NEXT) | instid1(VALU_DEP_2)
	v_add_f64_e32 v[66:67], v[48:49], v[118:119]
	v_fma_f64 v[44:45], v[0:1], v[4:5], -v[44:45]
	v_mul_f64_e32 v[0:1], v[0:1], v[6:7]
	s_delay_alu instid0(VALU_DEP_2) | instskip(NEXT) | instid1(VALU_DEP_2)
	v_add_f64_e32 v[50:51], v[120:121], v[44:45]
	v_fmac_f64_e32 v[0:1], v[2:3], v[4:5]
	s_delay_alu instid0(VALU_DEP_1) | instskip(SKIP_4) | instid1(VALU_DEP_2)
	v_add_f64_e32 v[54:55], v[0:1], v[122:123]
	ds_load_b128 v[0:3], v99 offset:2096
	s_wait_dscnt 0x0
	v_mul_f64_e32 v[44:45], v[2:3], v[18:19]
	v_mul_f64_e32 v[48:49], v[0:1], v[18:19]
	v_fma_f64 v[44:45], v[0:1], v[16:17], -v[44:45]
	s_delay_alu instid0(VALU_DEP_2) | instskip(NEXT) | instid1(VALU_DEP_2)
	v_fmac_f64_e32 v[48:49], v[2:3], v[16:17]
	v_add_f64_e32 v[72:73], v[124:125], v[44:45]
	v_mul_f64_e32 v[44:45], v[2:3], v[14:15]
	s_delay_alu instid0(VALU_DEP_3) | instskip(SKIP_1) | instid1(VALU_DEP_3)
	v_add_f64_e32 v[76:77], v[48:49], v[126:127]
	v_mul_f64_e32 v[48:49], v[0:1], v[14:15]
	v_fma_f64 v[44:45], v[0:1], v[12:13], -v[44:45]
	s_delay_alu instid0(VALU_DEP_2) | instskip(NEXT) | instid1(VALU_DEP_2)
	v_fmac_f64_e32 v[48:49], v[2:3], v[12:13]
	v_add_f64_e32 v[64:65], v[128:129], v[44:45]
	v_mul_f64_e32 v[44:45], v[2:3], v[10:11]
	s_delay_alu instid0(VALU_DEP_3) | instskip(SKIP_1) | instid1(VALU_DEP_3)
	v_add_f64_e32 v[68:69], v[48:49], v[130:131]
	v_mul_f64_e32 v[48:49], v[0:1], v[10:11]
	v_fma_f64 v[44:45], v[0:1], v[8:9], -v[44:45]
	s_delay_alu instid0(VALU_DEP_2) | instskip(NEXT) | instid1(VALU_DEP_2)
	v_fmac_f64_e32 v[48:49], v[2:3], v[8:9]
	v_add_f64_e32 v[52:53], v[102:103], v[44:45]
	v_mul_f64_e32 v[44:45], v[2:3], v[6:7]
	s_delay_alu instid0(VALU_DEP_3) | instskip(NEXT) | instid1(VALU_DEP_2)
	v_add_f64_e32 v[56:57], v[48:49], v[104:105]
	v_fma_f64 v[44:45], v[0:1], v[4:5], -v[44:45]
	v_mul_f64_e32 v[0:1], v[0:1], v[6:7]
	s_delay_alu instid0(VALU_DEP_2) | instskip(NEXT) | instid1(VALU_DEP_2)
	v_add_f64_e32 v[44:45], v[106:107], v[44:45]
	v_fmac_f64_e32 v[0:1], v[2:3], v[4:5]
	s_delay_alu instid0(VALU_DEP_1)
	v_add_f64_e32 v[48:49], v[0:1], v[108:109]
	ds_load_b128 v[0:3], v99 offset:3120
	s_wait_dscnt 0x0
	s_barrier_signal -1
	s_barrier_wait -1
	v_mul_f64_e32 v[102:103], v[2:3], v[18:19]
	v_mul_f64_e32 v[18:19], v[0:1], v[18:19]
	s_delay_alu instid0(VALU_DEP_2) | instskip(NEXT) | instid1(VALU_DEP_2)
	v_fma_f64 v[102:103], v[0:1], v[16:17], -v[102:103]
	v_fmac_f64_e32 v[18:19], v[2:3], v[16:17]
	s_delay_alu instid0(VALU_DEP_2) | instskip(SKIP_2) | instid1(VALU_DEP_4)
	v_add_f64_e32 v[16:17], v[94:95], v[102:103]
	v_mul_f64_e32 v[94:95], v[2:3], v[14:15]
	v_mul_f64_e32 v[14:15], v[0:1], v[14:15]
	v_add_f64_e32 v[18:19], v[18:19], v[96:97]
	s_delay_alu instid0(VALU_DEP_3) | instskip(NEXT) | instid1(VALU_DEP_3)
	v_fma_f64 v[94:95], v[0:1], v[12:13], -v[94:95]
	v_fmac_f64_e32 v[14:15], v[2:3], v[12:13]
	s_delay_alu instid0(VALU_DEP_2) | instskip(SKIP_2) | instid1(VALU_DEP_4)
	v_add_f64_e32 v[12:13], v[90:91], v[94:95]
	v_mul_f64_e32 v[90:91], v[2:3], v[10:11]
	v_mul_f64_e32 v[10:11], v[0:1], v[10:11]
	v_add_f64_e32 v[14:15], v[14:15], v[92:93]
	s_delay_alu instid0(VALU_DEP_3) | instskip(NEXT) | instid1(VALU_DEP_3)
	v_fma_f64 v[90:91], v[0:1], v[8:9], -v[90:91]
	v_fmac_f64_e32 v[10:11], v[2:3], v[8:9]
	s_delay_alu instid0(VALU_DEP_2) | instskip(SKIP_1) | instid1(VALU_DEP_3)
	v_add_f64_e32 v[8:9], v[86:87], v[90:91]
	v_mul_f64_e32 v[86:87], v[2:3], v[6:7]
	v_add_f64_e32 v[10:11], v[10:11], v[88:89]
	s_delay_alu instid0(VALU_DEP_2) | instskip(SKIP_1) | instid1(VALU_DEP_2)
	v_fma_f64 v[86:87], v[0:1], v[4:5], -v[86:87]
	v_mul_f64_e32 v[0:1], v[0:1], v[6:7]
	v_add_f64_e32 v[82:83], v[82:83], v[86:87]
	s_delay_alu instid0(VALU_DEP_2) | instskip(NEXT) | instid1(VALU_DEP_1)
	v_fmac_f64_e32 v[0:1], v[2:3], v[4:5]
	v_add_f64_e32 v[84:85], v[0:1], v[84:85]
	s_cbranch_vccnz .LBB530_5
	s_branch .LBB530_7
.LBB530_6:                              ;   in Loop: Header=BB530_3 Depth=1
	v_mov_b64_e32 v[58:59], 0
	v_mov_b64_e32 v[60:61], 0
	;; [unrolled: 1-line block ×32, first 2 shown]
.LBB530_7:                              ;   in Loop: Header=BB530_3 Depth=1
	s_wait_kmcnt 0x0
	s_mul_u64 s[20:21], s[12:13], s[2:3]
	s_and_not1_b32 vcc_lo, exec_lo, s1
	s_lshl_b64 s[20:21], s[20:21], 4
	s_mov_b32 s23, -1
	s_add_nc_u64 s[20:21], s[48:49], s[20:21]
                                        ; implicit-def: $vgpr0_vgpr1
                                        ; implicit-def: $vgpr2_vgpr3
	s_cbranch_vccz .LBB530_9
; %bb.8:                                ;   in Loop: Header=BB530_3 Depth=1
	s_and_not1_b32 vcc_lo, exec_lo, s23
	s_cbranch_vccnz .LBB530_2
	s_branch .LBB530_10
.LBB530_9:                              ;   in Loop: Header=BB530_3 Depth=1
	s_wait_xcnt 0x0
	v_mul_f64_e32 v[0:1], s[8:9], v[60:61]
	v_mul_f64_e32 v[2:3], s[6:7], v[60:61]
	;; [unrolled: 1-line block ×8, first 2 shown]
	v_lshlrev_b64_e32 v[130:131], 4, v[26:27]
	v_lshl_add_u64 v[122:123], v[24:25], 4, s[20:21]
	v_mul_f64_e32 v[92:93], s[8:9], v[80:81]
	v_mul_f64_e32 v[90:91], s[6:7], v[80:81]
	;; [unrolled: 1-line block ×5, first 2 shown]
	v_add_nc_u64_e32 v[112:113], v[122:123], v[130:131]
	v_mul_f64_e32 v[104:105], s[6:7], v[66:67]
	v_mul_f64_e32 v[106:107], s[8:9], v[54:55]
	;; [unrolled: 1-line block ×13, first 2 shown]
	v_fma_f64 v[0:1], s[6:7], v[58:59], -v[0:1]
	v_fmac_f64_e32 v[2:3], s[8:9], v[58:59]
	v_fma_f64 v[4:5], s[6:7], v[42:43], -v[4:5]
	v_fmac_f64_e32 v[6:7], s[8:9], v[42:43]
	;; [unrolled: 2-line block ×4, first 2 shown]
	v_fmac_f64_e32 v[90:91], s[8:9], v[78:79]
	v_fmac_f64_e32 v[94:95], s[8:9], v[70:71]
	v_fma_f64 v[102:103], s[6:7], v[62:63], -v[102:103]
	v_fmac_f64_e32 v[104:105], s[8:9], v[62:63]
	v_fma_f64 v[106:107], s[6:7], v[50:51], -v[106:107]
	v_fmac_f64_e32 v[108:109], s[8:9], v[50:51]
	v_fmac_f64_e32 v[128:129], s[8:9], v[8:9]
	;; [unrolled: 1-line block ×5, first 2 shown]
	global_store_b128 v[112:113], v[0:3], off
	s_wait_xcnt 0x0
	v_mul_f64_e32 v[0:1], s[6:7], v[84:85]
	global_store_b128 v[112:113], v[4:7], off offset:256
	s_wait_xcnt 0x0
	v_mul_f64_e32 v[4:5], s[6:7], v[76:77]
	global_store_b128 v[112:113], v[34:37], off offset:512
	;; [unrolled: 3-line block ×3, first 2 shown]
	s_wait_xcnt 0x0
	v_mul_f64_e32 v[112:113], s[6:7], v[56:57]
	v_mul_f64_e32 v[6:7], s[8:9], v[10:11]
	v_mul_f64_e32 v[86:87], s[8:9], v[84:85]
	v_fma_f64 v[88:89], s[6:7], v[78:79], -v[92:93]
	v_fma_f64 v[92:93], s[6:7], v[70:71], -v[96:97]
	;; [unrolled: 1-line block ×3, first 2 shown]
	v_add_nc_u64_e32 v[96:97], s[18:19], v[122:123]
	v_fma_f64 v[34:35], s[6:7], v[64:65], -v[114:115]
	v_fma_f64 v[110:111], s[6:7], v[52:53], -v[118:119]
	;; [unrolled: 1-line block ×5, first 2 shown]
	v_fmac_f64_e32 v[0:1], s[8:9], v[82:83]
	v_fmac_f64_e32 v[4:5], s[8:9], v[72:73]
	;; [unrolled: 1-line block ×4, first 2 shown]
	v_fma_f64 v[126:127], s[6:7], v[8:9], -v[6:7]
	v_fma_f64 v[6:7], s[6:7], v[82:83], -v[86:87]
	v_add_nc_u64_e32 v[86:87], s[18:19], v[96:97]
	v_add_nc_u64_e32 v[96:97], v[96:97], v[130:131]
	s_delay_alu instid0(VALU_DEP_2)
	v_add_nc_u64_e32 v[132:133], s[18:19], v[86:87]
	v_add_nc_u64_e32 v[86:87], v[86:87], v[130:131]
	s_clause 0x5
	global_store_b128 v[96:97], v[88:91], off
	global_store_b128 v[96:97], v[92:95], off offset:256
	global_store_b128 v[96:97], v[102:105], off offset:512
	;; [unrolled: 1-line block ×3, first 2 shown]
	global_store_b128 v[86:87], v[2:5], off
	global_store_b128 v[86:87], v[34:37], off offset:256
	v_add_nc_u64_e32 v[130:131], v[132:133], v[130:131]
	s_clause 0x3
	global_store_b128 v[86:87], v[110:113], off offset:512
	global_store_b128 v[86:87], v[114:117], off offset:768
	global_store_b128 v[130:131], v[118:121], off
	global_store_b128 v[130:131], v[122:125], off offset:256
	s_wait_xcnt 0x5
	v_add_nc_u64_e32 v[2:3], 0x300, v[130:131]
	s_clause 0x1
	global_store_b128 v[130:131], v[126:129], off offset:512
	global_store_b64 v[130:131], v[6:7], off offset:768
	s_cbranch_execnz .LBB530_2
.LBB530_10:                             ;   in Loop: Header=BB530_3 Depth=1
	s_mul_u64 s[24:25], s[46:47], s[2:3]
	s_wait_xcnt 0x1
	v_lshlrev_b64_e32 v[4:5], 4, v[26:27]
	s_wait_xcnt 0x0
	v_lshl_add_u64 v[6:7], s[24:25], 4, v[28:29]
	v_mul_f64_e32 v[36:37], s[8:9], v[60:61]
	v_mul_f64_e32 v[60:61], s[6:7], v[60:61]
	s_delay_alu instid0(VALU_DEP_3)
	v_add_nc_u64_e32 v[34:35], v[6:7], v[4:5]
	v_add_nc_u64_e32 v[6:7], s[16:17], v[6:7]
	global_load_b128 v[0:3], v[34:35], off
	v_fma_f64 v[36:37], s[6:7], v[58:59], -v[36:37]
	v_fmac_f64_e32 v[60:61], s[8:9], v[58:59]
	s_wait_loadcnt 0x0
	v_mul_f64_e32 v[86:87], s[40:41], v[2:3]
	v_mul_f64_e32 v[2:3], s[38:39], v[2:3]
	s_delay_alu instid0(VALU_DEP_2) | instskip(NEXT) | instid1(VALU_DEP_2)
	v_fma_f64 v[58:59], s[38:39], v[0:1], -v[86:87]
	v_fmac_f64_e32 v[2:3], s[40:41], v[0:1]
	s_delay_alu instid0(VALU_DEP_2) | instskip(NEXT) | instid1(VALU_DEP_2)
	v_add_f64_e32 v[0:1], v[36:37], v[58:59]
	v_add_f64_e32 v[2:3], v[60:61], v[2:3]
	v_lshl_add_u64 v[36:37], v[24:25], 4, s[20:21]
	v_mul_f64_e32 v[60:61], s[8:9], v[46:47]
	v_mul_f64_e32 v[46:47], s[6:7], v[46:47]
	s_delay_alu instid0(VALU_DEP_3)
	v_add_nc_u64_e32 v[58:59], v[36:37], v[4:5]
	global_store_b128 v[58:59], v[0:3], off
	global_load_b128 v[0:3], v[34:35], off offset:256
	v_fma_f64 v[60:61], s[6:7], v[42:43], -v[60:61]
	v_fmac_f64_e32 v[46:47], s[8:9], v[42:43]
	s_wait_loadcnt 0x0
	v_mul_f64_e32 v[86:87], s[40:41], v[2:3]
	v_mul_f64_e32 v[2:3], s[38:39], v[2:3]
	s_delay_alu instid0(VALU_DEP_2) | instskip(NEXT) | instid1(VALU_DEP_2)
	v_fma_f64 v[42:43], s[38:39], v[0:1], -v[86:87]
	v_fmac_f64_e32 v[2:3], s[40:41], v[0:1]
	s_delay_alu instid0(VALU_DEP_2) | instskip(NEXT) | instid1(VALU_DEP_2)
	v_add_f64_e32 v[0:1], v[60:61], v[42:43]
	v_add_f64_e32 v[2:3], v[46:47], v[2:3]
	v_mul_f64_e32 v[42:43], s[8:9], v[40:41]
	v_mul_f64_e32 v[40:41], s[6:7], v[40:41]
	global_store_b128 v[58:59], v[0:3], off offset:256
	global_load_b128 v[0:3], v[34:35], off offset:512
	v_fma_f64 v[42:43], s[6:7], v[38:39], -v[42:43]
	v_fmac_f64_e32 v[40:41], s[8:9], v[38:39]
	s_wait_loadcnt 0x0
	v_mul_f64_e32 v[46:47], s[40:41], v[2:3]
	v_mul_f64_e32 v[2:3], s[38:39], v[2:3]
	s_delay_alu instid0(VALU_DEP_2) | instskip(NEXT) | instid1(VALU_DEP_2)
	v_fma_f64 v[38:39], s[38:39], v[0:1], -v[46:47]
	v_fmac_f64_e32 v[2:3], s[40:41], v[0:1]
	s_delay_alu instid0(VALU_DEP_2) | instskip(NEXT) | instid1(VALU_DEP_2)
	v_add_f64_e32 v[0:1], v[42:43], v[38:39]
	v_add_f64_e32 v[2:3], v[40:41], v[2:3]
	global_store_b128 v[58:59], v[0:3], off offset:512
	global_load_b128 v[0:3], v[34:35], off offset:768
	s_wait_xcnt 0x0
	v_mul_f64_e32 v[34:35], s[8:9], v[22:23]
	v_mul_f64_e32 v[22:23], s[6:7], v[22:23]
	s_delay_alu instid0(VALU_DEP_2) | instskip(NEXT) | instid1(VALU_DEP_2)
	v_fma_f64 v[34:35], s[6:7], v[20:21], -v[34:35]
	v_fmac_f64_e32 v[22:23], s[8:9], v[20:21]
	s_wait_loadcnt 0x0
	v_mul_f64_e32 v[38:39], s[40:41], v[2:3]
	v_mul_f64_e32 v[2:3], s[38:39], v[2:3]
	s_delay_alu instid0(VALU_DEP_2) | instskip(NEXT) | instid1(VALU_DEP_2)
	v_fma_f64 v[20:21], s[38:39], v[0:1], -v[38:39]
	v_fmac_f64_e32 v[2:3], s[40:41], v[0:1]
	s_delay_alu instid0(VALU_DEP_2) | instskip(NEXT) | instid1(VALU_DEP_2)
	v_add_f64_e32 v[0:1], v[34:35], v[20:21]
	v_add_f64_e32 v[2:3], v[22:23], v[2:3]
	v_add_nc_u64_e32 v[20:21], v[6:7], v[4:5]
	v_mul_f64_e32 v[22:23], s[8:9], v[80:81]
	v_mul_f64_e32 v[34:35], s[6:7], v[80:81]
	v_add_nc_u64_e32 v[6:7], s[16:17], v[6:7]
	global_store_b128 v[58:59], v[0:3], off offset:768
	global_load_b128 v[0:3], v[20:21], off
	v_fma_f64 v[22:23], s[6:7], v[78:79], -v[22:23]
	v_fmac_f64_e32 v[34:35], s[8:9], v[78:79]
	s_wait_loadcnt 0x0
	v_mul_f64_e32 v[38:39], s[40:41], v[2:3]
	v_mul_f64_e32 v[2:3], s[38:39], v[2:3]
	s_delay_alu instid0(VALU_DEP_2) | instskip(NEXT) | instid1(VALU_DEP_2)
	v_fma_f64 v[38:39], s[38:39], v[0:1], -v[38:39]
	v_fmac_f64_e32 v[2:3], s[40:41], v[0:1]
	s_delay_alu instid0(VALU_DEP_2) | instskip(NEXT) | instid1(VALU_DEP_2)
	v_add_f64_e32 v[0:1], v[22:23], v[38:39]
	v_add_f64_e32 v[2:3], v[34:35], v[2:3]
	v_add_nc_u64_e32 v[22:23], s[18:19], v[36:37]
	v_mul_f64_e32 v[36:37], s[8:9], v[74:75]
	v_mul_f64_e32 v[38:39], s[6:7], v[74:75]
	s_delay_alu instid0(VALU_DEP_3)
	v_add_nc_u64_e32 v[34:35], v[22:23], v[4:5]
	v_add_nc_u64_e32 v[22:23], s[18:19], v[22:23]
	global_store_b128 v[34:35], v[0:3], off
	global_load_b128 v[0:3], v[20:21], off offset:256
	v_fma_f64 v[36:37], s[6:7], v[70:71], -v[36:37]
	v_fmac_f64_e32 v[38:39], s[8:9], v[70:71]
	s_wait_loadcnt 0x0
	v_mul_f64_e32 v[40:41], s[40:41], v[2:3]
	v_mul_f64_e32 v[2:3], s[38:39], v[2:3]
	s_delay_alu instid0(VALU_DEP_2) | instskip(NEXT) | instid1(VALU_DEP_2)
	v_fma_f64 v[40:41], s[38:39], v[0:1], -v[40:41]
	v_fmac_f64_e32 v[2:3], s[40:41], v[0:1]
	s_delay_alu instid0(VALU_DEP_2) | instskip(NEXT) | instid1(VALU_DEP_2)
	v_add_f64_e32 v[0:1], v[36:37], v[40:41]
	v_add_f64_e32 v[2:3], v[38:39], v[2:3]
	v_mul_f64_e32 v[36:37], s[8:9], v[66:67]
	v_mul_f64_e32 v[38:39], s[6:7], v[66:67]
	global_store_b128 v[34:35], v[0:3], off offset:256
	global_load_b128 v[0:3], v[20:21], off offset:512
	v_fma_f64 v[36:37], s[6:7], v[62:63], -v[36:37]
	v_fmac_f64_e32 v[38:39], s[8:9], v[62:63]
	s_wait_loadcnt 0x0
	v_mul_f64_e32 v[40:41], s[40:41], v[2:3]
	v_mul_f64_e32 v[2:3], s[38:39], v[2:3]
	s_delay_alu instid0(VALU_DEP_2) | instskip(NEXT) | instid1(VALU_DEP_2)
	v_fma_f64 v[40:41], s[38:39], v[0:1], -v[40:41]
	v_fmac_f64_e32 v[2:3], s[40:41], v[0:1]
	s_delay_alu instid0(VALU_DEP_2) | instskip(NEXT) | instid1(VALU_DEP_2)
	v_add_f64_e32 v[0:1], v[36:37], v[40:41]
	v_add_f64_e32 v[2:3], v[38:39], v[2:3]
	v_mul_f64_e32 v[36:37], s[6:7], v[54:55]
	global_store_b128 v[34:35], v[0:3], off offset:512
	global_load_b128 v[0:3], v[20:21], off offset:768
	s_wait_xcnt 0x0
	v_mul_f64_e32 v[20:21], s[8:9], v[54:55]
	v_fmac_f64_e32 v[36:37], s[8:9], v[50:51]
	s_delay_alu instid0(VALU_DEP_2) | instskip(SKIP_3) | instid1(VALU_DEP_2)
	v_fma_f64 v[20:21], s[6:7], v[50:51], -v[20:21]
	s_wait_loadcnt 0x0
	v_mul_f64_e32 v[38:39], s[40:41], v[2:3]
	v_mul_f64_e32 v[2:3], s[38:39], v[2:3]
	v_fma_f64 v[38:39], s[38:39], v[0:1], -v[38:39]
	s_delay_alu instid0(VALU_DEP_2) | instskip(NEXT) | instid1(VALU_DEP_2)
	v_fmac_f64_e32 v[2:3], s[40:41], v[0:1]
	v_add_f64_e32 v[0:1], v[20:21], v[38:39]
	s_delay_alu instid0(VALU_DEP_2) | instskip(SKIP_3) | instid1(VALU_DEP_1)
	v_add_f64_e32 v[2:3], v[36:37], v[2:3]
	v_add_nc_u64_e32 v[20:21], v[6:7], v[4:5]
	v_mul_f64_e32 v[36:37], s[6:7], v[76:77]
	v_add_nc_u64_e32 v[6:7], s[16:17], v[6:7]
	v_add_nc_u64_e32 v[6:7], v[6:7], v[4:5]
	global_store_b128 v[34:35], v[0:3], off offset:768
	global_load_b128 v[0:3], v[20:21], off
	v_mul_f64_e32 v[34:35], s[8:9], v[76:77]
	v_fmac_f64_e32 v[36:37], s[8:9], v[72:73]
	s_delay_alu instid0(VALU_DEP_2) | instskip(SKIP_3) | instid1(VALU_DEP_2)
	v_fma_f64 v[34:35], s[6:7], v[72:73], -v[34:35]
	s_wait_loadcnt 0x0
	v_mul_f64_e32 v[38:39], s[40:41], v[2:3]
	v_mul_f64_e32 v[2:3], s[38:39], v[2:3]
	v_fma_f64 v[38:39], s[38:39], v[0:1], -v[38:39]
	s_delay_alu instid0(VALU_DEP_2) | instskip(NEXT) | instid1(VALU_DEP_2)
	v_fmac_f64_e32 v[2:3], s[40:41], v[0:1]
	v_add_f64_e32 v[0:1], v[34:35], v[38:39]
	s_delay_alu instid0(VALU_DEP_2)
	v_add_f64_e32 v[2:3], v[36:37], v[2:3]
	v_add_nc_u64_e32 v[34:35], v[22:23], v[4:5]
	v_mul_f64_e32 v[36:37], s[8:9], v[68:69]
	v_mul_f64_e32 v[38:39], s[6:7], v[68:69]
	global_store_b128 v[34:35], v[0:3], off
	global_load_b128 v[0:3], v[20:21], off offset:256
	v_fma_f64 v[36:37], s[6:7], v[64:65], -v[36:37]
	v_fmac_f64_e32 v[38:39], s[8:9], v[64:65]
	s_wait_loadcnt 0x0
	v_mul_f64_e32 v[40:41], s[40:41], v[2:3]
	v_mul_f64_e32 v[2:3], s[38:39], v[2:3]
	s_delay_alu instid0(VALU_DEP_2) | instskip(NEXT) | instid1(VALU_DEP_2)
	v_fma_f64 v[40:41], s[38:39], v[0:1], -v[40:41]
	v_fmac_f64_e32 v[2:3], s[40:41], v[0:1]
	s_delay_alu instid0(VALU_DEP_2) | instskip(NEXT) | instid1(VALU_DEP_2)
	v_add_f64_e32 v[0:1], v[36:37], v[40:41]
	v_add_f64_e32 v[2:3], v[38:39], v[2:3]
	v_mul_f64_e32 v[36:37], s[8:9], v[56:57]
	v_mul_f64_e32 v[38:39], s[6:7], v[56:57]
	global_store_b128 v[34:35], v[0:3], off offset:256
	global_load_b128 v[0:3], v[20:21], off offset:512
	v_fma_f64 v[36:37], s[6:7], v[52:53], -v[36:37]
	v_fmac_f64_e32 v[38:39], s[8:9], v[52:53]
	s_wait_loadcnt 0x0
	v_mul_f64_e32 v[40:41], s[40:41], v[2:3]
	v_mul_f64_e32 v[2:3], s[38:39], v[2:3]
	s_delay_alu instid0(VALU_DEP_2) | instskip(NEXT) | instid1(VALU_DEP_2)
	v_fma_f64 v[40:41], s[38:39], v[0:1], -v[40:41]
	v_fmac_f64_e32 v[2:3], s[40:41], v[0:1]
	s_delay_alu instid0(VALU_DEP_2) | instskip(NEXT) | instid1(VALU_DEP_2)
	v_add_f64_e32 v[0:1], v[36:37], v[40:41]
	v_add_f64_e32 v[2:3], v[38:39], v[2:3]
	v_mul_f64_e32 v[36:37], s[6:7], v[48:49]
	global_store_b128 v[34:35], v[0:3], off offset:512
	global_load_b128 v[0:3], v[20:21], off offset:768
	s_wait_xcnt 0x0
	v_mul_f64_e32 v[20:21], s[8:9], v[48:49]
	v_fmac_f64_e32 v[36:37], s[8:9], v[44:45]
	s_delay_alu instid0(VALU_DEP_2) | instskip(SKIP_3) | instid1(VALU_DEP_2)
	v_fma_f64 v[20:21], s[6:7], v[44:45], -v[20:21]
	s_wait_loadcnt 0x0
	v_mul_f64_e32 v[38:39], s[40:41], v[2:3]
	v_mul_f64_e32 v[2:3], s[38:39], v[2:3]
	v_fma_f64 v[38:39], s[38:39], v[0:1], -v[38:39]
	s_delay_alu instid0(VALU_DEP_2) | instskip(NEXT) | instid1(VALU_DEP_2)
	v_fmac_f64_e32 v[2:3], s[40:41], v[0:1]
	v_add_f64_e32 v[0:1], v[20:21], v[38:39]
	s_delay_alu instid0(VALU_DEP_2)
	v_add_f64_e32 v[2:3], v[36:37], v[2:3]
	v_mul_f64_e32 v[20:21], s[8:9], v[18:19]
	v_mul_f64_e32 v[18:19], s[6:7], v[18:19]
	global_store_b128 v[34:35], v[0:3], off offset:768
	global_load_b128 v[0:3], v[6:7], off
	v_fma_f64 v[20:21], s[6:7], v[16:17], -v[20:21]
	v_fmac_f64_e32 v[18:19], s[8:9], v[16:17]
	s_wait_loadcnt 0x0
	v_mul_f64_e32 v[34:35], s[40:41], v[2:3]
	v_mul_f64_e32 v[2:3], s[38:39], v[2:3]
	s_delay_alu instid0(VALU_DEP_2) | instskip(NEXT) | instid1(VALU_DEP_2)
	v_fma_f64 v[16:17], s[38:39], v[0:1], -v[34:35]
	v_fmac_f64_e32 v[2:3], s[40:41], v[0:1]
	s_delay_alu instid0(VALU_DEP_2) | instskip(NEXT) | instid1(VALU_DEP_2)
	v_add_f64_e32 v[0:1], v[20:21], v[16:17]
	v_add_f64_e32 v[2:3], v[18:19], v[2:3]
	v_add_nc_u64_e32 v[16:17], s[18:19], v[22:23]
	s_delay_alu instid0(VALU_DEP_1)
	v_add_nc_u64_e32 v[4:5], v[16:17], v[4:5]
	v_mul_f64_e32 v[16:17], s[8:9], v[14:15]
	v_mul_f64_e32 v[14:15], s[6:7], v[14:15]
	global_store_b128 v[4:5], v[0:3], off
	global_load_b128 v[0:3], v[6:7], off offset:256
	v_fma_f64 v[16:17], s[6:7], v[12:13], -v[16:17]
	v_fmac_f64_e32 v[14:15], s[8:9], v[12:13]
	s_wait_loadcnt 0x0
	v_mul_f64_e32 v[18:19], s[40:41], v[2:3]
	v_mul_f64_e32 v[2:3], s[38:39], v[2:3]
	s_delay_alu instid0(VALU_DEP_2) | instskip(NEXT) | instid1(VALU_DEP_2)
	v_fma_f64 v[12:13], s[38:39], v[0:1], -v[18:19]
	v_fmac_f64_e32 v[2:3], s[40:41], v[0:1]
	s_delay_alu instid0(VALU_DEP_2) | instskip(NEXT) | instid1(VALU_DEP_2)
	v_add_f64_e32 v[0:1], v[16:17], v[12:13]
	v_add_f64_e32 v[2:3], v[14:15], v[2:3]
	v_mul_f64_e32 v[12:13], s[8:9], v[10:11]
	v_mul_f64_e32 v[10:11], s[6:7], v[10:11]
	global_store_b128 v[4:5], v[0:3], off offset:256
	global_load_b128 v[0:3], v[6:7], off offset:512
	v_fma_f64 v[12:13], s[6:7], v[8:9], -v[12:13]
	v_fmac_f64_e32 v[10:11], s[8:9], v[8:9]
	s_wait_loadcnt 0x0
	v_mul_f64_e32 v[14:15], s[40:41], v[2:3]
	v_mul_f64_e32 v[2:3], s[38:39], v[2:3]
	s_delay_alu instid0(VALU_DEP_2) | instskip(NEXT) | instid1(VALU_DEP_2)
	v_fma_f64 v[8:9], s[38:39], v[0:1], -v[14:15]
	v_fmac_f64_e32 v[2:3], s[40:41], v[0:1]
	s_delay_alu instid0(VALU_DEP_2) | instskip(NEXT) | instid1(VALU_DEP_2)
	v_add_f64_e32 v[0:1], v[12:13], v[8:9]
	v_add_f64_e32 v[2:3], v[10:11], v[2:3]
	v_mul_f64_e32 v[8:9], s[6:7], v[84:85]
	global_store_b128 v[4:5], v[0:3], off offset:512
	global_load_b128 v[0:3], v[6:7], off offset:768
	s_wait_xcnt 0x0
	v_mul_f64_e32 v[6:7], s[8:9], v[84:85]
	v_fmac_f64_e32 v[8:9], s[8:9], v[82:83]
	s_delay_alu instid0(VALU_DEP_2) | instskip(SKIP_3) | instid1(VALU_DEP_2)
	v_fma_f64 v[6:7], s[6:7], v[82:83], -v[6:7]
	s_wait_loadcnt 0x0
	v_mul_f64_e32 v[10:11], s[40:41], v[2:3]
	v_mul_f64_e32 v[2:3], s[38:39], v[2:3]
	v_fma_f64 v[10:11], s[38:39], v[0:1], -v[10:11]
	s_delay_alu instid0(VALU_DEP_2) | instskip(NEXT) | instid1(VALU_DEP_2)
	v_fmac_f64_e32 v[2:3], s[40:41], v[0:1]
	v_add_f64_e32 v[6:7], v[6:7], v[10:11]
	s_delay_alu instid0(VALU_DEP_2)
	v_add_f64_e32 v[0:1], v[8:9], v[2:3]
	v_add_nc_u64_e32 v[2:3], 0x300, v[4:5]
	global_store_b64 v[4:5], v[6:7], off offset:768
	s_branch .LBB530_2
.LBB530_11:
	s_sendmsg sendmsg(MSG_DEALLOC_VGPRS)
	s_endpgm
	.section	.rodata,"a",@progbits
	.p2align	6, 0x0
	.amdhsa_kernel _ZN12_GLOBAL__N_127rocblas_gemm_batched_kernelI19rocblas_complex_numIdELi16ELi16ELi64ELi64ELi4ELi64ELi4ELi4ELi64ELc84ELc78EKS2_S3_S2_EEvlllT_PT11_llS6_llS4_PT12_llPT13_lli
		.amdhsa_group_segment_fixed_size 8192
		.amdhsa_private_segment_fixed_size 0
		.amdhsa_kernarg_size 156
		.amdhsa_user_sgpr_count 2
		.amdhsa_user_sgpr_dispatch_ptr 0
		.amdhsa_user_sgpr_queue_ptr 0
		.amdhsa_user_sgpr_kernarg_segment_ptr 1
		.amdhsa_user_sgpr_dispatch_id 0
		.amdhsa_user_sgpr_kernarg_preload_length 0
		.amdhsa_user_sgpr_kernarg_preload_offset 0
		.amdhsa_user_sgpr_private_segment_size 0
		.amdhsa_wavefront_size32 1
		.amdhsa_uses_dynamic_stack 0
		.amdhsa_enable_private_segment 0
		.amdhsa_system_sgpr_workgroup_id_x 1
		.amdhsa_system_sgpr_workgroup_id_y 1
		.amdhsa_system_sgpr_workgroup_id_z 1
		.amdhsa_system_sgpr_workgroup_info 0
		.amdhsa_system_vgpr_workitem_id 1
		.amdhsa_next_free_vgpr 144
		.amdhsa_next_free_sgpr 52
		.amdhsa_named_barrier_count 0
		.amdhsa_reserve_vcc 1
		.amdhsa_float_round_mode_32 0
		.amdhsa_float_round_mode_16_64 0
		.amdhsa_float_denorm_mode_32 3
		.amdhsa_float_denorm_mode_16_64 3
		.amdhsa_fp16_overflow 0
		.amdhsa_memory_ordered 1
		.amdhsa_forward_progress 1
		.amdhsa_inst_pref_size 44
		.amdhsa_round_robin_scheduling 0
		.amdhsa_exception_fp_ieee_invalid_op 0
		.amdhsa_exception_fp_denorm_src 0
		.amdhsa_exception_fp_ieee_div_zero 0
		.amdhsa_exception_fp_ieee_overflow 0
		.amdhsa_exception_fp_ieee_underflow 0
		.amdhsa_exception_fp_ieee_inexact 0
		.amdhsa_exception_int_div_zero 0
	.end_amdhsa_kernel
	.section	.text._ZN12_GLOBAL__N_127rocblas_gemm_batched_kernelI19rocblas_complex_numIdELi16ELi16ELi64ELi64ELi4ELi64ELi4ELi4ELi64ELc84ELc78EKS2_S3_S2_EEvlllT_PT11_llS6_llS4_PT12_llPT13_lli,"axG",@progbits,_ZN12_GLOBAL__N_127rocblas_gemm_batched_kernelI19rocblas_complex_numIdELi16ELi16ELi64ELi64ELi4ELi64ELi4ELi4ELi64ELc84ELc78EKS2_S3_S2_EEvlllT_PT11_llS6_llS4_PT12_llPT13_lli,comdat
.Lfunc_end530:
	.size	_ZN12_GLOBAL__N_127rocblas_gemm_batched_kernelI19rocblas_complex_numIdELi16ELi16ELi64ELi64ELi4ELi64ELi4ELi4ELi64ELc84ELc78EKS2_S3_S2_EEvlllT_PT11_llS6_llS4_PT12_llPT13_lli, .Lfunc_end530-_ZN12_GLOBAL__N_127rocblas_gemm_batched_kernelI19rocblas_complex_numIdELi16ELi16ELi64ELi64ELi4ELi64ELi4ELi4ELi64ELc84ELc78EKS2_S3_S2_EEvlllT_PT11_llS6_llS4_PT12_llPT13_lli
                                        ; -- End function
	.set _ZN12_GLOBAL__N_127rocblas_gemm_batched_kernelI19rocblas_complex_numIdELi16ELi16ELi64ELi64ELi4ELi64ELi4ELi4ELi64ELc84ELc78EKS2_S3_S2_EEvlllT_PT11_llS6_llS4_PT12_llPT13_lli.num_vgpr, 144
	.set _ZN12_GLOBAL__N_127rocblas_gemm_batched_kernelI19rocblas_complex_numIdELi16ELi16ELi64ELi64ELi4ELi64ELi4ELi4ELi64ELc84ELc78EKS2_S3_S2_EEvlllT_PT11_llS6_llS4_PT12_llPT13_lli.num_agpr, 0
	.set _ZN12_GLOBAL__N_127rocblas_gemm_batched_kernelI19rocblas_complex_numIdELi16ELi16ELi64ELi64ELi4ELi64ELi4ELi4ELi64ELc84ELc78EKS2_S3_S2_EEvlllT_PT11_llS6_llS4_PT12_llPT13_lli.numbered_sgpr, 52
	.set _ZN12_GLOBAL__N_127rocblas_gemm_batched_kernelI19rocblas_complex_numIdELi16ELi16ELi64ELi64ELi4ELi64ELi4ELi4ELi64ELc84ELc78EKS2_S3_S2_EEvlllT_PT11_llS6_llS4_PT12_llPT13_lli.num_named_barrier, 0
	.set _ZN12_GLOBAL__N_127rocblas_gemm_batched_kernelI19rocblas_complex_numIdELi16ELi16ELi64ELi64ELi4ELi64ELi4ELi4ELi64ELc84ELc78EKS2_S3_S2_EEvlllT_PT11_llS6_llS4_PT12_llPT13_lli.private_seg_size, 0
	.set _ZN12_GLOBAL__N_127rocblas_gemm_batched_kernelI19rocblas_complex_numIdELi16ELi16ELi64ELi64ELi4ELi64ELi4ELi4ELi64ELc84ELc78EKS2_S3_S2_EEvlllT_PT11_llS6_llS4_PT12_llPT13_lli.uses_vcc, 1
	.set _ZN12_GLOBAL__N_127rocblas_gemm_batched_kernelI19rocblas_complex_numIdELi16ELi16ELi64ELi64ELi4ELi64ELi4ELi4ELi64ELc84ELc78EKS2_S3_S2_EEvlllT_PT11_llS6_llS4_PT12_llPT13_lli.uses_flat_scratch, 0
	.set _ZN12_GLOBAL__N_127rocblas_gemm_batched_kernelI19rocblas_complex_numIdELi16ELi16ELi64ELi64ELi4ELi64ELi4ELi4ELi64ELc84ELc78EKS2_S3_S2_EEvlllT_PT11_llS6_llS4_PT12_llPT13_lli.has_dyn_sized_stack, 0
	.set _ZN12_GLOBAL__N_127rocblas_gemm_batched_kernelI19rocblas_complex_numIdELi16ELi16ELi64ELi64ELi4ELi64ELi4ELi4ELi64ELc84ELc78EKS2_S3_S2_EEvlllT_PT11_llS6_llS4_PT12_llPT13_lli.has_recursion, 0
	.set _ZN12_GLOBAL__N_127rocblas_gemm_batched_kernelI19rocblas_complex_numIdELi16ELi16ELi64ELi64ELi4ELi64ELi4ELi4ELi64ELc84ELc78EKS2_S3_S2_EEvlllT_PT11_llS6_llS4_PT12_llPT13_lli.has_indirect_call, 0
	.section	.AMDGPU.csdata,"",@progbits
; Kernel info:
; codeLenInByte = 5628
; TotalNumSgprs: 54
; NumVgprs: 144
; ScratchSize: 0
; MemoryBound: 0
; FloatMode: 240
; IeeeMode: 1
; LDSByteSize: 8192 bytes/workgroup (compile time only)
; SGPRBlocks: 0
; VGPRBlocks: 8
; NumSGPRsForWavesPerEU: 54
; NumVGPRsForWavesPerEU: 144
; NamedBarCnt: 0
; Occupancy: 7
; WaveLimiterHint : 1
; COMPUTE_PGM_RSRC2:SCRATCH_EN: 0
; COMPUTE_PGM_RSRC2:USER_SGPR: 2
; COMPUTE_PGM_RSRC2:TRAP_HANDLER: 0
; COMPUTE_PGM_RSRC2:TGID_X_EN: 1
; COMPUTE_PGM_RSRC2:TGID_Y_EN: 1
; COMPUTE_PGM_RSRC2:TGID_Z_EN: 1
; COMPUTE_PGM_RSRC2:TIDIG_COMP_CNT: 1
	.section	.text._ZN12_GLOBAL__N_127rocblas_gemm_batched_kernelI19rocblas_complex_numIdELi16ELi16ELi64ELi64ELi4ELi64ELi4ELi4ELi64ELc78ELc84EKS2_S3_S2_EEvlllT_PT11_llS6_llS4_PT12_llPT13_lli,"axG",@progbits,_ZN12_GLOBAL__N_127rocblas_gemm_batched_kernelI19rocblas_complex_numIdELi16ELi16ELi64ELi64ELi4ELi64ELi4ELi4ELi64ELc78ELc84EKS2_S3_S2_EEvlllT_PT11_llS6_llS4_PT12_llPT13_lli,comdat
	.globl	_ZN12_GLOBAL__N_127rocblas_gemm_batched_kernelI19rocblas_complex_numIdELi16ELi16ELi64ELi64ELi4ELi64ELi4ELi4ELi64ELc78ELc84EKS2_S3_S2_EEvlllT_PT11_llS6_llS4_PT12_llPT13_lli ; -- Begin function _ZN12_GLOBAL__N_127rocblas_gemm_batched_kernelI19rocblas_complex_numIdELi16ELi16ELi64ELi64ELi4ELi64ELi4ELi4ELi64ELc78ELc84EKS2_S3_S2_EEvlllT_PT11_llS6_llS4_PT12_llPT13_lli
	.p2align	8
	.type	_ZN12_GLOBAL__N_127rocblas_gemm_batched_kernelI19rocblas_complex_numIdELi16ELi16ELi64ELi64ELi4ELi64ELi4ELi4ELi64ELc78ELc84EKS2_S3_S2_EEvlllT_PT11_llS6_llS4_PT12_llPT13_lli,@function
_ZN12_GLOBAL__N_127rocblas_gemm_batched_kernelI19rocblas_complex_numIdELi16ELi16ELi64ELi64ELi4ELi64ELi4ELi4ELi64ELc78ELc84EKS2_S3_S2_EEvlllT_PT11_llS6_llS4_PT12_llPT13_lli: ; @_ZN12_GLOBAL__N_127rocblas_gemm_batched_kernelI19rocblas_complex_numIdELi16ELi16ELi64ELi64ELi4ELi64ELi4ELi4ELi64ELc78ELc84EKS2_S3_S2_EEvlllT_PT11_llS6_llS4_PT12_llPT13_lli
; %bb.0:
	s_load_b32 s26, s[0:1], 0x98
	s_bfe_u32 s2, ttmp6, 0x40014
	s_lshr_b32 s3, ttmp7, 16
	s_add_co_i32 s2, s2, 1
	s_bfe_u32 s4, ttmp6, 0x40008
	s_mul_i32 s2, s3, s2
	s_getreg_b32 s20, hwreg(HW_REG_IB_STS2, 6, 4)
	s_add_co_i32 s4, s4, s2
	s_cmp_eq_u32 s20, 0
	s_cselect_b32 s2, s3, s4
	s_mov_b32 s3, 0
	s_wait_kmcnt 0x0
	s_cmp_ge_i32 s2, s26
	s_cbranch_scc1 .LBB531_11
; %bb.1:
	s_clause 0x1
	s_load_b512 s[4:19], s[0:1], 0x10
	s_load_b512 s[36:51], s[0:1], 0x50
	s_bfe_u32 s21, ttmp6, 0x4000c
	s_bfe_u32 s23, ttmp6, 0x40010
	s_add_co_i32 s21, s21, 1
	s_and_b32 s24, ttmp7, 0xffff
	s_add_co_i32 s23, s23, 1
	v_bfe_u32 v2, v0, 10, 10
	v_and_b32_e32 v4, 0x3ff, v0
	s_and_b32 s22, ttmp6, 15
	s_mul_i32 s21, ttmp9, s21
	s_mul_i32 s23, s24, s23
	s_bfe_u32 s25, ttmp6, 0x40004
	s_add_co_i32 s22, s22, s21
	s_add_co_i32 s25, s25, s23
	s_cmp_eq_u32 s20, 0
	v_lshl_add_u32 v1, v2, 4, v4
	v_mov_b32_e32 v3, 0
	s_cselect_b32 s21, s24, s25
	s_cselect_b32 s20, ttmp9, s22
	s_lshl_b32 s22, s21, 6
	s_mov_b32 s23, s3
	v_lshrrev_b32_e32 v16, 6, v1
	v_add_nc_u64_e32 v[6:7], s[22:23], v[2:3]
	s_ashr_i32 s21, s20, 31
	v_dual_mov_b32 v11, v3 :: v_dual_lshrrev_b32 v10, 2, v1
	s_lshl_b64 s[24:25], s[20:21], 6
	s_wait_kmcnt 0x0
	v_cmp_eq_f64_e64 s27, s[38:39], 0
	v_mad_nc_u64_u32 v[12:13], s12, v16, s[24:25]
	v_mul_u64_e32 v[8:9], s[44:45], v[6:7]
	v_cmp_eq_f64_e64 s28, s[40:41], 0
	v_add_nc_u64_e32 v[14:15], s[22:23], v[10:11]
	v_dual_mov_b32 v5, v3 :: v_dual_bitop2_b32 v11, 3, v0 bitop3:0x40
	v_mul_u64_e32 v[24:25], s[50:51], v[6:7]
	v_and_b32_e32 v0, 63, v1
	s_load_b64 s[20:21], s[0:1], 0x90
	s_wait_xcnt 0x0
	v_cmp_gt_i64_e64 s0, s[4:5], 0
	v_mad_nc_u64_u32 v[6:7], s18, v11, v[14:15]
	v_mad_u32 v13, s13, v16, v13
	v_dual_mov_b32 v1, v3 :: v_dual_lshlrev_b32 v14, 4, v11
	v_lshlrev_b32_e32 v3, 4, v0
	v_lshl_add_u32 v99, v2, 6, 0x1000
	v_add_nc_u64_e32 v[26:27], s[24:25], v[4:5]
	s_delay_alu instid0(VALU_DEP_4)
	v_lshl_or_b32 v2, v10, 6, v14
	v_lshlrev_b32_e32 v98, 4, v4
	v_lshl_or_b32 v100, v16, 10, v3
	s_lshl_b64 s[22:23], s[50:51], 4
	v_mad_u32 v7, s19, v11, v7
	v_add_nc_u64_e32 v[0:1], v[12:13], v[0:1]
	v_add_nc_u32_e32 v101, 0x1000, v2
	s_lshl_b64 s[24:25], s[44:45], 4
	s_lshl_b64 s[12:13], s[12:13], 6
	;; [unrolled: 1-line block ×3, first 2 shown]
	s_delay_alu instid0(VALU_DEP_2)
	v_lshl_add_u64 v[30:31], v[0:1], 4, s[10:11]
	v_cndmask_b32_e64 v0, 0, 1, s0
	s_lshl_b64 s[10:11], s[14:15], 4
	v_lshl_add_u64 v[32:33], v[6:7], 4, s[16:17]
	v_lshl_add_u64 v[28:29], v[8:9], 4, s[42:43]
	s_and_b32 s1, s27, s28
	v_cmp_ne_u32_e64 s0, 1, v0
	s_lshl_b64 s[14:15], s[36:37], 4
	s_lshl_b64 s[16:17], s[18:19], 6
	s_lshl_b64 s[18:19], s[24:25], 4
	s_branch .LBB531_3
.LBB531_2:                              ;   in Loop: Header=BB531_3 Depth=1
	s_add_co_i32 s2, s2, 0x10000
	global_store_b64 v[2:3], v[0:1], off offset:8
	s_cmp_lt_i32 s2, s26
	s_cbranch_scc0 .LBB531_11
.LBB531_3:                              ; =>This Loop Header: Depth=1
                                        ;     Child Loop BB531_5 Depth 2
	s_and_b32 vcc_lo, exec_lo, s0
	s_cbranch_vccnz .LBB531_6
; %bb.4:                                ;   in Loop: Header=BB531_3 Depth=1
	s_wait_xcnt 0x7
	v_mad_nc_u64_u32 v[34:35], s10, s2, v[30:31]
	v_mad_nc_u64_u32 v[36:37], s14, s2, v[32:33]
	v_mov_b64_e32 v[84:85], 0
	v_mov_b64_e32 v[82:83], 0
	v_mov_b64_e32 v[10:11], 0
	v_mov_b64_e32 v[8:9], 0
	v_mov_b64_e32 v[14:15], 0
	v_mov_b64_e32 v[12:13], 0
	v_mov_b64_e32 v[18:19], 0
	v_mov_b64_e32 v[16:17], 0
	v_mov_b64_e32 v[48:49], 0
	v_mad_u32 v35, s11, s2, v35
	v_mad_u32 v37, s15, s2, v37
	v_mov_b64_e32 v[44:45], 0
	v_mov_b64_e32 v[56:57], 0
	;; [unrolled: 1-line block ×23, first 2 shown]
	s_mov_b64 s[24:25], 0
.LBB531_5:                              ;   Parent Loop BB531_3 Depth=1
                                        ; =>  This Inner Loop Header: Depth=2
	global_load_b128 v[0:3], v[34:35], off
	s_add_nc_u64 s[24:25], s[24:25], 4
	s_wait_xcnt 0x0
	v_add_nc_u64_e32 v[34:35], s[12:13], v[34:35]
	v_cmp_lt_i64_e64 s27, s[24:25], s[4:5]
	s_and_b32 vcc_lo, exec_lo, s27
	s_wait_loadcnt 0x0
	ds_store_2addr_b64 v100, v[0:1], v[2:3] offset1:1
	global_load_b128 v[0:3], v[36:37], off
	s_wait_xcnt 0x0
	v_add_nc_u64_e32 v[36:37], s[16:17], v[36:37]
	s_wait_loadcnt 0x0
	ds_store_2addr_b64 v101, v[0:1], v[2:3] offset1:1
	s_wait_dscnt 0x0
	s_barrier_signal -1
	s_barrier_wait -1
	ds_load_b128 v[86:89], v99
	ds_load_b128 v[90:93], v99 offset:16
	ds_load_b128 v[4:7], v99 offset:32
	ds_load_b128 v[0:3], v99 offset:48
	ds_load_b128 v[94:97], v98
	s_wait_dscnt 0x0
	v_mul_f64_e32 v[102:103], v[88:89], v[96:97]
	v_mul_f64_e32 v[104:105], v[86:87], v[96:97]
	s_delay_alu instid0(VALU_DEP_2) | instskip(NEXT) | instid1(VALU_DEP_2)
	v_fma_f64 v[102:103], v[86:87], v[94:95], -v[102:103]
	v_fmac_f64_e32 v[104:105], v[88:89], v[94:95]
	s_delay_alu instid0(VALU_DEP_2) | instskip(NEXT) | instid1(VALU_DEP_2)
	v_add_f64_e32 v[106:107], v[58:59], v[102:103]
	v_add_f64_e32 v[108:109], v[104:105], v[60:61]
	ds_load_b128 v[58:61], v98 offset:256
	s_wait_dscnt 0x0
	v_mul_f64_e32 v[102:103], v[88:89], v[60:61]
	v_mul_f64_e32 v[104:105], v[86:87], v[60:61]
	s_delay_alu instid0(VALU_DEP_2) | instskip(NEXT) | instid1(VALU_DEP_2)
	v_fma_f64 v[102:103], v[86:87], v[58:59], -v[102:103]
	v_fmac_f64_e32 v[104:105], v[88:89], v[58:59]
	s_delay_alu instid0(VALU_DEP_2) | instskip(NEXT) | instid1(VALU_DEP_2)
	v_add_f64_e32 v[42:43], v[42:43], v[102:103]
	v_add_f64_e32 v[110:111], v[104:105], v[46:47]
	ds_load_b128 v[102:105], v98 offset:512
	;; [unrolled: 10-line block ×3, first 2 shown]
	s_wait_dscnt 0x0
	v_mul_f64_e32 v[46:47], v[88:89], v[40:41]
	s_delay_alu instid0(VALU_DEP_1) | instskip(SKIP_1) | instid1(VALU_DEP_1)
	v_fma_f64 v[46:47], v[86:87], v[38:39], -v[46:47]
	v_mul_f64_e32 v[86:87], v[86:87], v[40:41]
	v_fmac_f64_e32 v[86:87], v[88:89], v[38:39]
	s_delay_alu instid0(VALU_DEP_3) | instskip(NEXT) | instid1(VALU_DEP_2)
	v_add_f64_e32 v[88:89], v[20:21], v[46:47]
	v_add_f64_e32 v[86:87], v[86:87], v[22:23]
	ds_load_b128 v[20:23], v99 offset:1024
	s_wait_dscnt 0x0
	v_mul_f64_e32 v[46:47], v[22:23], v[96:97]
	v_mul_f64_e32 v[116:117], v[20:21], v[96:97]
	s_delay_alu instid0(VALU_DEP_2) | instskip(NEXT) | instid1(VALU_DEP_2)
	v_fma_f64 v[46:47], v[20:21], v[94:95], -v[46:47]
	v_fmac_f64_e32 v[116:117], v[22:23], v[94:95]
	s_delay_alu instid0(VALU_DEP_2) | instskip(SKIP_1) | instid1(VALU_DEP_3)
	v_add_f64_e32 v[78:79], v[78:79], v[46:47]
	v_mul_f64_e32 v[46:47], v[22:23], v[60:61]
	v_add_f64_e32 v[80:81], v[116:117], v[80:81]
	v_mul_f64_e32 v[116:117], v[20:21], v[60:61]
	s_delay_alu instid0(VALU_DEP_3) | instskip(NEXT) | instid1(VALU_DEP_2)
	v_fma_f64 v[46:47], v[20:21], v[58:59], -v[46:47]
	v_fmac_f64_e32 v[116:117], v[22:23], v[58:59]
	s_delay_alu instid0(VALU_DEP_2) | instskip(SKIP_2) | instid1(VALU_DEP_4)
	v_add_f64_e32 v[118:119], v[70:71], v[46:47]
	v_mul_f64_e32 v[46:47], v[22:23], v[104:105]
	v_mul_f64_e32 v[70:71], v[20:21], v[104:105]
	v_add_f64_e32 v[116:117], v[116:117], v[74:75]
	s_delay_alu instid0(VALU_DEP_3) | instskip(NEXT) | instid1(VALU_DEP_3)
	v_fma_f64 v[46:47], v[20:21], v[102:103], -v[46:47]
	v_fmac_f64_e32 v[70:71], v[22:23], v[102:103]
	s_delay_alu instid0(VALU_DEP_2) | instskip(SKIP_1) | instid1(VALU_DEP_3)
	v_add_f64_e32 v[120:121], v[62:63], v[46:47]
	v_mul_f64_e32 v[46:47], v[22:23], v[40:41]
	v_add_f64_e32 v[122:123], v[70:71], v[66:67]
	s_delay_alu instid0(VALU_DEP_2) | instskip(SKIP_1) | instid1(VALU_DEP_2)
	v_fma_f64 v[46:47], v[20:21], v[38:39], -v[46:47]
	v_mul_f64_e32 v[20:21], v[20:21], v[40:41]
	v_add_f64_e32 v[124:125], v[50:51], v[46:47]
	s_delay_alu instid0(VALU_DEP_2) | instskip(NEXT) | instid1(VALU_DEP_1)
	v_fmac_f64_e32 v[20:21], v[22:23], v[38:39]
	v_add_f64_e32 v[126:127], v[20:21], v[54:55]
	ds_load_b128 v[20:23], v99 offset:2048
	s_wait_dscnt 0x0
	v_mul_f64_e32 v[46:47], v[22:23], v[96:97]
	v_mul_f64_e32 v[50:51], v[20:21], v[96:97]
	s_delay_alu instid0(VALU_DEP_2) | instskip(NEXT) | instid1(VALU_DEP_2)
	v_fma_f64 v[46:47], v[20:21], v[94:95], -v[46:47]
	v_fmac_f64_e32 v[50:51], v[22:23], v[94:95]
	s_delay_alu instid0(VALU_DEP_2) | instskip(SKIP_1) | instid1(VALU_DEP_3)
	v_add_f64_e32 v[128:129], v[72:73], v[46:47]
	v_mul_f64_e32 v[46:47], v[22:23], v[60:61]
	v_add_f64_e32 v[130:131], v[50:51], v[76:77]
	v_mul_f64_e32 v[50:51], v[20:21], v[60:61]
	s_delay_alu instid0(VALU_DEP_3) | instskip(NEXT) | instid1(VALU_DEP_2)
	v_fma_f64 v[46:47], v[20:21], v[58:59], -v[46:47]
	v_fmac_f64_e32 v[50:51], v[22:23], v[58:59]
	s_delay_alu instid0(VALU_DEP_2) | instskip(SKIP_1) | instid1(VALU_DEP_3)
	v_add_f64_e32 v[132:133], v[64:65], v[46:47]
	v_mul_f64_e32 v[46:47], v[22:23], v[104:105]
	v_add_f64_e32 v[134:135], v[50:51], v[68:69]
	v_mul_f64_e32 v[50:51], v[20:21], v[104:105]
	s_delay_alu instid0(VALU_DEP_3) | instskip(NEXT) | instid1(VALU_DEP_2)
	v_fma_f64 v[46:47], v[20:21], v[102:103], -v[46:47]
	v_fmac_f64_e32 v[50:51], v[22:23], v[102:103]
	s_delay_alu instid0(VALU_DEP_2) | instskip(SKIP_1) | instid1(VALU_DEP_3)
	v_add_f64_e32 v[136:137], v[52:53], v[46:47]
	v_mul_f64_e32 v[46:47], v[22:23], v[40:41]
	v_add_f64_e32 v[138:139], v[50:51], v[56:57]
	s_delay_alu instid0(VALU_DEP_2) | instskip(SKIP_1) | instid1(VALU_DEP_2)
	v_fma_f64 v[46:47], v[20:21], v[38:39], -v[46:47]
	v_mul_f64_e32 v[20:21], v[20:21], v[40:41]
	v_add_f64_e32 v[140:141], v[44:45], v[46:47]
	s_delay_alu instid0(VALU_DEP_2) | instskip(NEXT) | instid1(VALU_DEP_1)
	v_fmac_f64_e32 v[20:21], v[22:23], v[38:39]
	v_add_f64_e32 v[142:143], v[20:21], v[48:49]
	ds_load_b128 v[20:23], v99 offset:3072
	s_wait_dscnt 0x0
	v_mul_f64_e32 v[44:45], v[22:23], v[96:97]
	v_mul_f64_e32 v[46:47], v[20:21], v[96:97]
	s_delay_alu instid0(VALU_DEP_2) | instskip(NEXT) | instid1(VALU_DEP_2)
	v_fma_f64 v[44:45], v[20:21], v[94:95], -v[44:45]
	v_fmac_f64_e32 v[46:47], v[22:23], v[94:95]
	s_delay_alu instid0(VALU_DEP_2) | instskip(NEXT) | instid1(VALU_DEP_2)
	v_add_f64_e32 v[66:67], v[16:17], v[44:45]
	v_add_f64_e32 v[68:69], v[46:47], v[18:19]
	v_mul_f64_e32 v[16:17], v[22:23], v[60:61]
	v_mul_f64_e32 v[18:19], v[20:21], v[60:61]
	s_delay_alu instid0(VALU_DEP_2) | instskip(NEXT) | instid1(VALU_DEP_2)
	v_fma_f64 v[16:17], v[20:21], v[58:59], -v[16:17]
	v_fmac_f64_e32 v[18:19], v[22:23], v[58:59]
	s_delay_alu instid0(VALU_DEP_2) | instskip(NEXT) | instid1(VALU_DEP_2)
	v_add_f64_e32 v[62:63], v[12:13], v[16:17]
	v_add_f64_e32 v[64:65], v[18:19], v[14:15]
	v_mul_f64_e32 v[12:13], v[22:23], v[104:105]
	v_mul_f64_e32 v[14:15], v[20:21], v[104:105]
	ds_load_b128 v[16:19], v98 offset:1280
	v_fma_f64 v[12:13], v[20:21], v[102:103], -v[12:13]
	v_fmac_f64_e32 v[14:15], v[22:23], v[102:103]
	s_delay_alu instid0(VALU_DEP_2) | instskip(NEXT) | instid1(VALU_DEP_2)
	v_add_f64_e32 v[58:59], v[8:9], v[12:13]
	v_add_f64_e32 v[60:61], v[14:15], v[10:11]
	v_mul_f64_e32 v[8:9], v[22:23], v[40:41]
	v_mul_f64_e32 v[10:11], v[20:21], v[40:41]
	ds_load_b128 v[12:15], v98 offset:1536
	v_fma_f64 v[8:9], v[20:21], v[38:39], -v[8:9]
	v_fmac_f64_e32 v[10:11], v[22:23], v[38:39]
	ds_load_b128 v[20:23], v98 offset:1024
	v_add_f64_e32 v[54:55], v[82:83], v[8:9]
	v_add_f64_e32 v[56:57], v[10:11], v[84:85]
	s_wait_dscnt 0x0
	v_mul_f64_e32 v[8:9], v[92:93], v[22:23]
	v_mul_f64_e32 v[10:11], v[90:91], v[22:23]
	ds_load_b128 v[82:85], v99 offset:1040
	s_wait_dscnt 0x0
	v_mul_f64_e32 v[70:71], v[84:85], v[22:23]
	v_mul_f64_e32 v[72:73], v[82:83], v[22:23]
	;; [unrolled: 1-line block ×4, first 2 shown]
	v_fma_f64 v[8:9], v[90:91], v[20:21], -v[8:9]
	v_fmac_f64_e32 v[10:11], v[92:93], v[20:21]
	v_fma_f64 v[70:71], v[82:83], v[20:21], -v[70:71]
	v_fmac_f64_e32 v[72:73], v[84:85], v[20:21]
	;; [unrolled: 2-line block ×3, first 2 shown]
	v_add_f64_e32 v[50:51], v[106:107], v[8:9]
	v_add_f64_e32 v[52:53], v[10:11], v[108:109]
	v_mul_f64_e32 v[8:9], v[92:93], v[18:19]
	v_mul_f64_e32 v[10:11], v[90:91], v[18:19]
	v_add_f64_e32 v[70:71], v[78:79], v[70:71]
	v_add_f64_e32 v[72:73], v[72:73], v[80:81]
	v_mul_f64_e32 v[78:79], v[84:85], v[14:15]
	v_mul_f64_e32 v[80:81], v[82:83], v[14:15]
	v_add_f64_e32 v[74:75], v[118:119], v[74:75]
	v_add_f64_e32 v[76:77], v[76:77], v[116:117]
	v_fma_f64 v[8:9], v[90:91], v[16:17], -v[8:9]
	v_fmac_f64_e32 v[10:11], v[92:93], v[16:17]
	v_fma_f64 v[78:79], v[82:83], v[12:13], -v[78:79]
	v_fmac_f64_e32 v[80:81], v[84:85], v[12:13]
	s_delay_alu instid0(VALU_DEP_4) | instskip(NEXT) | instid1(VALU_DEP_4)
	v_add_f64_e32 v[46:47], v[42:43], v[8:9]
	v_add_f64_e32 v[48:49], v[10:11], v[110:111]
	v_mul_f64_e32 v[8:9], v[92:93], v[14:15]
	v_mul_f64_e32 v[10:11], v[90:91], v[14:15]
	v_add_f64_e32 v[78:79], v[120:121], v[78:79]
	v_add_f64_e32 v[80:81], v[80:81], v[122:123]
	s_delay_alu instid0(VALU_DEP_4) | instskip(NEXT) | instid1(VALU_DEP_4)
	v_fma_f64 v[8:9], v[90:91], v[12:13], -v[8:9]
	v_fmac_f64_e32 v[10:11], v[92:93], v[12:13]
	s_delay_alu instid0(VALU_DEP_2) | instskip(NEXT) | instid1(VALU_DEP_2)
	v_add_f64_e32 v[42:43], v[114:115], v[8:9]
	v_add_f64_e32 v[44:45], v[10:11], v[112:113]
	ds_load_b128 v[8:11], v98 offset:1792
	s_wait_dscnt 0x0
	v_mul_f64_e32 v[38:39], v[92:93], v[10:11]
	v_mul_f64_e32 v[40:41], v[90:91], v[10:11]
	s_delay_alu instid0(VALU_DEP_2) | instskip(NEXT) | instid1(VALU_DEP_2)
	v_fma_f64 v[38:39], v[90:91], v[8:9], -v[38:39]
	v_fmac_f64_e32 v[40:41], v[92:93], v[8:9]
	s_delay_alu instid0(VALU_DEP_2) | instskip(NEXT) | instid1(VALU_DEP_2)
	v_add_f64_e32 v[38:39], v[88:89], v[38:39]
	v_add_f64_e32 v[40:41], v[40:41], v[86:87]
	v_mul_f64_e32 v[86:87], v[84:85], v[10:11]
	v_mul_f64_e32 v[88:89], v[82:83], v[10:11]
	s_delay_alu instid0(VALU_DEP_2) | instskip(NEXT) | instid1(VALU_DEP_2)
	v_fma_f64 v[86:87], v[82:83], v[8:9], -v[86:87]
	v_fmac_f64_e32 v[88:89], v[84:85], v[8:9]
	s_delay_alu instid0(VALU_DEP_2) | instskip(NEXT) | instid1(VALU_DEP_2)
	v_add_f64_e32 v[82:83], v[124:125], v[86:87]
	v_add_f64_e32 v[84:85], v[88:89], v[126:127]
	ds_load_b128 v[86:89], v99 offset:2064
	s_wait_dscnt 0x0
	v_mul_f64_e32 v[90:91], v[88:89], v[22:23]
	v_mul_f64_e32 v[94:95], v[88:89], v[18:19]
	;; [unrolled: 1-line block ×7, first 2 shown]
	v_fma_f64 v[90:91], v[86:87], v[20:21], -v[90:91]
	v_fma_f64 v[94:95], v[86:87], v[16:17], -v[94:95]
	v_fma_f64 v[102:103], v[86:87], v[12:13], -v[102:103]
	v_fma_f64 v[106:107], v[86:87], v[8:9], -v[106:107]
	v_mul_f64_e32 v[86:87], v[86:87], v[10:11]
	v_fmac_f64_e32 v[92:93], v[88:89], v[20:21]
	v_fmac_f64_e32 v[96:97], v[88:89], v[16:17]
	;; [unrolled: 1-line block ×3, first 2 shown]
	v_add_f64_e32 v[90:91], v[128:129], v[90:91]
	v_add_f64_e32 v[94:95], v[132:133], v[94:95]
	;; [unrolled: 1-line block ×4, first 2 shown]
	v_fmac_f64_e32 v[86:87], v[88:89], v[8:9]
	v_add_f64_e32 v[92:93], v[92:93], v[130:131]
	v_add_f64_e32 v[96:97], v[96:97], v[134:135]
	;; [unrolled: 1-line block ×3, first 2 shown]
	s_delay_alu instid0(VALU_DEP_4) | instskip(SKIP_4) | instid1(VALU_DEP_2)
	v_add_f64_e32 v[108:109], v[86:87], v[142:143]
	ds_load_b128 v[86:89], v99 offset:3088
	s_wait_dscnt 0x0
	v_mul_f64_e32 v[110:111], v[88:89], v[22:23]
	v_mul_f64_e32 v[22:23], v[86:87], v[22:23]
	v_fma_f64 v[110:111], v[86:87], v[20:21], -v[110:111]
	s_delay_alu instid0(VALU_DEP_2) | instskip(SKIP_2) | instid1(VALU_DEP_4)
	v_fmac_f64_e32 v[22:23], v[88:89], v[20:21]
	v_mul_f64_e32 v[20:21], v[88:89], v[18:19]
	v_mul_f64_e32 v[18:19], v[86:87], v[18:19]
	v_add_f64_e32 v[66:67], v[66:67], v[110:111]
	s_delay_alu instid0(VALU_DEP_4) | instskip(NEXT) | instid1(VALU_DEP_4)
	v_add_f64_e32 v[68:69], v[22:23], v[68:69]
	v_fma_f64 v[20:21], v[86:87], v[16:17], -v[20:21]
	s_delay_alu instid0(VALU_DEP_4) | instskip(SKIP_2) | instid1(VALU_DEP_4)
	v_fmac_f64_e32 v[18:19], v[88:89], v[16:17]
	v_mul_f64_e32 v[16:17], v[88:89], v[14:15]
	v_mul_f64_e32 v[14:15], v[86:87], v[14:15]
	v_add_f64_e32 v[62:63], v[62:63], v[20:21]
	s_delay_alu instid0(VALU_DEP_4) | instskip(NEXT) | instid1(VALU_DEP_4)
	v_add_f64_e32 v[64:65], v[18:19], v[64:65]
	v_fma_f64 v[16:17], v[86:87], v[12:13], -v[16:17]
	s_delay_alu instid0(VALU_DEP_4) | instskip(SKIP_2) | instid1(VALU_DEP_4)
	v_fmac_f64_e32 v[14:15], v[88:89], v[12:13]
	v_mul_f64_e32 v[12:13], v[88:89], v[10:11]
	v_mul_f64_e32 v[10:11], v[86:87], v[10:11]
	v_add_f64_e32 v[58:59], v[58:59], v[16:17]
	s_delay_alu instid0(VALU_DEP_4) | instskip(NEXT) | instid1(VALU_DEP_4)
	v_add_f64_e32 v[60:61], v[14:15], v[60:61]
	v_fma_f64 v[12:13], v[86:87], v[8:9], -v[12:13]
	s_delay_alu instid0(VALU_DEP_4) | instskip(NEXT) | instid1(VALU_DEP_2)
	v_fmac_f64_e32 v[10:11], v[88:89], v[8:9]
	v_add_f64_e32 v[54:55], v[54:55], v[12:13]
	s_delay_alu instid0(VALU_DEP_2) | instskip(SKIP_4) | instid1(VALU_DEP_2)
	v_add_f64_e32 v[56:57], v[10:11], v[56:57]
	ds_load_b128 v[8:11], v98 offset:2048
	s_wait_dscnt 0x0
	v_mul_f64_e32 v[12:13], v[6:7], v[10:11]
	v_mul_f64_e32 v[14:15], v[4:5], v[10:11]
	v_fma_f64 v[12:13], v[4:5], v[8:9], -v[12:13]
	s_delay_alu instid0(VALU_DEP_2) | instskip(NEXT) | instid1(VALU_DEP_2)
	v_fmac_f64_e32 v[14:15], v[6:7], v[8:9]
	v_add_f64_e32 v[50:51], v[50:51], v[12:13]
	s_delay_alu instid0(VALU_DEP_2) | instskip(SKIP_4) | instid1(VALU_DEP_2)
	v_add_f64_e32 v[52:53], v[14:15], v[52:53]
	ds_load_b128 v[12:15], v98 offset:2304
	s_wait_dscnt 0x0
	v_mul_f64_e32 v[16:17], v[6:7], v[14:15]
	v_mul_f64_e32 v[18:19], v[4:5], v[14:15]
	v_fma_f64 v[16:17], v[4:5], v[12:13], -v[16:17]
	s_delay_alu instid0(VALU_DEP_2) | instskip(NEXT) | instid1(VALU_DEP_2)
	;; [unrolled: 10-line block ×3, first 2 shown]
	v_fmac_f64_e32 v[22:23], v[6:7], v[16:17]
	v_add_f64_e32 v[110:111], v[42:43], v[20:21]
	s_delay_alu instid0(VALU_DEP_2) | instskip(SKIP_3) | instid1(VALU_DEP_1)
	v_add_f64_e32 v[44:45], v[22:23], v[44:45]
	ds_load_b128 v[20:23], v98 offset:2816
	s_wait_dscnt 0x0
	v_mul_f64_e32 v[42:43], v[6:7], v[22:23]
	v_fma_f64 v[42:43], v[4:5], v[20:21], -v[42:43]
	v_mul_f64_e32 v[4:5], v[4:5], v[22:23]
	s_delay_alu instid0(VALU_DEP_2) | instskip(NEXT) | instid1(VALU_DEP_2)
	v_add_f64_e32 v[112:113], v[38:39], v[42:43]
	v_fmac_f64_e32 v[4:5], v[6:7], v[20:21]
	s_delay_alu instid0(VALU_DEP_1) | instskip(SKIP_4) | instid1(VALU_DEP_2)
	v_add_f64_e32 v[114:115], v[4:5], v[40:41]
	ds_load_b128 v[4:7], v99 offset:1056
	s_wait_dscnt 0x0
	v_mul_f64_e32 v[38:39], v[6:7], v[10:11]
	v_mul_f64_e32 v[40:41], v[4:5], v[10:11]
	v_fma_f64 v[38:39], v[4:5], v[8:9], -v[38:39]
	s_delay_alu instid0(VALU_DEP_2) | instskip(NEXT) | instid1(VALU_DEP_2)
	v_fmac_f64_e32 v[40:41], v[6:7], v[8:9]
	v_add_f64_e32 v[70:71], v[70:71], v[38:39]
	v_mul_f64_e32 v[38:39], v[6:7], v[14:15]
	s_delay_alu instid0(VALU_DEP_3) | instskip(SKIP_1) | instid1(VALU_DEP_3)
	v_add_f64_e32 v[72:73], v[40:41], v[72:73]
	v_mul_f64_e32 v[40:41], v[4:5], v[14:15]
	v_fma_f64 v[38:39], v[4:5], v[12:13], -v[38:39]
	s_delay_alu instid0(VALU_DEP_2) | instskip(NEXT) | instid1(VALU_DEP_2)
	v_fmac_f64_e32 v[40:41], v[6:7], v[12:13]
	v_add_f64_e32 v[74:75], v[74:75], v[38:39]
	v_mul_f64_e32 v[38:39], v[6:7], v[18:19]
	s_delay_alu instid0(VALU_DEP_3) | instskip(SKIP_1) | instid1(VALU_DEP_3)
	v_add_f64_e32 v[76:77], v[40:41], v[76:77]
	v_mul_f64_e32 v[40:41], v[4:5], v[18:19]
	v_fma_f64 v[38:39], v[4:5], v[16:17], -v[38:39]
	s_delay_alu instid0(VALU_DEP_2) | instskip(NEXT) | instid1(VALU_DEP_2)
	v_fmac_f64_e32 v[40:41], v[6:7], v[16:17]
	v_add_f64_e32 v[116:117], v[78:79], v[38:39]
	v_mul_f64_e32 v[38:39], v[6:7], v[22:23]
	s_delay_alu instid0(VALU_DEP_3) | instskip(NEXT) | instid1(VALU_DEP_2)
	v_add_f64_e32 v[118:119], v[40:41], v[80:81]
	v_fma_f64 v[38:39], v[4:5], v[20:21], -v[38:39]
	v_mul_f64_e32 v[4:5], v[4:5], v[22:23]
	s_delay_alu instid0(VALU_DEP_2) | instskip(NEXT) | instid1(VALU_DEP_2)
	v_add_f64_e32 v[120:121], v[82:83], v[38:39]
	v_fmac_f64_e32 v[4:5], v[6:7], v[20:21]
	s_delay_alu instid0(VALU_DEP_1) | instskip(SKIP_4) | instid1(VALU_DEP_2)
	v_add_f64_e32 v[122:123], v[4:5], v[84:85]
	ds_load_b128 v[4:7], v99 offset:2080
	s_wait_dscnt 0x0
	v_mul_f64_e32 v[38:39], v[6:7], v[10:11]
	v_mul_f64_e32 v[40:41], v[4:5], v[10:11]
	v_fma_f64 v[38:39], v[4:5], v[8:9], -v[38:39]
	s_delay_alu instid0(VALU_DEP_2) | instskip(NEXT) | instid1(VALU_DEP_2)
	v_fmac_f64_e32 v[40:41], v[6:7], v[8:9]
	v_add_f64_e32 v[124:125], v[90:91], v[38:39]
	v_mul_f64_e32 v[38:39], v[6:7], v[14:15]
	s_delay_alu instid0(VALU_DEP_3) | instskip(SKIP_1) | instid1(VALU_DEP_3)
	v_add_f64_e32 v[126:127], v[40:41], v[92:93]
	v_mul_f64_e32 v[40:41], v[4:5], v[14:15]
	v_fma_f64 v[38:39], v[4:5], v[12:13], -v[38:39]
	s_delay_alu instid0(VALU_DEP_2) | instskip(NEXT) | instid1(VALU_DEP_2)
	v_fmac_f64_e32 v[40:41], v[6:7], v[12:13]
	v_add_f64_e32 v[128:129], v[94:95], v[38:39]
	v_mul_f64_e32 v[38:39], v[6:7], v[18:19]
	s_delay_alu instid0(VALU_DEP_3) | instskip(SKIP_1) | instid1(VALU_DEP_3)
	v_add_f64_e32 v[130:131], v[40:41], v[96:97]
	v_mul_f64_e32 v[40:41], v[4:5], v[18:19]
	v_fma_f64 v[38:39], v[4:5], v[16:17], -v[38:39]
	s_delay_alu instid0(VALU_DEP_2) | instskip(NEXT) | instid1(VALU_DEP_2)
	v_fmac_f64_e32 v[40:41], v[6:7], v[16:17]
	v_add_f64_e32 v[102:103], v[102:103], v[38:39]
	v_mul_f64_e32 v[38:39], v[6:7], v[22:23]
	s_delay_alu instid0(VALU_DEP_3) | instskip(NEXT) | instid1(VALU_DEP_2)
	v_add_f64_e32 v[104:105], v[40:41], v[104:105]
	v_fma_f64 v[38:39], v[4:5], v[20:21], -v[38:39]
	v_mul_f64_e32 v[4:5], v[4:5], v[22:23]
	s_delay_alu instid0(VALU_DEP_2) | instskip(NEXT) | instid1(VALU_DEP_2)
	v_add_f64_e32 v[106:107], v[106:107], v[38:39]
	v_fmac_f64_e32 v[4:5], v[6:7], v[20:21]
	s_delay_alu instid0(VALU_DEP_1) | instskip(SKIP_4) | instid1(VALU_DEP_2)
	v_add_f64_e32 v[108:109], v[4:5], v[108:109]
	ds_load_b128 v[4:7], v99 offset:3104
	s_wait_dscnt 0x0
	v_mul_f64_e32 v[38:39], v[6:7], v[10:11]
	v_mul_f64_e32 v[10:11], v[4:5], v[10:11]
	v_fma_f64 v[38:39], v[4:5], v[8:9], -v[38:39]
	s_delay_alu instid0(VALU_DEP_2) | instskip(SKIP_1) | instid1(VALU_DEP_3)
	v_fmac_f64_e32 v[10:11], v[6:7], v[8:9]
	v_mul_f64_e32 v[8:9], v[6:7], v[14:15]
	v_add_f64_e32 v[94:95], v[66:67], v[38:39]
	s_delay_alu instid0(VALU_DEP_3) | instskip(NEXT) | instid1(VALU_DEP_3)
	v_add_f64_e32 v[96:97], v[10:11], v[68:69]
	v_fma_f64 v[8:9], v[4:5], v[12:13], -v[8:9]
	v_mul_f64_e32 v[10:11], v[4:5], v[14:15]
	s_delay_alu instid0(VALU_DEP_2) | instskip(SKIP_1) | instid1(VALU_DEP_3)
	v_add_f64_e32 v[90:91], v[62:63], v[8:9]
	v_mul_f64_e32 v[8:9], v[6:7], v[18:19]
	v_fmac_f64_e32 v[10:11], v[6:7], v[12:13]
	ds_load_b128 v[12:15], v98 offset:3328
	v_fma_f64 v[8:9], v[4:5], v[16:17], -v[8:9]
	v_add_f64_e32 v[92:93], v[10:11], v[64:65]
	v_mul_f64_e32 v[10:11], v[4:5], v[18:19]
	s_delay_alu instid0(VALU_DEP_3) | instskip(SKIP_1) | instid1(VALU_DEP_3)
	v_add_f64_e32 v[86:87], v[58:59], v[8:9]
	v_mul_f64_e32 v[8:9], v[6:7], v[22:23]
	v_fmac_f64_e32 v[10:11], v[6:7], v[16:17]
	ds_load_b128 v[16:19], v98 offset:3072
	v_fma_f64 v[8:9], v[4:5], v[20:21], -v[8:9]
	v_mul_f64_e32 v[4:5], v[4:5], v[22:23]
	v_add_f64_e32 v[88:89], v[10:11], v[60:61]
	s_delay_alu instid0(VALU_DEP_3) | instskip(NEXT) | instid1(VALU_DEP_3)
	v_add_f64_e32 v[82:83], v[54:55], v[8:9]
	v_fmac_f64_e32 v[4:5], v[6:7], v[20:21]
	s_wait_dscnt 0x0
	v_mul_f64_e32 v[6:7], v[0:1], v[18:19]
	ds_load_b128 v[8:11], v98 offset:3584
	v_add_f64_e32 v[84:85], v[4:5], v[56:57]
	v_mul_f64_e32 v[4:5], v[2:3], v[18:19]
	v_fmac_f64_e32 v[6:7], v[2:3], v[16:17]
	s_delay_alu instid0(VALU_DEP_2) | instskip(NEXT) | instid1(VALU_DEP_2)
	v_fma_f64 v[4:5], v[0:1], v[16:17], -v[4:5]
	v_add_f64_e32 v[60:61], v[6:7], v[52:53]
	v_mul_f64_e32 v[6:7], v[0:1], v[14:15]
	s_delay_alu instid0(VALU_DEP_3) | instskip(SKIP_1) | instid1(VALU_DEP_3)
	v_add_f64_e32 v[58:59], v[50:51], v[4:5]
	v_mul_f64_e32 v[4:5], v[2:3], v[14:15]
	v_fmac_f64_e32 v[6:7], v[2:3], v[12:13]
	s_delay_alu instid0(VALU_DEP_2) | instskip(NEXT) | instid1(VALU_DEP_1)
	v_fma_f64 v[4:5], v[0:1], v[12:13], -v[4:5]
	v_add_f64_e32 v[42:43], v[46:47], v[4:5]
	s_delay_alu instid0(VALU_DEP_3) | instskip(SKIP_3) | instid1(VALU_DEP_2)
	v_add_f64_e32 v[46:47], v[6:7], v[48:49]
	s_wait_dscnt 0x0
	v_mul_f64_e32 v[4:5], v[2:3], v[10:11]
	v_mul_f64_e32 v[6:7], v[0:1], v[10:11]
	v_fma_f64 v[4:5], v[0:1], v[8:9], -v[4:5]
	s_delay_alu instid0(VALU_DEP_2) | instskip(NEXT) | instid1(VALU_DEP_2)
	v_fmac_f64_e32 v[6:7], v[2:3], v[8:9]
	v_add_f64_e32 v[38:39], v[110:111], v[4:5]
	s_delay_alu instid0(VALU_DEP_2) | instskip(SKIP_3) | instid1(VALU_DEP_1)
	v_add_f64_e32 v[40:41], v[6:7], v[44:45]
	ds_load_b128 v[4:7], v98 offset:3840
	s_wait_dscnt 0x0
	v_mul_f64_e32 v[20:21], v[2:3], v[6:7]
	v_fma_f64 v[20:21], v[0:1], v[4:5], -v[20:21]
	v_mul_f64_e32 v[0:1], v[0:1], v[6:7]
	s_delay_alu instid0(VALU_DEP_2) | instskip(NEXT) | instid1(VALU_DEP_2)
	v_add_f64_e32 v[20:21], v[112:113], v[20:21]
	v_fmac_f64_e32 v[0:1], v[2:3], v[4:5]
	s_delay_alu instid0(VALU_DEP_1) | instskip(SKIP_4) | instid1(VALU_DEP_2)
	v_add_f64_e32 v[22:23], v[0:1], v[114:115]
	ds_load_b128 v[0:3], v99 offset:1072
	s_wait_dscnt 0x0
	v_mul_f64_e32 v[44:45], v[2:3], v[18:19]
	v_mul_f64_e32 v[48:49], v[0:1], v[18:19]
	v_fma_f64 v[44:45], v[0:1], v[16:17], -v[44:45]
	s_delay_alu instid0(VALU_DEP_2) | instskip(NEXT) | instid1(VALU_DEP_2)
	v_fmac_f64_e32 v[48:49], v[2:3], v[16:17]
	v_add_f64_e32 v[78:79], v[70:71], v[44:45]
	v_mul_f64_e32 v[44:45], v[2:3], v[14:15]
	s_delay_alu instid0(VALU_DEP_3) | instskip(SKIP_1) | instid1(VALU_DEP_3)
	v_add_f64_e32 v[80:81], v[48:49], v[72:73]
	v_mul_f64_e32 v[48:49], v[0:1], v[14:15]
	v_fma_f64 v[44:45], v[0:1], v[12:13], -v[44:45]
	s_delay_alu instid0(VALU_DEP_2) | instskip(NEXT) | instid1(VALU_DEP_2)
	v_fmac_f64_e32 v[48:49], v[2:3], v[12:13]
	v_add_f64_e32 v[70:71], v[74:75], v[44:45]
	v_mul_f64_e32 v[44:45], v[2:3], v[10:11]
	s_delay_alu instid0(VALU_DEP_3) | instskip(SKIP_1) | instid1(VALU_DEP_3)
	v_add_f64_e32 v[74:75], v[48:49], v[76:77]
	v_mul_f64_e32 v[48:49], v[0:1], v[10:11]
	v_fma_f64 v[44:45], v[0:1], v[8:9], -v[44:45]
	s_delay_alu instid0(VALU_DEP_2) | instskip(NEXT) | instid1(VALU_DEP_2)
	v_fmac_f64_e32 v[48:49], v[2:3], v[8:9]
	v_add_f64_e32 v[62:63], v[116:117], v[44:45]
	v_mul_f64_e32 v[44:45], v[2:3], v[6:7]
	s_delay_alu instid0(VALU_DEP_3) | instskip(NEXT) | instid1(VALU_DEP_2)
	v_add_f64_e32 v[66:67], v[48:49], v[118:119]
	v_fma_f64 v[44:45], v[0:1], v[4:5], -v[44:45]
	v_mul_f64_e32 v[0:1], v[0:1], v[6:7]
	s_delay_alu instid0(VALU_DEP_2) | instskip(NEXT) | instid1(VALU_DEP_2)
	v_add_f64_e32 v[50:51], v[120:121], v[44:45]
	v_fmac_f64_e32 v[0:1], v[2:3], v[4:5]
	s_delay_alu instid0(VALU_DEP_1) | instskip(SKIP_4) | instid1(VALU_DEP_2)
	v_add_f64_e32 v[54:55], v[0:1], v[122:123]
	ds_load_b128 v[0:3], v99 offset:2096
	s_wait_dscnt 0x0
	v_mul_f64_e32 v[44:45], v[2:3], v[18:19]
	v_mul_f64_e32 v[48:49], v[0:1], v[18:19]
	v_fma_f64 v[44:45], v[0:1], v[16:17], -v[44:45]
	s_delay_alu instid0(VALU_DEP_2) | instskip(NEXT) | instid1(VALU_DEP_2)
	v_fmac_f64_e32 v[48:49], v[2:3], v[16:17]
	v_add_f64_e32 v[72:73], v[124:125], v[44:45]
	v_mul_f64_e32 v[44:45], v[2:3], v[14:15]
	s_delay_alu instid0(VALU_DEP_3) | instskip(SKIP_1) | instid1(VALU_DEP_3)
	v_add_f64_e32 v[76:77], v[48:49], v[126:127]
	v_mul_f64_e32 v[48:49], v[0:1], v[14:15]
	v_fma_f64 v[44:45], v[0:1], v[12:13], -v[44:45]
	s_delay_alu instid0(VALU_DEP_2) | instskip(NEXT) | instid1(VALU_DEP_2)
	v_fmac_f64_e32 v[48:49], v[2:3], v[12:13]
	v_add_f64_e32 v[64:65], v[128:129], v[44:45]
	v_mul_f64_e32 v[44:45], v[2:3], v[10:11]
	s_delay_alu instid0(VALU_DEP_3) | instskip(SKIP_1) | instid1(VALU_DEP_3)
	v_add_f64_e32 v[68:69], v[48:49], v[130:131]
	v_mul_f64_e32 v[48:49], v[0:1], v[10:11]
	v_fma_f64 v[44:45], v[0:1], v[8:9], -v[44:45]
	s_delay_alu instid0(VALU_DEP_2) | instskip(NEXT) | instid1(VALU_DEP_2)
	v_fmac_f64_e32 v[48:49], v[2:3], v[8:9]
	v_add_f64_e32 v[52:53], v[102:103], v[44:45]
	v_mul_f64_e32 v[44:45], v[2:3], v[6:7]
	s_delay_alu instid0(VALU_DEP_3) | instskip(NEXT) | instid1(VALU_DEP_2)
	v_add_f64_e32 v[56:57], v[48:49], v[104:105]
	v_fma_f64 v[44:45], v[0:1], v[4:5], -v[44:45]
	v_mul_f64_e32 v[0:1], v[0:1], v[6:7]
	s_delay_alu instid0(VALU_DEP_2) | instskip(NEXT) | instid1(VALU_DEP_2)
	v_add_f64_e32 v[44:45], v[106:107], v[44:45]
	v_fmac_f64_e32 v[0:1], v[2:3], v[4:5]
	s_delay_alu instid0(VALU_DEP_1)
	v_add_f64_e32 v[48:49], v[0:1], v[108:109]
	ds_load_b128 v[0:3], v99 offset:3120
	s_wait_dscnt 0x0
	s_barrier_signal -1
	s_barrier_wait -1
	v_mul_f64_e32 v[102:103], v[2:3], v[18:19]
	v_mul_f64_e32 v[18:19], v[0:1], v[18:19]
	s_delay_alu instid0(VALU_DEP_2) | instskip(NEXT) | instid1(VALU_DEP_2)
	v_fma_f64 v[102:103], v[0:1], v[16:17], -v[102:103]
	v_fmac_f64_e32 v[18:19], v[2:3], v[16:17]
	s_delay_alu instid0(VALU_DEP_2) | instskip(SKIP_2) | instid1(VALU_DEP_4)
	v_add_f64_e32 v[16:17], v[94:95], v[102:103]
	v_mul_f64_e32 v[94:95], v[2:3], v[14:15]
	v_mul_f64_e32 v[14:15], v[0:1], v[14:15]
	v_add_f64_e32 v[18:19], v[18:19], v[96:97]
	s_delay_alu instid0(VALU_DEP_3) | instskip(NEXT) | instid1(VALU_DEP_3)
	v_fma_f64 v[94:95], v[0:1], v[12:13], -v[94:95]
	v_fmac_f64_e32 v[14:15], v[2:3], v[12:13]
	s_delay_alu instid0(VALU_DEP_2) | instskip(SKIP_2) | instid1(VALU_DEP_4)
	v_add_f64_e32 v[12:13], v[90:91], v[94:95]
	v_mul_f64_e32 v[90:91], v[2:3], v[10:11]
	v_mul_f64_e32 v[10:11], v[0:1], v[10:11]
	v_add_f64_e32 v[14:15], v[14:15], v[92:93]
	s_delay_alu instid0(VALU_DEP_3) | instskip(NEXT) | instid1(VALU_DEP_3)
	v_fma_f64 v[90:91], v[0:1], v[8:9], -v[90:91]
	v_fmac_f64_e32 v[10:11], v[2:3], v[8:9]
	s_delay_alu instid0(VALU_DEP_2) | instskip(SKIP_1) | instid1(VALU_DEP_3)
	v_add_f64_e32 v[8:9], v[86:87], v[90:91]
	v_mul_f64_e32 v[86:87], v[2:3], v[6:7]
	v_add_f64_e32 v[10:11], v[10:11], v[88:89]
	s_delay_alu instid0(VALU_DEP_2) | instskip(SKIP_1) | instid1(VALU_DEP_2)
	v_fma_f64 v[86:87], v[0:1], v[4:5], -v[86:87]
	v_mul_f64_e32 v[0:1], v[0:1], v[6:7]
	v_add_f64_e32 v[82:83], v[82:83], v[86:87]
	s_delay_alu instid0(VALU_DEP_2) | instskip(NEXT) | instid1(VALU_DEP_1)
	v_fmac_f64_e32 v[0:1], v[2:3], v[4:5]
	v_add_f64_e32 v[84:85], v[0:1], v[84:85]
	s_cbranch_vccnz .LBB531_5
	s_branch .LBB531_7
.LBB531_6:                              ;   in Loop: Header=BB531_3 Depth=1
	v_mov_b64_e32 v[58:59], 0
	v_mov_b64_e32 v[60:61], 0
	;; [unrolled: 1-line block ×32, first 2 shown]
.LBB531_7:                              ;   in Loop: Header=BB531_3 Depth=1
	s_wait_kmcnt 0x0
	s_mul_u64 s[24:25], s[20:21], s[2:3]
	s_and_not1_b32 vcc_lo, exec_lo, s1
	s_lshl_b64 s[24:25], s[24:25], 4
	s_mov_b32 s27, -1
	s_add_nc_u64 s[24:25], s[48:49], s[24:25]
                                        ; implicit-def: $vgpr0_vgpr1
                                        ; implicit-def: $vgpr2_vgpr3
	s_cbranch_vccz .LBB531_9
; %bb.8:                                ;   in Loop: Header=BB531_3 Depth=1
	s_and_not1_b32 vcc_lo, exec_lo, s27
	s_cbranch_vccnz .LBB531_2
	s_branch .LBB531_10
.LBB531_9:                              ;   in Loop: Header=BB531_3 Depth=1
	s_wait_xcnt 0x0
	v_mul_f64_e32 v[0:1], s[8:9], v[60:61]
	v_mul_f64_e32 v[2:3], s[6:7], v[60:61]
	;; [unrolled: 1-line block ×8, first 2 shown]
	v_lshlrev_b64_e32 v[130:131], 4, v[26:27]
	v_lshl_add_u64 v[122:123], v[24:25], 4, s[24:25]
	v_mul_f64_e32 v[92:93], s[8:9], v[80:81]
	v_mul_f64_e32 v[90:91], s[6:7], v[80:81]
	;; [unrolled: 1-line block ×5, first 2 shown]
	v_add_nc_u64_e32 v[112:113], v[122:123], v[130:131]
	v_mul_f64_e32 v[104:105], s[6:7], v[66:67]
	v_mul_f64_e32 v[106:107], s[8:9], v[54:55]
	;; [unrolled: 1-line block ×13, first 2 shown]
	v_fma_f64 v[0:1], s[6:7], v[58:59], -v[0:1]
	v_fmac_f64_e32 v[2:3], s[8:9], v[58:59]
	v_fma_f64 v[4:5], s[6:7], v[42:43], -v[4:5]
	v_fmac_f64_e32 v[6:7], s[8:9], v[42:43]
	;; [unrolled: 2-line block ×4, first 2 shown]
	v_fmac_f64_e32 v[90:91], s[8:9], v[78:79]
	v_fmac_f64_e32 v[94:95], s[8:9], v[70:71]
	v_fma_f64 v[102:103], s[6:7], v[62:63], -v[102:103]
	v_fmac_f64_e32 v[104:105], s[8:9], v[62:63]
	v_fma_f64 v[106:107], s[6:7], v[50:51], -v[106:107]
	v_fmac_f64_e32 v[108:109], s[8:9], v[50:51]
	v_fmac_f64_e32 v[128:129], s[8:9], v[8:9]
	v_fmac_f64_e32 v[116:117], s[8:9], v[44:45]
	v_fmac_f64_e32 v[120:121], s[8:9], v[16:17]
	v_fmac_f64_e32 v[124:125], s[8:9], v[12:13]
	global_store_b128 v[112:113], v[0:3], off
	s_wait_xcnt 0x0
	v_mul_f64_e32 v[0:1], s[6:7], v[84:85]
	global_store_b128 v[112:113], v[4:7], off offset:256
	s_wait_xcnt 0x0
	v_mul_f64_e32 v[4:5], s[6:7], v[76:77]
	global_store_b128 v[112:113], v[34:37], off offset:512
	;; [unrolled: 3-line block ×3, first 2 shown]
	s_wait_xcnt 0x0
	v_mul_f64_e32 v[112:113], s[6:7], v[56:57]
	v_mul_f64_e32 v[6:7], s[8:9], v[10:11]
	;; [unrolled: 1-line block ×3, first 2 shown]
	v_fma_f64 v[88:89], s[6:7], v[78:79], -v[92:93]
	v_fma_f64 v[92:93], s[6:7], v[70:71], -v[96:97]
	;; [unrolled: 1-line block ×3, first 2 shown]
	v_add_nc_u64_e32 v[96:97], s[22:23], v[122:123]
	v_fma_f64 v[34:35], s[6:7], v[64:65], -v[114:115]
	v_fma_f64 v[110:111], s[6:7], v[52:53], -v[118:119]
	;; [unrolled: 1-line block ×5, first 2 shown]
	v_fmac_f64_e32 v[0:1], s[8:9], v[82:83]
	v_fmac_f64_e32 v[4:5], s[8:9], v[72:73]
	;; [unrolled: 1-line block ×4, first 2 shown]
	v_fma_f64 v[126:127], s[6:7], v[8:9], -v[6:7]
	v_fma_f64 v[6:7], s[6:7], v[82:83], -v[86:87]
	v_add_nc_u64_e32 v[86:87], s[22:23], v[96:97]
	v_add_nc_u64_e32 v[96:97], v[96:97], v[130:131]
	s_delay_alu instid0(VALU_DEP_2)
	v_add_nc_u64_e32 v[132:133], s[22:23], v[86:87]
	v_add_nc_u64_e32 v[86:87], v[86:87], v[130:131]
	s_clause 0x5
	global_store_b128 v[96:97], v[88:91], off
	global_store_b128 v[96:97], v[92:95], off offset:256
	global_store_b128 v[96:97], v[102:105], off offset:512
	global_store_b128 v[96:97], v[106:109], off offset:768
	global_store_b128 v[86:87], v[2:5], off
	global_store_b128 v[86:87], v[34:37], off offset:256
	v_add_nc_u64_e32 v[130:131], v[132:133], v[130:131]
	s_clause 0x3
	global_store_b128 v[86:87], v[110:113], off offset:512
	global_store_b128 v[86:87], v[114:117], off offset:768
	global_store_b128 v[130:131], v[118:121], off
	global_store_b128 v[130:131], v[122:125], off offset:256
	s_wait_xcnt 0x5
	v_add_nc_u64_e32 v[2:3], 0x300, v[130:131]
	s_clause 0x1
	global_store_b128 v[130:131], v[126:129], off offset:512
	global_store_b64 v[130:131], v[6:7], off offset:768
	s_cbranch_execnz .LBB531_2
.LBB531_10:                             ;   in Loop: Header=BB531_3 Depth=1
	s_mul_u64 s[28:29], s[46:47], s[2:3]
	s_wait_xcnt 0x1
	v_lshlrev_b64_e32 v[4:5], 4, v[26:27]
	s_wait_xcnt 0x0
	v_lshl_add_u64 v[6:7], s[28:29], 4, v[28:29]
	v_mul_f64_e32 v[36:37], s[8:9], v[60:61]
	v_mul_f64_e32 v[60:61], s[6:7], v[60:61]
	s_delay_alu instid0(VALU_DEP_3)
	v_add_nc_u64_e32 v[34:35], v[6:7], v[4:5]
	v_add_nc_u64_e32 v[6:7], s[18:19], v[6:7]
	global_load_b128 v[0:3], v[34:35], off
	v_fma_f64 v[36:37], s[6:7], v[58:59], -v[36:37]
	v_fmac_f64_e32 v[60:61], s[8:9], v[58:59]
	s_wait_loadcnt 0x0
	v_mul_f64_e32 v[86:87], s[40:41], v[2:3]
	v_mul_f64_e32 v[2:3], s[38:39], v[2:3]
	s_delay_alu instid0(VALU_DEP_2) | instskip(NEXT) | instid1(VALU_DEP_2)
	v_fma_f64 v[58:59], s[38:39], v[0:1], -v[86:87]
	v_fmac_f64_e32 v[2:3], s[40:41], v[0:1]
	s_delay_alu instid0(VALU_DEP_2) | instskip(NEXT) | instid1(VALU_DEP_2)
	v_add_f64_e32 v[0:1], v[36:37], v[58:59]
	v_add_f64_e32 v[2:3], v[60:61], v[2:3]
	v_lshl_add_u64 v[36:37], v[24:25], 4, s[24:25]
	v_mul_f64_e32 v[60:61], s[8:9], v[46:47]
	v_mul_f64_e32 v[46:47], s[6:7], v[46:47]
	s_delay_alu instid0(VALU_DEP_3)
	v_add_nc_u64_e32 v[58:59], v[36:37], v[4:5]
	global_store_b128 v[58:59], v[0:3], off
	global_load_b128 v[0:3], v[34:35], off offset:256
	v_fma_f64 v[60:61], s[6:7], v[42:43], -v[60:61]
	v_fmac_f64_e32 v[46:47], s[8:9], v[42:43]
	s_wait_loadcnt 0x0
	v_mul_f64_e32 v[86:87], s[40:41], v[2:3]
	v_mul_f64_e32 v[2:3], s[38:39], v[2:3]
	s_delay_alu instid0(VALU_DEP_2) | instskip(NEXT) | instid1(VALU_DEP_2)
	v_fma_f64 v[42:43], s[38:39], v[0:1], -v[86:87]
	v_fmac_f64_e32 v[2:3], s[40:41], v[0:1]
	s_delay_alu instid0(VALU_DEP_2) | instskip(NEXT) | instid1(VALU_DEP_2)
	v_add_f64_e32 v[0:1], v[60:61], v[42:43]
	v_add_f64_e32 v[2:3], v[46:47], v[2:3]
	v_mul_f64_e32 v[42:43], s[8:9], v[40:41]
	v_mul_f64_e32 v[40:41], s[6:7], v[40:41]
	global_store_b128 v[58:59], v[0:3], off offset:256
	global_load_b128 v[0:3], v[34:35], off offset:512
	v_fma_f64 v[42:43], s[6:7], v[38:39], -v[42:43]
	v_fmac_f64_e32 v[40:41], s[8:9], v[38:39]
	s_wait_loadcnt 0x0
	v_mul_f64_e32 v[46:47], s[40:41], v[2:3]
	v_mul_f64_e32 v[2:3], s[38:39], v[2:3]
	s_delay_alu instid0(VALU_DEP_2) | instskip(NEXT) | instid1(VALU_DEP_2)
	v_fma_f64 v[38:39], s[38:39], v[0:1], -v[46:47]
	v_fmac_f64_e32 v[2:3], s[40:41], v[0:1]
	s_delay_alu instid0(VALU_DEP_2) | instskip(NEXT) | instid1(VALU_DEP_2)
	v_add_f64_e32 v[0:1], v[42:43], v[38:39]
	v_add_f64_e32 v[2:3], v[40:41], v[2:3]
	global_store_b128 v[58:59], v[0:3], off offset:512
	global_load_b128 v[0:3], v[34:35], off offset:768
	s_wait_xcnt 0x0
	v_mul_f64_e32 v[34:35], s[8:9], v[22:23]
	v_mul_f64_e32 v[22:23], s[6:7], v[22:23]
	s_delay_alu instid0(VALU_DEP_2) | instskip(NEXT) | instid1(VALU_DEP_2)
	v_fma_f64 v[34:35], s[6:7], v[20:21], -v[34:35]
	v_fmac_f64_e32 v[22:23], s[8:9], v[20:21]
	s_wait_loadcnt 0x0
	v_mul_f64_e32 v[38:39], s[40:41], v[2:3]
	v_mul_f64_e32 v[2:3], s[38:39], v[2:3]
	s_delay_alu instid0(VALU_DEP_2) | instskip(NEXT) | instid1(VALU_DEP_2)
	v_fma_f64 v[20:21], s[38:39], v[0:1], -v[38:39]
	v_fmac_f64_e32 v[2:3], s[40:41], v[0:1]
	s_delay_alu instid0(VALU_DEP_2) | instskip(NEXT) | instid1(VALU_DEP_2)
	v_add_f64_e32 v[0:1], v[34:35], v[20:21]
	v_add_f64_e32 v[2:3], v[22:23], v[2:3]
	v_add_nc_u64_e32 v[20:21], v[6:7], v[4:5]
	v_mul_f64_e32 v[22:23], s[8:9], v[80:81]
	v_mul_f64_e32 v[34:35], s[6:7], v[80:81]
	v_add_nc_u64_e32 v[6:7], s[18:19], v[6:7]
	global_store_b128 v[58:59], v[0:3], off offset:768
	global_load_b128 v[0:3], v[20:21], off
	v_fma_f64 v[22:23], s[6:7], v[78:79], -v[22:23]
	v_fmac_f64_e32 v[34:35], s[8:9], v[78:79]
	s_wait_loadcnt 0x0
	v_mul_f64_e32 v[38:39], s[40:41], v[2:3]
	v_mul_f64_e32 v[2:3], s[38:39], v[2:3]
	s_delay_alu instid0(VALU_DEP_2) | instskip(NEXT) | instid1(VALU_DEP_2)
	v_fma_f64 v[38:39], s[38:39], v[0:1], -v[38:39]
	v_fmac_f64_e32 v[2:3], s[40:41], v[0:1]
	s_delay_alu instid0(VALU_DEP_2) | instskip(NEXT) | instid1(VALU_DEP_2)
	v_add_f64_e32 v[0:1], v[22:23], v[38:39]
	v_add_f64_e32 v[2:3], v[34:35], v[2:3]
	v_add_nc_u64_e32 v[22:23], s[22:23], v[36:37]
	v_mul_f64_e32 v[36:37], s[8:9], v[74:75]
	v_mul_f64_e32 v[38:39], s[6:7], v[74:75]
	s_delay_alu instid0(VALU_DEP_3)
	v_add_nc_u64_e32 v[34:35], v[22:23], v[4:5]
	v_add_nc_u64_e32 v[22:23], s[22:23], v[22:23]
	global_store_b128 v[34:35], v[0:3], off
	global_load_b128 v[0:3], v[20:21], off offset:256
	v_fma_f64 v[36:37], s[6:7], v[70:71], -v[36:37]
	v_fmac_f64_e32 v[38:39], s[8:9], v[70:71]
	s_wait_loadcnt 0x0
	v_mul_f64_e32 v[40:41], s[40:41], v[2:3]
	v_mul_f64_e32 v[2:3], s[38:39], v[2:3]
	s_delay_alu instid0(VALU_DEP_2) | instskip(NEXT) | instid1(VALU_DEP_2)
	v_fma_f64 v[40:41], s[38:39], v[0:1], -v[40:41]
	v_fmac_f64_e32 v[2:3], s[40:41], v[0:1]
	s_delay_alu instid0(VALU_DEP_2) | instskip(NEXT) | instid1(VALU_DEP_2)
	v_add_f64_e32 v[0:1], v[36:37], v[40:41]
	v_add_f64_e32 v[2:3], v[38:39], v[2:3]
	v_mul_f64_e32 v[36:37], s[8:9], v[66:67]
	v_mul_f64_e32 v[38:39], s[6:7], v[66:67]
	global_store_b128 v[34:35], v[0:3], off offset:256
	global_load_b128 v[0:3], v[20:21], off offset:512
	v_fma_f64 v[36:37], s[6:7], v[62:63], -v[36:37]
	v_fmac_f64_e32 v[38:39], s[8:9], v[62:63]
	s_wait_loadcnt 0x0
	v_mul_f64_e32 v[40:41], s[40:41], v[2:3]
	v_mul_f64_e32 v[2:3], s[38:39], v[2:3]
	s_delay_alu instid0(VALU_DEP_2) | instskip(NEXT) | instid1(VALU_DEP_2)
	v_fma_f64 v[40:41], s[38:39], v[0:1], -v[40:41]
	v_fmac_f64_e32 v[2:3], s[40:41], v[0:1]
	s_delay_alu instid0(VALU_DEP_2) | instskip(NEXT) | instid1(VALU_DEP_2)
	v_add_f64_e32 v[0:1], v[36:37], v[40:41]
	v_add_f64_e32 v[2:3], v[38:39], v[2:3]
	v_mul_f64_e32 v[36:37], s[6:7], v[54:55]
	global_store_b128 v[34:35], v[0:3], off offset:512
	global_load_b128 v[0:3], v[20:21], off offset:768
	s_wait_xcnt 0x0
	v_mul_f64_e32 v[20:21], s[8:9], v[54:55]
	v_fmac_f64_e32 v[36:37], s[8:9], v[50:51]
	s_delay_alu instid0(VALU_DEP_2) | instskip(SKIP_3) | instid1(VALU_DEP_2)
	v_fma_f64 v[20:21], s[6:7], v[50:51], -v[20:21]
	s_wait_loadcnt 0x0
	v_mul_f64_e32 v[38:39], s[40:41], v[2:3]
	v_mul_f64_e32 v[2:3], s[38:39], v[2:3]
	v_fma_f64 v[38:39], s[38:39], v[0:1], -v[38:39]
	s_delay_alu instid0(VALU_DEP_2) | instskip(NEXT) | instid1(VALU_DEP_2)
	v_fmac_f64_e32 v[2:3], s[40:41], v[0:1]
	v_add_f64_e32 v[0:1], v[20:21], v[38:39]
	s_delay_alu instid0(VALU_DEP_2) | instskip(SKIP_3) | instid1(VALU_DEP_1)
	v_add_f64_e32 v[2:3], v[36:37], v[2:3]
	v_add_nc_u64_e32 v[20:21], v[6:7], v[4:5]
	v_mul_f64_e32 v[36:37], s[6:7], v[76:77]
	v_add_nc_u64_e32 v[6:7], s[18:19], v[6:7]
	v_add_nc_u64_e32 v[6:7], v[6:7], v[4:5]
	global_store_b128 v[34:35], v[0:3], off offset:768
	global_load_b128 v[0:3], v[20:21], off
	v_mul_f64_e32 v[34:35], s[8:9], v[76:77]
	v_fmac_f64_e32 v[36:37], s[8:9], v[72:73]
	s_delay_alu instid0(VALU_DEP_2) | instskip(SKIP_3) | instid1(VALU_DEP_2)
	v_fma_f64 v[34:35], s[6:7], v[72:73], -v[34:35]
	s_wait_loadcnt 0x0
	v_mul_f64_e32 v[38:39], s[40:41], v[2:3]
	v_mul_f64_e32 v[2:3], s[38:39], v[2:3]
	v_fma_f64 v[38:39], s[38:39], v[0:1], -v[38:39]
	s_delay_alu instid0(VALU_DEP_2) | instskip(NEXT) | instid1(VALU_DEP_2)
	v_fmac_f64_e32 v[2:3], s[40:41], v[0:1]
	v_add_f64_e32 v[0:1], v[34:35], v[38:39]
	s_delay_alu instid0(VALU_DEP_2)
	v_add_f64_e32 v[2:3], v[36:37], v[2:3]
	v_add_nc_u64_e32 v[34:35], v[22:23], v[4:5]
	v_mul_f64_e32 v[36:37], s[8:9], v[68:69]
	v_mul_f64_e32 v[38:39], s[6:7], v[68:69]
	global_store_b128 v[34:35], v[0:3], off
	global_load_b128 v[0:3], v[20:21], off offset:256
	v_fma_f64 v[36:37], s[6:7], v[64:65], -v[36:37]
	v_fmac_f64_e32 v[38:39], s[8:9], v[64:65]
	s_wait_loadcnt 0x0
	v_mul_f64_e32 v[40:41], s[40:41], v[2:3]
	v_mul_f64_e32 v[2:3], s[38:39], v[2:3]
	s_delay_alu instid0(VALU_DEP_2) | instskip(NEXT) | instid1(VALU_DEP_2)
	v_fma_f64 v[40:41], s[38:39], v[0:1], -v[40:41]
	v_fmac_f64_e32 v[2:3], s[40:41], v[0:1]
	s_delay_alu instid0(VALU_DEP_2) | instskip(NEXT) | instid1(VALU_DEP_2)
	v_add_f64_e32 v[0:1], v[36:37], v[40:41]
	v_add_f64_e32 v[2:3], v[38:39], v[2:3]
	v_mul_f64_e32 v[36:37], s[8:9], v[56:57]
	v_mul_f64_e32 v[38:39], s[6:7], v[56:57]
	global_store_b128 v[34:35], v[0:3], off offset:256
	global_load_b128 v[0:3], v[20:21], off offset:512
	v_fma_f64 v[36:37], s[6:7], v[52:53], -v[36:37]
	v_fmac_f64_e32 v[38:39], s[8:9], v[52:53]
	s_wait_loadcnt 0x0
	v_mul_f64_e32 v[40:41], s[40:41], v[2:3]
	v_mul_f64_e32 v[2:3], s[38:39], v[2:3]
	s_delay_alu instid0(VALU_DEP_2) | instskip(NEXT) | instid1(VALU_DEP_2)
	v_fma_f64 v[40:41], s[38:39], v[0:1], -v[40:41]
	v_fmac_f64_e32 v[2:3], s[40:41], v[0:1]
	s_delay_alu instid0(VALU_DEP_2) | instskip(NEXT) | instid1(VALU_DEP_2)
	v_add_f64_e32 v[0:1], v[36:37], v[40:41]
	v_add_f64_e32 v[2:3], v[38:39], v[2:3]
	v_mul_f64_e32 v[36:37], s[6:7], v[48:49]
	global_store_b128 v[34:35], v[0:3], off offset:512
	global_load_b128 v[0:3], v[20:21], off offset:768
	s_wait_xcnt 0x0
	v_mul_f64_e32 v[20:21], s[8:9], v[48:49]
	v_fmac_f64_e32 v[36:37], s[8:9], v[44:45]
	s_delay_alu instid0(VALU_DEP_2) | instskip(SKIP_3) | instid1(VALU_DEP_2)
	v_fma_f64 v[20:21], s[6:7], v[44:45], -v[20:21]
	s_wait_loadcnt 0x0
	v_mul_f64_e32 v[38:39], s[40:41], v[2:3]
	v_mul_f64_e32 v[2:3], s[38:39], v[2:3]
	v_fma_f64 v[38:39], s[38:39], v[0:1], -v[38:39]
	s_delay_alu instid0(VALU_DEP_2) | instskip(NEXT) | instid1(VALU_DEP_2)
	v_fmac_f64_e32 v[2:3], s[40:41], v[0:1]
	v_add_f64_e32 v[0:1], v[20:21], v[38:39]
	s_delay_alu instid0(VALU_DEP_2)
	v_add_f64_e32 v[2:3], v[36:37], v[2:3]
	v_mul_f64_e32 v[20:21], s[8:9], v[18:19]
	v_mul_f64_e32 v[18:19], s[6:7], v[18:19]
	global_store_b128 v[34:35], v[0:3], off offset:768
	global_load_b128 v[0:3], v[6:7], off
	v_fma_f64 v[20:21], s[6:7], v[16:17], -v[20:21]
	v_fmac_f64_e32 v[18:19], s[8:9], v[16:17]
	s_wait_loadcnt 0x0
	v_mul_f64_e32 v[34:35], s[40:41], v[2:3]
	v_mul_f64_e32 v[2:3], s[38:39], v[2:3]
	s_delay_alu instid0(VALU_DEP_2) | instskip(NEXT) | instid1(VALU_DEP_2)
	v_fma_f64 v[16:17], s[38:39], v[0:1], -v[34:35]
	v_fmac_f64_e32 v[2:3], s[40:41], v[0:1]
	s_delay_alu instid0(VALU_DEP_2) | instskip(NEXT) | instid1(VALU_DEP_2)
	v_add_f64_e32 v[0:1], v[20:21], v[16:17]
	v_add_f64_e32 v[2:3], v[18:19], v[2:3]
	v_add_nc_u64_e32 v[16:17], s[22:23], v[22:23]
	s_delay_alu instid0(VALU_DEP_1)
	v_add_nc_u64_e32 v[4:5], v[16:17], v[4:5]
	v_mul_f64_e32 v[16:17], s[8:9], v[14:15]
	v_mul_f64_e32 v[14:15], s[6:7], v[14:15]
	global_store_b128 v[4:5], v[0:3], off
	global_load_b128 v[0:3], v[6:7], off offset:256
	v_fma_f64 v[16:17], s[6:7], v[12:13], -v[16:17]
	v_fmac_f64_e32 v[14:15], s[8:9], v[12:13]
	s_wait_loadcnt 0x0
	v_mul_f64_e32 v[18:19], s[40:41], v[2:3]
	v_mul_f64_e32 v[2:3], s[38:39], v[2:3]
	s_delay_alu instid0(VALU_DEP_2) | instskip(NEXT) | instid1(VALU_DEP_2)
	v_fma_f64 v[12:13], s[38:39], v[0:1], -v[18:19]
	v_fmac_f64_e32 v[2:3], s[40:41], v[0:1]
	s_delay_alu instid0(VALU_DEP_2) | instskip(NEXT) | instid1(VALU_DEP_2)
	v_add_f64_e32 v[0:1], v[16:17], v[12:13]
	v_add_f64_e32 v[2:3], v[14:15], v[2:3]
	v_mul_f64_e32 v[12:13], s[8:9], v[10:11]
	v_mul_f64_e32 v[10:11], s[6:7], v[10:11]
	global_store_b128 v[4:5], v[0:3], off offset:256
	global_load_b128 v[0:3], v[6:7], off offset:512
	v_fma_f64 v[12:13], s[6:7], v[8:9], -v[12:13]
	v_fmac_f64_e32 v[10:11], s[8:9], v[8:9]
	s_wait_loadcnt 0x0
	v_mul_f64_e32 v[14:15], s[40:41], v[2:3]
	v_mul_f64_e32 v[2:3], s[38:39], v[2:3]
	s_delay_alu instid0(VALU_DEP_2) | instskip(NEXT) | instid1(VALU_DEP_2)
	v_fma_f64 v[8:9], s[38:39], v[0:1], -v[14:15]
	v_fmac_f64_e32 v[2:3], s[40:41], v[0:1]
	s_delay_alu instid0(VALU_DEP_2) | instskip(NEXT) | instid1(VALU_DEP_2)
	v_add_f64_e32 v[0:1], v[12:13], v[8:9]
	v_add_f64_e32 v[2:3], v[10:11], v[2:3]
	v_mul_f64_e32 v[8:9], s[6:7], v[84:85]
	global_store_b128 v[4:5], v[0:3], off offset:512
	global_load_b128 v[0:3], v[6:7], off offset:768
	s_wait_xcnt 0x0
	v_mul_f64_e32 v[6:7], s[8:9], v[84:85]
	v_fmac_f64_e32 v[8:9], s[8:9], v[82:83]
	s_delay_alu instid0(VALU_DEP_2) | instskip(SKIP_3) | instid1(VALU_DEP_2)
	v_fma_f64 v[6:7], s[6:7], v[82:83], -v[6:7]
	s_wait_loadcnt 0x0
	v_mul_f64_e32 v[10:11], s[40:41], v[2:3]
	v_mul_f64_e32 v[2:3], s[38:39], v[2:3]
	v_fma_f64 v[10:11], s[38:39], v[0:1], -v[10:11]
	s_delay_alu instid0(VALU_DEP_2) | instskip(NEXT) | instid1(VALU_DEP_2)
	v_fmac_f64_e32 v[2:3], s[40:41], v[0:1]
	v_add_f64_e32 v[6:7], v[6:7], v[10:11]
	s_delay_alu instid0(VALU_DEP_2)
	v_add_f64_e32 v[0:1], v[8:9], v[2:3]
	v_add_nc_u64_e32 v[2:3], 0x300, v[4:5]
	global_store_b64 v[4:5], v[6:7], off offset:768
	s_branch .LBB531_2
.LBB531_11:
	s_sendmsg sendmsg(MSG_DEALLOC_VGPRS)
	s_endpgm
	.section	.rodata,"a",@progbits
	.p2align	6, 0x0
	.amdhsa_kernel _ZN12_GLOBAL__N_127rocblas_gemm_batched_kernelI19rocblas_complex_numIdELi16ELi16ELi64ELi64ELi4ELi64ELi4ELi4ELi64ELc78ELc84EKS2_S3_S2_EEvlllT_PT11_llS6_llS4_PT12_llPT13_lli
		.amdhsa_group_segment_fixed_size 8192
		.amdhsa_private_segment_fixed_size 0
		.amdhsa_kernarg_size 156
		.amdhsa_user_sgpr_count 2
		.amdhsa_user_sgpr_dispatch_ptr 0
		.amdhsa_user_sgpr_queue_ptr 0
		.amdhsa_user_sgpr_kernarg_segment_ptr 1
		.amdhsa_user_sgpr_dispatch_id 0
		.amdhsa_user_sgpr_kernarg_preload_length 0
		.amdhsa_user_sgpr_kernarg_preload_offset 0
		.amdhsa_user_sgpr_private_segment_size 0
		.amdhsa_wavefront_size32 1
		.amdhsa_uses_dynamic_stack 0
		.amdhsa_enable_private_segment 0
		.amdhsa_system_sgpr_workgroup_id_x 1
		.amdhsa_system_sgpr_workgroup_id_y 1
		.amdhsa_system_sgpr_workgroup_id_z 1
		.amdhsa_system_sgpr_workgroup_info 0
		.amdhsa_system_vgpr_workitem_id 1
		.amdhsa_next_free_vgpr 144
		.amdhsa_next_free_sgpr 52
		.amdhsa_named_barrier_count 0
		.amdhsa_reserve_vcc 1
		.amdhsa_float_round_mode_32 0
		.amdhsa_float_round_mode_16_64 0
		.amdhsa_float_denorm_mode_32 3
		.amdhsa_float_denorm_mode_16_64 3
		.amdhsa_fp16_overflow 0
		.amdhsa_memory_ordered 1
		.amdhsa_forward_progress 1
		.amdhsa_inst_pref_size 44
		.amdhsa_round_robin_scheduling 0
		.amdhsa_exception_fp_ieee_invalid_op 0
		.amdhsa_exception_fp_denorm_src 0
		.amdhsa_exception_fp_ieee_div_zero 0
		.amdhsa_exception_fp_ieee_overflow 0
		.amdhsa_exception_fp_ieee_underflow 0
		.amdhsa_exception_fp_ieee_inexact 0
		.amdhsa_exception_int_div_zero 0
	.end_amdhsa_kernel
	.section	.text._ZN12_GLOBAL__N_127rocblas_gemm_batched_kernelI19rocblas_complex_numIdELi16ELi16ELi64ELi64ELi4ELi64ELi4ELi4ELi64ELc78ELc84EKS2_S3_S2_EEvlllT_PT11_llS6_llS4_PT12_llPT13_lli,"axG",@progbits,_ZN12_GLOBAL__N_127rocblas_gemm_batched_kernelI19rocblas_complex_numIdELi16ELi16ELi64ELi64ELi4ELi64ELi4ELi4ELi64ELc78ELc84EKS2_S3_S2_EEvlllT_PT11_llS6_llS4_PT12_llPT13_lli,comdat
.Lfunc_end531:
	.size	_ZN12_GLOBAL__N_127rocblas_gemm_batched_kernelI19rocblas_complex_numIdELi16ELi16ELi64ELi64ELi4ELi64ELi4ELi4ELi64ELc78ELc84EKS2_S3_S2_EEvlllT_PT11_llS6_llS4_PT12_llPT13_lli, .Lfunc_end531-_ZN12_GLOBAL__N_127rocblas_gemm_batched_kernelI19rocblas_complex_numIdELi16ELi16ELi64ELi64ELi4ELi64ELi4ELi4ELi64ELc78ELc84EKS2_S3_S2_EEvlllT_PT11_llS6_llS4_PT12_llPT13_lli
                                        ; -- End function
	.set _ZN12_GLOBAL__N_127rocblas_gemm_batched_kernelI19rocblas_complex_numIdELi16ELi16ELi64ELi64ELi4ELi64ELi4ELi4ELi64ELc78ELc84EKS2_S3_S2_EEvlllT_PT11_llS6_llS4_PT12_llPT13_lli.num_vgpr, 144
	.set _ZN12_GLOBAL__N_127rocblas_gemm_batched_kernelI19rocblas_complex_numIdELi16ELi16ELi64ELi64ELi4ELi64ELi4ELi4ELi64ELc78ELc84EKS2_S3_S2_EEvlllT_PT11_llS6_llS4_PT12_llPT13_lli.num_agpr, 0
	.set _ZN12_GLOBAL__N_127rocblas_gemm_batched_kernelI19rocblas_complex_numIdELi16ELi16ELi64ELi64ELi4ELi64ELi4ELi4ELi64ELc78ELc84EKS2_S3_S2_EEvlllT_PT11_llS6_llS4_PT12_llPT13_lli.numbered_sgpr, 52
	.set _ZN12_GLOBAL__N_127rocblas_gemm_batched_kernelI19rocblas_complex_numIdELi16ELi16ELi64ELi64ELi4ELi64ELi4ELi4ELi64ELc78ELc84EKS2_S3_S2_EEvlllT_PT11_llS6_llS4_PT12_llPT13_lli.num_named_barrier, 0
	.set _ZN12_GLOBAL__N_127rocblas_gemm_batched_kernelI19rocblas_complex_numIdELi16ELi16ELi64ELi64ELi4ELi64ELi4ELi4ELi64ELc78ELc84EKS2_S3_S2_EEvlllT_PT11_llS6_llS4_PT12_llPT13_lli.private_seg_size, 0
	.set _ZN12_GLOBAL__N_127rocblas_gemm_batched_kernelI19rocblas_complex_numIdELi16ELi16ELi64ELi64ELi4ELi64ELi4ELi4ELi64ELc78ELc84EKS2_S3_S2_EEvlllT_PT11_llS6_llS4_PT12_llPT13_lli.uses_vcc, 1
	.set _ZN12_GLOBAL__N_127rocblas_gemm_batched_kernelI19rocblas_complex_numIdELi16ELi16ELi64ELi64ELi4ELi64ELi4ELi4ELi64ELc78ELc84EKS2_S3_S2_EEvlllT_PT11_llS6_llS4_PT12_llPT13_lli.uses_flat_scratch, 0
	.set _ZN12_GLOBAL__N_127rocblas_gemm_batched_kernelI19rocblas_complex_numIdELi16ELi16ELi64ELi64ELi4ELi64ELi4ELi4ELi64ELc78ELc84EKS2_S3_S2_EEvlllT_PT11_llS6_llS4_PT12_llPT13_lli.has_dyn_sized_stack, 0
	.set _ZN12_GLOBAL__N_127rocblas_gemm_batched_kernelI19rocblas_complex_numIdELi16ELi16ELi64ELi64ELi4ELi64ELi4ELi4ELi64ELc78ELc84EKS2_S3_S2_EEvlllT_PT11_llS6_llS4_PT12_llPT13_lli.has_recursion, 0
	.set _ZN12_GLOBAL__N_127rocblas_gemm_batched_kernelI19rocblas_complex_numIdELi16ELi16ELi64ELi64ELi4ELi64ELi4ELi4ELi64ELc78ELc84EKS2_S3_S2_EEvlllT_PT11_llS6_llS4_PT12_llPT13_lli.has_indirect_call, 0
	.section	.AMDGPU.csdata,"",@progbits
; Kernel info:
; codeLenInByte = 5628
; TotalNumSgprs: 54
; NumVgprs: 144
; ScratchSize: 0
; MemoryBound: 0
; FloatMode: 240
; IeeeMode: 1
; LDSByteSize: 8192 bytes/workgroup (compile time only)
; SGPRBlocks: 0
; VGPRBlocks: 8
; NumSGPRsForWavesPerEU: 54
; NumVGPRsForWavesPerEU: 144
; NamedBarCnt: 0
; Occupancy: 7
; WaveLimiterHint : 1
; COMPUTE_PGM_RSRC2:SCRATCH_EN: 0
; COMPUTE_PGM_RSRC2:USER_SGPR: 2
; COMPUTE_PGM_RSRC2:TRAP_HANDLER: 0
; COMPUTE_PGM_RSRC2:TGID_X_EN: 1
; COMPUTE_PGM_RSRC2:TGID_Y_EN: 1
; COMPUTE_PGM_RSRC2:TGID_Z_EN: 1
; COMPUTE_PGM_RSRC2:TIDIG_COMP_CNT: 1
	.section	.text._ZN12_GLOBAL__N_127rocblas_gemm_batched_kernelI19rocblas_complex_numIdELi16ELi16ELi64ELi64ELi4ELi64ELi4ELi4ELi64ELc84ELc84EKS2_S3_S2_EEvlllT_PT11_llS6_llS4_PT12_llPT13_lli,"axG",@progbits,_ZN12_GLOBAL__N_127rocblas_gemm_batched_kernelI19rocblas_complex_numIdELi16ELi16ELi64ELi64ELi4ELi64ELi4ELi4ELi64ELc84ELc84EKS2_S3_S2_EEvlllT_PT11_llS6_llS4_PT12_llPT13_lli,comdat
	.globl	_ZN12_GLOBAL__N_127rocblas_gemm_batched_kernelI19rocblas_complex_numIdELi16ELi16ELi64ELi64ELi4ELi64ELi4ELi4ELi64ELc84ELc84EKS2_S3_S2_EEvlllT_PT11_llS6_llS4_PT12_llPT13_lli ; -- Begin function _ZN12_GLOBAL__N_127rocblas_gemm_batched_kernelI19rocblas_complex_numIdELi16ELi16ELi64ELi64ELi4ELi64ELi4ELi4ELi64ELc84ELc84EKS2_S3_S2_EEvlllT_PT11_llS6_llS4_PT12_llPT13_lli
	.p2align	8
	.type	_ZN12_GLOBAL__N_127rocblas_gemm_batched_kernelI19rocblas_complex_numIdELi16ELi16ELi64ELi64ELi4ELi64ELi4ELi4ELi64ELc84ELc84EKS2_S3_S2_EEvlllT_PT11_llS6_llS4_PT12_llPT13_lli,@function
_ZN12_GLOBAL__N_127rocblas_gemm_batched_kernelI19rocblas_complex_numIdELi16ELi16ELi64ELi64ELi4ELi64ELi4ELi4ELi64ELc84ELc84EKS2_S3_S2_EEvlllT_PT11_llS6_llS4_PT12_llPT13_lli: ; @_ZN12_GLOBAL__N_127rocblas_gemm_batched_kernelI19rocblas_complex_numIdELi16ELi16ELi64ELi64ELi4ELi64ELi4ELi4ELi64ELc84ELc84EKS2_S3_S2_EEvlllT_PT11_llS6_llS4_PT12_llPT13_lli
; %bb.0:
	s_load_b32 s24, s[0:1], 0x98
	s_bfe_u32 s2, ttmp6, 0x40014
	s_lshr_b32 s3, ttmp7, 16
	s_add_co_i32 s2, s2, 1
	s_bfe_u32 s4, ttmp6, 0x40008
	s_mul_i32 s2, s3, s2
	s_getreg_b32 s20, hwreg(HW_REG_IB_STS2, 6, 4)
	s_add_co_i32 s4, s4, s2
	s_cmp_eq_u32 s20, 0
	s_cselect_b32 s2, s3, s4
	s_mov_b32 s3, 0
	s_wait_kmcnt 0x0
	s_cmp_ge_i32 s2, s24
	s_cbranch_scc1 .LBB532_11
; %bb.1:
	v_bfe_u32 v2, v0, 10, 10
	v_and_b32_e32 v4, 0x3ff, v0
	s_bfe_u32 s21, ttmp6, 0x4000c
	s_bfe_u32 s23, ttmp6, 0x40010
	s_clause 0x1
	s_load_b512 s[4:19], s[0:1], 0x10
	s_load_b512 s[36:51], s[0:1], 0x50
	s_add_co_i32 s21, s21, 1
	s_and_b32 s25, ttmp7, 0xffff
	s_add_co_i32 s23, s23, 1
	s_and_b32 s22, ttmp6, 15
	s_mul_i32 s21, ttmp9, s21
	s_mul_i32 s23, s25, s23
	s_bfe_u32 s26, ttmp6, 0x40004
	v_lshl_add_u32 v16, v2, 4, v4
	s_add_co_i32 s22, s22, s21
	s_add_co_i32 s26, s26, s23
	s_cmp_eq_u32 s20, 0
	s_delay_alu instid0(VALU_DEP_1)
	v_dual_mov_b32 v3, 0 :: v_dual_bitop2_b32 v17, 63, v16 bitop3:0x40
	s_cselect_b32 s20, ttmp9, s22
	s_cselect_b32 s22, s25, s26
	s_ashr_i32 s21, s20, 31
	s_lshl_b32 s22, s22, 6
	s_lshl_b64 s[20:21], s[20:21], 6
	s_mov_b32 s23, s3
	v_dual_mov_b32 v9, s21 :: v_dual_bitop2_b32 v8, s20, v17 bitop3:0x54
	v_add_nc_u64_e32 v[6:7], s[22:23], v[2:3]
	v_dual_mov_b32 v13, v3 :: v_dual_lshrrev_b32 v12, 2, v16
	s_wait_kmcnt 0x0
	v_cmp_eq_f64_e64 s25, s[38:39], 0
	v_mul_u64_e32 v[8:9], s[12:13], v[8:9]
	v_cmp_eq_f64_e64 s26, s[40:41], 0
	v_mov_b32_e32 v5, v3
	v_mul_u64_e32 v[10:11], s[44:45], v[6:7]
	v_add_nc_u64_e32 v[14:15], s[22:23], v[12:13]
	v_and_b32_e32 v13, 3, v0
	v_mul_u64_e32 v[24:25], s[50:51], v[6:7]
	v_lshrrev_b32_e32 v7, 6, v16
	s_load_b64 s[12:13], s[0:1], 0x90
	v_lshl_add_u32 v99, v2, 6, 0x1000
	s_wait_xcnt 0x0
	v_cmp_gt_i64_e64 s0, s[4:5], 0
	v_mad_nc_u64_u32 v[0:1], s18, v13, v[14:15]
	v_dual_lshlrev_b32 v14, 4, v17 :: v_dual_lshlrev_b32 v2, 4, v7
	v_dual_lshlrev_b32 v6, 4, v13 :: v_dual_lshlrev_b32 v98, 4, v4
	v_add_nc_u64_e32 v[26:27], s[20:21], v[4:5]
	v_cndmask_b32_e64 v4, 0, 1, s0
	s_delay_alu instid0(VALU_DEP_4) | instskip(NEXT) | instid1(VALU_DEP_4)
	v_lshl_or_b32 v100, v7, 10, v14
	v_lshl_or_b32 v6, v12, 6, v6
	s_lshl_b64 s[20:21], s[50:51], 4
	s_lshl_b64 s[22:23], s[44:45], 4
	v_mad_u32 v1, s19, v13, v1
	v_cmp_ne_u32_e64 s0, 1, v4
	v_add_nc_u32_e32 v101, 0x1000, v6
	s_lshl_b64 s[20:21], s[20:21], 4
	v_lshl_add_u64 v[2:3], v[8:9], 4, v[2:3]
	v_lshl_add_u64 v[32:33], v[0:1], 4, s[16:17]
	s_and_b32 s1, s25, s26
	v_lshl_add_u64 v[28:29], v[10:11], 4, s[42:43]
	s_lshl_b64 s[16:17], s[18:19], 6
	v_add_nc_u64_e32 v[30:31], s[10:11], v[2:3]
	s_lshl_b64 s[10:11], s[14:15], 4
	s_lshl_b64 s[14:15], s[36:37], 4
	;; [unrolled: 1-line block ×3, first 2 shown]
	s_branch .LBB532_3
.LBB532_2:                              ;   in Loop: Header=BB532_3 Depth=1
	s_add_co_i32 s2, s2, 0x10000
	global_store_b64 v[2:3], v[0:1], off offset:8
	s_cmp_lt_i32 s2, s24
	s_cbranch_scc0 .LBB532_11
.LBB532_3:                              ; =>This Loop Header: Depth=1
                                        ;     Child Loop BB532_5 Depth 2
	s_and_b32 vcc_lo, exec_lo, s0
	s_cbranch_vccnz .LBB532_6
; %bb.4:                                ;   in Loop: Header=BB532_3 Depth=1
	s_wait_xcnt 0x7
	v_mad_nc_u64_u32 v[34:35], s10, s2, v[30:31]
	v_mad_nc_u64_u32 v[36:37], s14, s2, v[32:33]
	v_mov_b64_e32 v[84:85], 0
	v_mov_b64_e32 v[82:83], 0
	;; [unrolled: 1-line block ×9, first 2 shown]
	v_mad_u32 v35, s11, s2, v35
	v_mad_u32 v37, s15, s2, v37
	v_mov_b64_e32 v[44:45], 0
	v_mov_b64_e32 v[56:57], 0
	;; [unrolled: 1-line block ×23, first 2 shown]
	s_mov_b64 s[22:23], 0
.LBB532_5:                              ;   Parent Loop BB532_3 Depth=1
                                        ; =>  This Inner Loop Header: Depth=2
	global_load_b128 v[0:3], v[34:35], off
	s_add_nc_u64 s[22:23], s[22:23], 4
	s_wait_xcnt 0x0
	v_add_nc_u64_e32 v[34:35], 64, v[34:35]
	v_cmp_lt_i64_e64 s25, s[22:23], s[4:5]
	s_and_b32 vcc_lo, exec_lo, s25
	s_wait_loadcnt 0x0
	ds_store_2addr_b64 v100, v[0:1], v[2:3] offset1:1
	global_load_b128 v[0:3], v[36:37], off
	s_wait_xcnt 0x0
	v_add_nc_u64_e32 v[36:37], s[16:17], v[36:37]
	s_wait_loadcnt 0x0
	ds_store_2addr_b64 v101, v[0:1], v[2:3] offset1:1
	s_wait_dscnt 0x0
	s_barrier_signal -1
	s_barrier_wait -1
	ds_load_b128 v[86:89], v99
	ds_load_b128 v[90:93], v99 offset:16
	ds_load_b128 v[4:7], v99 offset:32
	ds_load_b128 v[0:3], v99 offset:48
	ds_load_b128 v[94:97], v98
	s_wait_dscnt 0x0
	v_mul_f64_e32 v[102:103], v[88:89], v[96:97]
	v_mul_f64_e32 v[104:105], v[86:87], v[96:97]
	s_delay_alu instid0(VALU_DEP_2) | instskip(NEXT) | instid1(VALU_DEP_2)
	v_fma_f64 v[102:103], v[86:87], v[94:95], -v[102:103]
	v_fmac_f64_e32 v[104:105], v[88:89], v[94:95]
	s_delay_alu instid0(VALU_DEP_2) | instskip(NEXT) | instid1(VALU_DEP_2)
	v_add_f64_e32 v[106:107], v[58:59], v[102:103]
	v_add_f64_e32 v[108:109], v[104:105], v[60:61]
	ds_load_b128 v[58:61], v98 offset:256
	s_wait_dscnt 0x0
	v_mul_f64_e32 v[102:103], v[88:89], v[60:61]
	v_mul_f64_e32 v[104:105], v[86:87], v[60:61]
	s_delay_alu instid0(VALU_DEP_2) | instskip(NEXT) | instid1(VALU_DEP_2)
	v_fma_f64 v[102:103], v[86:87], v[58:59], -v[102:103]
	v_fmac_f64_e32 v[104:105], v[88:89], v[58:59]
	s_delay_alu instid0(VALU_DEP_2) | instskip(NEXT) | instid1(VALU_DEP_2)
	v_add_f64_e32 v[42:43], v[42:43], v[102:103]
	v_add_f64_e32 v[110:111], v[104:105], v[46:47]
	ds_load_b128 v[102:105], v98 offset:512
	;; [unrolled: 10-line block ×3, first 2 shown]
	s_wait_dscnt 0x0
	v_mul_f64_e32 v[46:47], v[88:89], v[40:41]
	s_delay_alu instid0(VALU_DEP_1) | instskip(SKIP_1) | instid1(VALU_DEP_1)
	v_fma_f64 v[46:47], v[86:87], v[38:39], -v[46:47]
	v_mul_f64_e32 v[86:87], v[86:87], v[40:41]
	v_fmac_f64_e32 v[86:87], v[88:89], v[38:39]
	s_delay_alu instid0(VALU_DEP_3) | instskip(NEXT) | instid1(VALU_DEP_2)
	v_add_f64_e32 v[88:89], v[20:21], v[46:47]
	v_add_f64_e32 v[86:87], v[86:87], v[22:23]
	ds_load_b128 v[20:23], v99 offset:1024
	s_wait_dscnt 0x0
	v_mul_f64_e32 v[46:47], v[22:23], v[96:97]
	v_mul_f64_e32 v[116:117], v[20:21], v[96:97]
	s_delay_alu instid0(VALU_DEP_2) | instskip(NEXT) | instid1(VALU_DEP_2)
	v_fma_f64 v[46:47], v[20:21], v[94:95], -v[46:47]
	v_fmac_f64_e32 v[116:117], v[22:23], v[94:95]
	s_delay_alu instid0(VALU_DEP_2) | instskip(SKIP_1) | instid1(VALU_DEP_3)
	v_add_f64_e32 v[78:79], v[78:79], v[46:47]
	v_mul_f64_e32 v[46:47], v[22:23], v[60:61]
	v_add_f64_e32 v[80:81], v[116:117], v[80:81]
	v_mul_f64_e32 v[116:117], v[20:21], v[60:61]
	s_delay_alu instid0(VALU_DEP_3) | instskip(NEXT) | instid1(VALU_DEP_2)
	v_fma_f64 v[46:47], v[20:21], v[58:59], -v[46:47]
	v_fmac_f64_e32 v[116:117], v[22:23], v[58:59]
	s_delay_alu instid0(VALU_DEP_2) | instskip(SKIP_2) | instid1(VALU_DEP_4)
	v_add_f64_e32 v[118:119], v[70:71], v[46:47]
	v_mul_f64_e32 v[46:47], v[22:23], v[104:105]
	v_mul_f64_e32 v[70:71], v[20:21], v[104:105]
	v_add_f64_e32 v[116:117], v[116:117], v[74:75]
	s_delay_alu instid0(VALU_DEP_3) | instskip(NEXT) | instid1(VALU_DEP_3)
	v_fma_f64 v[46:47], v[20:21], v[102:103], -v[46:47]
	v_fmac_f64_e32 v[70:71], v[22:23], v[102:103]
	s_delay_alu instid0(VALU_DEP_2) | instskip(SKIP_1) | instid1(VALU_DEP_3)
	v_add_f64_e32 v[120:121], v[62:63], v[46:47]
	v_mul_f64_e32 v[46:47], v[22:23], v[40:41]
	v_add_f64_e32 v[122:123], v[70:71], v[66:67]
	s_delay_alu instid0(VALU_DEP_2) | instskip(SKIP_1) | instid1(VALU_DEP_2)
	v_fma_f64 v[46:47], v[20:21], v[38:39], -v[46:47]
	v_mul_f64_e32 v[20:21], v[20:21], v[40:41]
	v_add_f64_e32 v[124:125], v[50:51], v[46:47]
	s_delay_alu instid0(VALU_DEP_2) | instskip(NEXT) | instid1(VALU_DEP_1)
	v_fmac_f64_e32 v[20:21], v[22:23], v[38:39]
	v_add_f64_e32 v[126:127], v[20:21], v[54:55]
	ds_load_b128 v[20:23], v99 offset:2048
	s_wait_dscnt 0x0
	v_mul_f64_e32 v[46:47], v[22:23], v[96:97]
	v_mul_f64_e32 v[50:51], v[20:21], v[96:97]
	s_delay_alu instid0(VALU_DEP_2) | instskip(NEXT) | instid1(VALU_DEP_2)
	v_fma_f64 v[46:47], v[20:21], v[94:95], -v[46:47]
	v_fmac_f64_e32 v[50:51], v[22:23], v[94:95]
	s_delay_alu instid0(VALU_DEP_2) | instskip(SKIP_1) | instid1(VALU_DEP_3)
	v_add_f64_e32 v[128:129], v[72:73], v[46:47]
	v_mul_f64_e32 v[46:47], v[22:23], v[60:61]
	v_add_f64_e32 v[130:131], v[50:51], v[76:77]
	v_mul_f64_e32 v[50:51], v[20:21], v[60:61]
	s_delay_alu instid0(VALU_DEP_3) | instskip(NEXT) | instid1(VALU_DEP_2)
	v_fma_f64 v[46:47], v[20:21], v[58:59], -v[46:47]
	v_fmac_f64_e32 v[50:51], v[22:23], v[58:59]
	s_delay_alu instid0(VALU_DEP_2) | instskip(SKIP_1) | instid1(VALU_DEP_3)
	v_add_f64_e32 v[132:133], v[64:65], v[46:47]
	v_mul_f64_e32 v[46:47], v[22:23], v[104:105]
	v_add_f64_e32 v[134:135], v[50:51], v[68:69]
	v_mul_f64_e32 v[50:51], v[20:21], v[104:105]
	s_delay_alu instid0(VALU_DEP_3) | instskip(NEXT) | instid1(VALU_DEP_2)
	v_fma_f64 v[46:47], v[20:21], v[102:103], -v[46:47]
	v_fmac_f64_e32 v[50:51], v[22:23], v[102:103]
	s_delay_alu instid0(VALU_DEP_2) | instskip(SKIP_1) | instid1(VALU_DEP_3)
	v_add_f64_e32 v[136:137], v[52:53], v[46:47]
	v_mul_f64_e32 v[46:47], v[22:23], v[40:41]
	v_add_f64_e32 v[138:139], v[50:51], v[56:57]
	s_delay_alu instid0(VALU_DEP_2) | instskip(SKIP_1) | instid1(VALU_DEP_2)
	v_fma_f64 v[46:47], v[20:21], v[38:39], -v[46:47]
	v_mul_f64_e32 v[20:21], v[20:21], v[40:41]
	v_add_f64_e32 v[140:141], v[44:45], v[46:47]
	s_delay_alu instid0(VALU_DEP_2) | instskip(NEXT) | instid1(VALU_DEP_1)
	v_fmac_f64_e32 v[20:21], v[22:23], v[38:39]
	v_add_f64_e32 v[142:143], v[20:21], v[48:49]
	ds_load_b128 v[20:23], v99 offset:3072
	s_wait_dscnt 0x0
	v_mul_f64_e32 v[44:45], v[22:23], v[96:97]
	v_mul_f64_e32 v[46:47], v[20:21], v[96:97]
	s_delay_alu instid0(VALU_DEP_2) | instskip(NEXT) | instid1(VALU_DEP_2)
	v_fma_f64 v[44:45], v[20:21], v[94:95], -v[44:45]
	v_fmac_f64_e32 v[46:47], v[22:23], v[94:95]
	s_delay_alu instid0(VALU_DEP_2) | instskip(NEXT) | instid1(VALU_DEP_2)
	v_add_f64_e32 v[66:67], v[16:17], v[44:45]
	v_add_f64_e32 v[68:69], v[46:47], v[18:19]
	v_mul_f64_e32 v[16:17], v[22:23], v[60:61]
	v_mul_f64_e32 v[18:19], v[20:21], v[60:61]
	s_delay_alu instid0(VALU_DEP_2) | instskip(NEXT) | instid1(VALU_DEP_2)
	v_fma_f64 v[16:17], v[20:21], v[58:59], -v[16:17]
	v_fmac_f64_e32 v[18:19], v[22:23], v[58:59]
	s_delay_alu instid0(VALU_DEP_2) | instskip(NEXT) | instid1(VALU_DEP_2)
	v_add_f64_e32 v[62:63], v[12:13], v[16:17]
	v_add_f64_e32 v[64:65], v[18:19], v[14:15]
	v_mul_f64_e32 v[12:13], v[22:23], v[104:105]
	v_mul_f64_e32 v[14:15], v[20:21], v[104:105]
	ds_load_b128 v[16:19], v98 offset:1280
	v_fma_f64 v[12:13], v[20:21], v[102:103], -v[12:13]
	v_fmac_f64_e32 v[14:15], v[22:23], v[102:103]
	s_delay_alu instid0(VALU_DEP_2) | instskip(NEXT) | instid1(VALU_DEP_2)
	v_add_f64_e32 v[58:59], v[8:9], v[12:13]
	v_add_f64_e32 v[60:61], v[14:15], v[10:11]
	v_mul_f64_e32 v[8:9], v[22:23], v[40:41]
	v_mul_f64_e32 v[10:11], v[20:21], v[40:41]
	ds_load_b128 v[12:15], v98 offset:1536
	v_fma_f64 v[8:9], v[20:21], v[38:39], -v[8:9]
	v_fmac_f64_e32 v[10:11], v[22:23], v[38:39]
	ds_load_b128 v[20:23], v98 offset:1024
	v_add_f64_e32 v[54:55], v[82:83], v[8:9]
	v_add_f64_e32 v[56:57], v[10:11], v[84:85]
	s_wait_dscnt 0x0
	v_mul_f64_e32 v[8:9], v[92:93], v[22:23]
	v_mul_f64_e32 v[10:11], v[90:91], v[22:23]
	ds_load_b128 v[82:85], v99 offset:1040
	s_wait_dscnt 0x0
	v_mul_f64_e32 v[70:71], v[84:85], v[22:23]
	v_mul_f64_e32 v[72:73], v[82:83], v[22:23]
	;; [unrolled: 1-line block ×4, first 2 shown]
	v_fma_f64 v[8:9], v[90:91], v[20:21], -v[8:9]
	v_fmac_f64_e32 v[10:11], v[92:93], v[20:21]
	v_fma_f64 v[70:71], v[82:83], v[20:21], -v[70:71]
	v_fmac_f64_e32 v[72:73], v[84:85], v[20:21]
	;; [unrolled: 2-line block ×3, first 2 shown]
	v_add_f64_e32 v[50:51], v[106:107], v[8:9]
	v_add_f64_e32 v[52:53], v[10:11], v[108:109]
	v_mul_f64_e32 v[8:9], v[92:93], v[18:19]
	v_mul_f64_e32 v[10:11], v[90:91], v[18:19]
	v_add_f64_e32 v[70:71], v[78:79], v[70:71]
	v_add_f64_e32 v[72:73], v[72:73], v[80:81]
	v_mul_f64_e32 v[78:79], v[84:85], v[14:15]
	v_mul_f64_e32 v[80:81], v[82:83], v[14:15]
	v_add_f64_e32 v[74:75], v[118:119], v[74:75]
	v_add_f64_e32 v[76:77], v[76:77], v[116:117]
	v_fma_f64 v[8:9], v[90:91], v[16:17], -v[8:9]
	v_fmac_f64_e32 v[10:11], v[92:93], v[16:17]
	v_fma_f64 v[78:79], v[82:83], v[12:13], -v[78:79]
	v_fmac_f64_e32 v[80:81], v[84:85], v[12:13]
	s_delay_alu instid0(VALU_DEP_4) | instskip(NEXT) | instid1(VALU_DEP_4)
	v_add_f64_e32 v[46:47], v[42:43], v[8:9]
	v_add_f64_e32 v[48:49], v[10:11], v[110:111]
	v_mul_f64_e32 v[8:9], v[92:93], v[14:15]
	v_mul_f64_e32 v[10:11], v[90:91], v[14:15]
	v_add_f64_e32 v[78:79], v[120:121], v[78:79]
	v_add_f64_e32 v[80:81], v[80:81], v[122:123]
	s_delay_alu instid0(VALU_DEP_4) | instskip(NEXT) | instid1(VALU_DEP_4)
	v_fma_f64 v[8:9], v[90:91], v[12:13], -v[8:9]
	v_fmac_f64_e32 v[10:11], v[92:93], v[12:13]
	s_delay_alu instid0(VALU_DEP_2) | instskip(NEXT) | instid1(VALU_DEP_2)
	v_add_f64_e32 v[42:43], v[114:115], v[8:9]
	v_add_f64_e32 v[44:45], v[10:11], v[112:113]
	ds_load_b128 v[8:11], v98 offset:1792
	s_wait_dscnt 0x0
	v_mul_f64_e32 v[38:39], v[92:93], v[10:11]
	v_mul_f64_e32 v[40:41], v[90:91], v[10:11]
	s_delay_alu instid0(VALU_DEP_2) | instskip(NEXT) | instid1(VALU_DEP_2)
	v_fma_f64 v[38:39], v[90:91], v[8:9], -v[38:39]
	v_fmac_f64_e32 v[40:41], v[92:93], v[8:9]
	s_delay_alu instid0(VALU_DEP_2) | instskip(NEXT) | instid1(VALU_DEP_2)
	v_add_f64_e32 v[38:39], v[88:89], v[38:39]
	v_add_f64_e32 v[40:41], v[40:41], v[86:87]
	v_mul_f64_e32 v[86:87], v[84:85], v[10:11]
	v_mul_f64_e32 v[88:89], v[82:83], v[10:11]
	s_delay_alu instid0(VALU_DEP_2) | instskip(NEXT) | instid1(VALU_DEP_2)
	v_fma_f64 v[86:87], v[82:83], v[8:9], -v[86:87]
	v_fmac_f64_e32 v[88:89], v[84:85], v[8:9]
	s_delay_alu instid0(VALU_DEP_2) | instskip(NEXT) | instid1(VALU_DEP_2)
	v_add_f64_e32 v[82:83], v[124:125], v[86:87]
	v_add_f64_e32 v[84:85], v[88:89], v[126:127]
	ds_load_b128 v[86:89], v99 offset:2064
	s_wait_dscnt 0x0
	v_mul_f64_e32 v[90:91], v[88:89], v[22:23]
	v_mul_f64_e32 v[94:95], v[88:89], v[18:19]
	;; [unrolled: 1-line block ×7, first 2 shown]
	v_fma_f64 v[90:91], v[86:87], v[20:21], -v[90:91]
	v_fma_f64 v[94:95], v[86:87], v[16:17], -v[94:95]
	;; [unrolled: 1-line block ×4, first 2 shown]
	v_mul_f64_e32 v[86:87], v[86:87], v[10:11]
	v_fmac_f64_e32 v[92:93], v[88:89], v[20:21]
	v_fmac_f64_e32 v[96:97], v[88:89], v[16:17]
	v_fmac_f64_e32 v[104:105], v[88:89], v[12:13]
	v_add_f64_e32 v[90:91], v[128:129], v[90:91]
	v_add_f64_e32 v[94:95], v[132:133], v[94:95]
	;; [unrolled: 1-line block ×4, first 2 shown]
	v_fmac_f64_e32 v[86:87], v[88:89], v[8:9]
	v_add_f64_e32 v[92:93], v[92:93], v[130:131]
	v_add_f64_e32 v[96:97], v[96:97], v[134:135]
	;; [unrolled: 1-line block ×3, first 2 shown]
	s_delay_alu instid0(VALU_DEP_4) | instskip(SKIP_4) | instid1(VALU_DEP_2)
	v_add_f64_e32 v[108:109], v[86:87], v[142:143]
	ds_load_b128 v[86:89], v99 offset:3088
	s_wait_dscnt 0x0
	v_mul_f64_e32 v[110:111], v[88:89], v[22:23]
	v_mul_f64_e32 v[22:23], v[86:87], v[22:23]
	v_fma_f64 v[110:111], v[86:87], v[20:21], -v[110:111]
	s_delay_alu instid0(VALU_DEP_2) | instskip(SKIP_2) | instid1(VALU_DEP_4)
	v_fmac_f64_e32 v[22:23], v[88:89], v[20:21]
	v_mul_f64_e32 v[20:21], v[88:89], v[18:19]
	v_mul_f64_e32 v[18:19], v[86:87], v[18:19]
	v_add_f64_e32 v[66:67], v[66:67], v[110:111]
	s_delay_alu instid0(VALU_DEP_4) | instskip(NEXT) | instid1(VALU_DEP_4)
	v_add_f64_e32 v[68:69], v[22:23], v[68:69]
	v_fma_f64 v[20:21], v[86:87], v[16:17], -v[20:21]
	s_delay_alu instid0(VALU_DEP_4) | instskip(SKIP_2) | instid1(VALU_DEP_4)
	v_fmac_f64_e32 v[18:19], v[88:89], v[16:17]
	v_mul_f64_e32 v[16:17], v[88:89], v[14:15]
	v_mul_f64_e32 v[14:15], v[86:87], v[14:15]
	v_add_f64_e32 v[62:63], v[62:63], v[20:21]
	s_delay_alu instid0(VALU_DEP_4) | instskip(NEXT) | instid1(VALU_DEP_4)
	v_add_f64_e32 v[64:65], v[18:19], v[64:65]
	v_fma_f64 v[16:17], v[86:87], v[12:13], -v[16:17]
	s_delay_alu instid0(VALU_DEP_4) | instskip(SKIP_2) | instid1(VALU_DEP_4)
	v_fmac_f64_e32 v[14:15], v[88:89], v[12:13]
	v_mul_f64_e32 v[12:13], v[88:89], v[10:11]
	v_mul_f64_e32 v[10:11], v[86:87], v[10:11]
	v_add_f64_e32 v[58:59], v[58:59], v[16:17]
	s_delay_alu instid0(VALU_DEP_4) | instskip(NEXT) | instid1(VALU_DEP_4)
	v_add_f64_e32 v[60:61], v[14:15], v[60:61]
	v_fma_f64 v[12:13], v[86:87], v[8:9], -v[12:13]
	s_delay_alu instid0(VALU_DEP_4) | instskip(NEXT) | instid1(VALU_DEP_2)
	v_fmac_f64_e32 v[10:11], v[88:89], v[8:9]
	v_add_f64_e32 v[54:55], v[54:55], v[12:13]
	s_delay_alu instid0(VALU_DEP_2) | instskip(SKIP_4) | instid1(VALU_DEP_2)
	v_add_f64_e32 v[56:57], v[10:11], v[56:57]
	ds_load_b128 v[8:11], v98 offset:2048
	s_wait_dscnt 0x0
	v_mul_f64_e32 v[12:13], v[6:7], v[10:11]
	v_mul_f64_e32 v[14:15], v[4:5], v[10:11]
	v_fma_f64 v[12:13], v[4:5], v[8:9], -v[12:13]
	s_delay_alu instid0(VALU_DEP_2) | instskip(NEXT) | instid1(VALU_DEP_2)
	v_fmac_f64_e32 v[14:15], v[6:7], v[8:9]
	v_add_f64_e32 v[50:51], v[50:51], v[12:13]
	s_delay_alu instid0(VALU_DEP_2) | instskip(SKIP_4) | instid1(VALU_DEP_2)
	v_add_f64_e32 v[52:53], v[14:15], v[52:53]
	ds_load_b128 v[12:15], v98 offset:2304
	s_wait_dscnt 0x0
	v_mul_f64_e32 v[16:17], v[6:7], v[14:15]
	v_mul_f64_e32 v[18:19], v[4:5], v[14:15]
	v_fma_f64 v[16:17], v[4:5], v[12:13], -v[16:17]
	s_delay_alu instid0(VALU_DEP_2) | instskip(NEXT) | instid1(VALU_DEP_2)
	;; [unrolled: 10-line block ×3, first 2 shown]
	v_fmac_f64_e32 v[22:23], v[6:7], v[16:17]
	v_add_f64_e32 v[110:111], v[42:43], v[20:21]
	s_delay_alu instid0(VALU_DEP_2) | instskip(SKIP_3) | instid1(VALU_DEP_1)
	v_add_f64_e32 v[44:45], v[22:23], v[44:45]
	ds_load_b128 v[20:23], v98 offset:2816
	s_wait_dscnt 0x0
	v_mul_f64_e32 v[42:43], v[6:7], v[22:23]
	v_fma_f64 v[42:43], v[4:5], v[20:21], -v[42:43]
	v_mul_f64_e32 v[4:5], v[4:5], v[22:23]
	s_delay_alu instid0(VALU_DEP_2) | instskip(NEXT) | instid1(VALU_DEP_2)
	v_add_f64_e32 v[112:113], v[38:39], v[42:43]
	v_fmac_f64_e32 v[4:5], v[6:7], v[20:21]
	s_delay_alu instid0(VALU_DEP_1) | instskip(SKIP_4) | instid1(VALU_DEP_2)
	v_add_f64_e32 v[114:115], v[4:5], v[40:41]
	ds_load_b128 v[4:7], v99 offset:1056
	s_wait_dscnt 0x0
	v_mul_f64_e32 v[38:39], v[6:7], v[10:11]
	v_mul_f64_e32 v[40:41], v[4:5], v[10:11]
	v_fma_f64 v[38:39], v[4:5], v[8:9], -v[38:39]
	s_delay_alu instid0(VALU_DEP_2) | instskip(NEXT) | instid1(VALU_DEP_2)
	v_fmac_f64_e32 v[40:41], v[6:7], v[8:9]
	v_add_f64_e32 v[70:71], v[70:71], v[38:39]
	v_mul_f64_e32 v[38:39], v[6:7], v[14:15]
	s_delay_alu instid0(VALU_DEP_3) | instskip(SKIP_1) | instid1(VALU_DEP_3)
	v_add_f64_e32 v[72:73], v[40:41], v[72:73]
	v_mul_f64_e32 v[40:41], v[4:5], v[14:15]
	v_fma_f64 v[38:39], v[4:5], v[12:13], -v[38:39]
	s_delay_alu instid0(VALU_DEP_2) | instskip(NEXT) | instid1(VALU_DEP_2)
	v_fmac_f64_e32 v[40:41], v[6:7], v[12:13]
	v_add_f64_e32 v[74:75], v[74:75], v[38:39]
	v_mul_f64_e32 v[38:39], v[6:7], v[18:19]
	s_delay_alu instid0(VALU_DEP_3) | instskip(SKIP_1) | instid1(VALU_DEP_3)
	v_add_f64_e32 v[76:77], v[40:41], v[76:77]
	v_mul_f64_e32 v[40:41], v[4:5], v[18:19]
	v_fma_f64 v[38:39], v[4:5], v[16:17], -v[38:39]
	s_delay_alu instid0(VALU_DEP_2) | instskip(NEXT) | instid1(VALU_DEP_2)
	v_fmac_f64_e32 v[40:41], v[6:7], v[16:17]
	v_add_f64_e32 v[116:117], v[78:79], v[38:39]
	v_mul_f64_e32 v[38:39], v[6:7], v[22:23]
	s_delay_alu instid0(VALU_DEP_3) | instskip(NEXT) | instid1(VALU_DEP_2)
	v_add_f64_e32 v[118:119], v[40:41], v[80:81]
	v_fma_f64 v[38:39], v[4:5], v[20:21], -v[38:39]
	v_mul_f64_e32 v[4:5], v[4:5], v[22:23]
	s_delay_alu instid0(VALU_DEP_2) | instskip(NEXT) | instid1(VALU_DEP_2)
	v_add_f64_e32 v[120:121], v[82:83], v[38:39]
	v_fmac_f64_e32 v[4:5], v[6:7], v[20:21]
	s_delay_alu instid0(VALU_DEP_1) | instskip(SKIP_4) | instid1(VALU_DEP_2)
	v_add_f64_e32 v[122:123], v[4:5], v[84:85]
	ds_load_b128 v[4:7], v99 offset:2080
	s_wait_dscnt 0x0
	v_mul_f64_e32 v[38:39], v[6:7], v[10:11]
	v_mul_f64_e32 v[40:41], v[4:5], v[10:11]
	v_fma_f64 v[38:39], v[4:5], v[8:9], -v[38:39]
	s_delay_alu instid0(VALU_DEP_2) | instskip(NEXT) | instid1(VALU_DEP_2)
	v_fmac_f64_e32 v[40:41], v[6:7], v[8:9]
	v_add_f64_e32 v[124:125], v[90:91], v[38:39]
	v_mul_f64_e32 v[38:39], v[6:7], v[14:15]
	s_delay_alu instid0(VALU_DEP_3) | instskip(SKIP_1) | instid1(VALU_DEP_3)
	v_add_f64_e32 v[126:127], v[40:41], v[92:93]
	v_mul_f64_e32 v[40:41], v[4:5], v[14:15]
	v_fma_f64 v[38:39], v[4:5], v[12:13], -v[38:39]
	s_delay_alu instid0(VALU_DEP_2) | instskip(NEXT) | instid1(VALU_DEP_2)
	v_fmac_f64_e32 v[40:41], v[6:7], v[12:13]
	v_add_f64_e32 v[128:129], v[94:95], v[38:39]
	v_mul_f64_e32 v[38:39], v[6:7], v[18:19]
	s_delay_alu instid0(VALU_DEP_3) | instskip(SKIP_1) | instid1(VALU_DEP_3)
	v_add_f64_e32 v[130:131], v[40:41], v[96:97]
	v_mul_f64_e32 v[40:41], v[4:5], v[18:19]
	v_fma_f64 v[38:39], v[4:5], v[16:17], -v[38:39]
	s_delay_alu instid0(VALU_DEP_2) | instskip(NEXT) | instid1(VALU_DEP_2)
	v_fmac_f64_e32 v[40:41], v[6:7], v[16:17]
	v_add_f64_e32 v[102:103], v[102:103], v[38:39]
	v_mul_f64_e32 v[38:39], v[6:7], v[22:23]
	s_delay_alu instid0(VALU_DEP_3) | instskip(NEXT) | instid1(VALU_DEP_2)
	v_add_f64_e32 v[104:105], v[40:41], v[104:105]
	v_fma_f64 v[38:39], v[4:5], v[20:21], -v[38:39]
	v_mul_f64_e32 v[4:5], v[4:5], v[22:23]
	s_delay_alu instid0(VALU_DEP_2) | instskip(NEXT) | instid1(VALU_DEP_2)
	v_add_f64_e32 v[106:107], v[106:107], v[38:39]
	v_fmac_f64_e32 v[4:5], v[6:7], v[20:21]
	s_delay_alu instid0(VALU_DEP_1) | instskip(SKIP_4) | instid1(VALU_DEP_2)
	v_add_f64_e32 v[108:109], v[4:5], v[108:109]
	ds_load_b128 v[4:7], v99 offset:3104
	s_wait_dscnt 0x0
	v_mul_f64_e32 v[38:39], v[6:7], v[10:11]
	v_mul_f64_e32 v[10:11], v[4:5], v[10:11]
	v_fma_f64 v[38:39], v[4:5], v[8:9], -v[38:39]
	s_delay_alu instid0(VALU_DEP_2) | instskip(SKIP_1) | instid1(VALU_DEP_3)
	v_fmac_f64_e32 v[10:11], v[6:7], v[8:9]
	v_mul_f64_e32 v[8:9], v[6:7], v[14:15]
	v_add_f64_e32 v[94:95], v[66:67], v[38:39]
	s_delay_alu instid0(VALU_DEP_3) | instskip(NEXT) | instid1(VALU_DEP_3)
	v_add_f64_e32 v[96:97], v[10:11], v[68:69]
	v_fma_f64 v[8:9], v[4:5], v[12:13], -v[8:9]
	v_mul_f64_e32 v[10:11], v[4:5], v[14:15]
	s_delay_alu instid0(VALU_DEP_2) | instskip(SKIP_1) | instid1(VALU_DEP_3)
	v_add_f64_e32 v[90:91], v[62:63], v[8:9]
	v_mul_f64_e32 v[8:9], v[6:7], v[18:19]
	v_fmac_f64_e32 v[10:11], v[6:7], v[12:13]
	ds_load_b128 v[12:15], v98 offset:3328
	v_fma_f64 v[8:9], v[4:5], v[16:17], -v[8:9]
	v_add_f64_e32 v[92:93], v[10:11], v[64:65]
	v_mul_f64_e32 v[10:11], v[4:5], v[18:19]
	s_delay_alu instid0(VALU_DEP_3) | instskip(SKIP_1) | instid1(VALU_DEP_3)
	v_add_f64_e32 v[86:87], v[58:59], v[8:9]
	v_mul_f64_e32 v[8:9], v[6:7], v[22:23]
	v_fmac_f64_e32 v[10:11], v[6:7], v[16:17]
	ds_load_b128 v[16:19], v98 offset:3072
	v_fma_f64 v[8:9], v[4:5], v[20:21], -v[8:9]
	v_mul_f64_e32 v[4:5], v[4:5], v[22:23]
	v_add_f64_e32 v[88:89], v[10:11], v[60:61]
	s_delay_alu instid0(VALU_DEP_3) | instskip(NEXT) | instid1(VALU_DEP_3)
	v_add_f64_e32 v[82:83], v[54:55], v[8:9]
	v_fmac_f64_e32 v[4:5], v[6:7], v[20:21]
	s_wait_dscnt 0x0
	v_mul_f64_e32 v[6:7], v[0:1], v[18:19]
	ds_load_b128 v[8:11], v98 offset:3584
	v_add_f64_e32 v[84:85], v[4:5], v[56:57]
	v_mul_f64_e32 v[4:5], v[2:3], v[18:19]
	v_fmac_f64_e32 v[6:7], v[2:3], v[16:17]
	s_delay_alu instid0(VALU_DEP_2) | instskip(NEXT) | instid1(VALU_DEP_2)
	v_fma_f64 v[4:5], v[0:1], v[16:17], -v[4:5]
	v_add_f64_e32 v[60:61], v[6:7], v[52:53]
	v_mul_f64_e32 v[6:7], v[0:1], v[14:15]
	s_delay_alu instid0(VALU_DEP_3) | instskip(SKIP_1) | instid1(VALU_DEP_3)
	v_add_f64_e32 v[58:59], v[50:51], v[4:5]
	v_mul_f64_e32 v[4:5], v[2:3], v[14:15]
	v_fmac_f64_e32 v[6:7], v[2:3], v[12:13]
	s_delay_alu instid0(VALU_DEP_2) | instskip(NEXT) | instid1(VALU_DEP_1)
	v_fma_f64 v[4:5], v[0:1], v[12:13], -v[4:5]
	v_add_f64_e32 v[42:43], v[46:47], v[4:5]
	s_delay_alu instid0(VALU_DEP_3) | instskip(SKIP_3) | instid1(VALU_DEP_2)
	v_add_f64_e32 v[46:47], v[6:7], v[48:49]
	s_wait_dscnt 0x0
	v_mul_f64_e32 v[4:5], v[2:3], v[10:11]
	v_mul_f64_e32 v[6:7], v[0:1], v[10:11]
	v_fma_f64 v[4:5], v[0:1], v[8:9], -v[4:5]
	s_delay_alu instid0(VALU_DEP_2) | instskip(NEXT) | instid1(VALU_DEP_2)
	v_fmac_f64_e32 v[6:7], v[2:3], v[8:9]
	v_add_f64_e32 v[38:39], v[110:111], v[4:5]
	s_delay_alu instid0(VALU_DEP_2) | instskip(SKIP_3) | instid1(VALU_DEP_1)
	v_add_f64_e32 v[40:41], v[6:7], v[44:45]
	ds_load_b128 v[4:7], v98 offset:3840
	s_wait_dscnt 0x0
	v_mul_f64_e32 v[20:21], v[2:3], v[6:7]
	v_fma_f64 v[20:21], v[0:1], v[4:5], -v[20:21]
	v_mul_f64_e32 v[0:1], v[0:1], v[6:7]
	s_delay_alu instid0(VALU_DEP_2) | instskip(NEXT) | instid1(VALU_DEP_2)
	v_add_f64_e32 v[20:21], v[112:113], v[20:21]
	v_fmac_f64_e32 v[0:1], v[2:3], v[4:5]
	s_delay_alu instid0(VALU_DEP_1) | instskip(SKIP_4) | instid1(VALU_DEP_2)
	v_add_f64_e32 v[22:23], v[0:1], v[114:115]
	ds_load_b128 v[0:3], v99 offset:1072
	s_wait_dscnt 0x0
	v_mul_f64_e32 v[44:45], v[2:3], v[18:19]
	v_mul_f64_e32 v[48:49], v[0:1], v[18:19]
	v_fma_f64 v[44:45], v[0:1], v[16:17], -v[44:45]
	s_delay_alu instid0(VALU_DEP_2) | instskip(NEXT) | instid1(VALU_DEP_2)
	v_fmac_f64_e32 v[48:49], v[2:3], v[16:17]
	v_add_f64_e32 v[78:79], v[70:71], v[44:45]
	v_mul_f64_e32 v[44:45], v[2:3], v[14:15]
	s_delay_alu instid0(VALU_DEP_3) | instskip(SKIP_1) | instid1(VALU_DEP_3)
	v_add_f64_e32 v[80:81], v[48:49], v[72:73]
	v_mul_f64_e32 v[48:49], v[0:1], v[14:15]
	v_fma_f64 v[44:45], v[0:1], v[12:13], -v[44:45]
	s_delay_alu instid0(VALU_DEP_2) | instskip(NEXT) | instid1(VALU_DEP_2)
	v_fmac_f64_e32 v[48:49], v[2:3], v[12:13]
	v_add_f64_e32 v[70:71], v[74:75], v[44:45]
	v_mul_f64_e32 v[44:45], v[2:3], v[10:11]
	s_delay_alu instid0(VALU_DEP_3) | instskip(SKIP_1) | instid1(VALU_DEP_3)
	v_add_f64_e32 v[74:75], v[48:49], v[76:77]
	v_mul_f64_e32 v[48:49], v[0:1], v[10:11]
	v_fma_f64 v[44:45], v[0:1], v[8:9], -v[44:45]
	s_delay_alu instid0(VALU_DEP_2) | instskip(NEXT) | instid1(VALU_DEP_2)
	v_fmac_f64_e32 v[48:49], v[2:3], v[8:9]
	v_add_f64_e32 v[62:63], v[116:117], v[44:45]
	v_mul_f64_e32 v[44:45], v[2:3], v[6:7]
	s_delay_alu instid0(VALU_DEP_3) | instskip(NEXT) | instid1(VALU_DEP_2)
	v_add_f64_e32 v[66:67], v[48:49], v[118:119]
	v_fma_f64 v[44:45], v[0:1], v[4:5], -v[44:45]
	v_mul_f64_e32 v[0:1], v[0:1], v[6:7]
	s_delay_alu instid0(VALU_DEP_2) | instskip(NEXT) | instid1(VALU_DEP_2)
	v_add_f64_e32 v[50:51], v[120:121], v[44:45]
	v_fmac_f64_e32 v[0:1], v[2:3], v[4:5]
	s_delay_alu instid0(VALU_DEP_1) | instskip(SKIP_4) | instid1(VALU_DEP_2)
	v_add_f64_e32 v[54:55], v[0:1], v[122:123]
	ds_load_b128 v[0:3], v99 offset:2096
	s_wait_dscnt 0x0
	v_mul_f64_e32 v[44:45], v[2:3], v[18:19]
	v_mul_f64_e32 v[48:49], v[0:1], v[18:19]
	v_fma_f64 v[44:45], v[0:1], v[16:17], -v[44:45]
	s_delay_alu instid0(VALU_DEP_2) | instskip(NEXT) | instid1(VALU_DEP_2)
	v_fmac_f64_e32 v[48:49], v[2:3], v[16:17]
	v_add_f64_e32 v[72:73], v[124:125], v[44:45]
	v_mul_f64_e32 v[44:45], v[2:3], v[14:15]
	s_delay_alu instid0(VALU_DEP_3) | instskip(SKIP_1) | instid1(VALU_DEP_3)
	v_add_f64_e32 v[76:77], v[48:49], v[126:127]
	v_mul_f64_e32 v[48:49], v[0:1], v[14:15]
	v_fma_f64 v[44:45], v[0:1], v[12:13], -v[44:45]
	s_delay_alu instid0(VALU_DEP_2) | instskip(NEXT) | instid1(VALU_DEP_2)
	v_fmac_f64_e32 v[48:49], v[2:3], v[12:13]
	v_add_f64_e32 v[64:65], v[128:129], v[44:45]
	v_mul_f64_e32 v[44:45], v[2:3], v[10:11]
	s_delay_alu instid0(VALU_DEP_3) | instskip(SKIP_1) | instid1(VALU_DEP_3)
	v_add_f64_e32 v[68:69], v[48:49], v[130:131]
	v_mul_f64_e32 v[48:49], v[0:1], v[10:11]
	v_fma_f64 v[44:45], v[0:1], v[8:9], -v[44:45]
	s_delay_alu instid0(VALU_DEP_2) | instskip(NEXT) | instid1(VALU_DEP_2)
	v_fmac_f64_e32 v[48:49], v[2:3], v[8:9]
	v_add_f64_e32 v[52:53], v[102:103], v[44:45]
	v_mul_f64_e32 v[44:45], v[2:3], v[6:7]
	s_delay_alu instid0(VALU_DEP_3) | instskip(NEXT) | instid1(VALU_DEP_2)
	v_add_f64_e32 v[56:57], v[48:49], v[104:105]
	v_fma_f64 v[44:45], v[0:1], v[4:5], -v[44:45]
	v_mul_f64_e32 v[0:1], v[0:1], v[6:7]
	s_delay_alu instid0(VALU_DEP_2) | instskip(NEXT) | instid1(VALU_DEP_2)
	v_add_f64_e32 v[44:45], v[106:107], v[44:45]
	v_fmac_f64_e32 v[0:1], v[2:3], v[4:5]
	s_delay_alu instid0(VALU_DEP_1)
	v_add_f64_e32 v[48:49], v[0:1], v[108:109]
	ds_load_b128 v[0:3], v99 offset:3120
	s_wait_dscnt 0x0
	s_barrier_signal -1
	s_barrier_wait -1
	v_mul_f64_e32 v[102:103], v[2:3], v[18:19]
	v_mul_f64_e32 v[18:19], v[0:1], v[18:19]
	s_delay_alu instid0(VALU_DEP_2) | instskip(NEXT) | instid1(VALU_DEP_2)
	v_fma_f64 v[102:103], v[0:1], v[16:17], -v[102:103]
	v_fmac_f64_e32 v[18:19], v[2:3], v[16:17]
	s_delay_alu instid0(VALU_DEP_2) | instskip(SKIP_2) | instid1(VALU_DEP_4)
	v_add_f64_e32 v[16:17], v[94:95], v[102:103]
	v_mul_f64_e32 v[94:95], v[2:3], v[14:15]
	v_mul_f64_e32 v[14:15], v[0:1], v[14:15]
	v_add_f64_e32 v[18:19], v[18:19], v[96:97]
	s_delay_alu instid0(VALU_DEP_3) | instskip(NEXT) | instid1(VALU_DEP_3)
	v_fma_f64 v[94:95], v[0:1], v[12:13], -v[94:95]
	v_fmac_f64_e32 v[14:15], v[2:3], v[12:13]
	s_delay_alu instid0(VALU_DEP_2) | instskip(SKIP_2) | instid1(VALU_DEP_4)
	v_add_f64_e32 v[12:13], v[90:91], v[94:95]
	v_mul_f64_e32 v[90:91], v[2:3], v[10:11]
	v_mul_f64_e32 v[10:11], v[0:1], v[10:11]
	v_add_f64_e32 v[14:15], v[14:15], v[92:93]
	s_delay_alu instid0(VALU_DEP_3) | instskip(NEXT) | instid1(VALU_DEP_3)
	v_fma_f64 v[90:91], v[0:1], v[8:9], -v[90:91]
	v_fmac_f64_e32 v[10:11], v[2:3], v[8:9]
	s_delay_alu instid0(VALU_DEP_2) | instskip(SKIP_1) | instid1(VALU_DEP_3)
	v_add_f64_e32 v[8:9], v[86:87], v[90:91]
	v_mul_f64_e32 v[86:87], v[2:3], v[6:7]
	v_add_f64_e32 v[10:11], v[10:11], v[88:89]
	s_delay_alu instid0(VALU_DEP_2) | instskip(SKIP_1) | instid1(VALU_DEP_2)
	v_fma_f64 v[86:87], v[0:1], v[4:5], -v[86:87]
	v_mul_f64_e32 v[0:1], v[0:1], v[6:7]
	v_add_f64_e32 v[82:83], v[82:83], v[86:87]
	s_delay_alu instid0(VALU_DEP_2) | instskip(NEXT) | instid1(VALU_DEP_1)
	v_fmac_f64_e32 v[0:1], v[2:3], v[4:5]
	v_add_f64_e32 v[84:85], v[0:1], v[84:85]
	s_cbranch_vccnz .LBB532_5
	s_branch .LBB532_7
.LBB532_6:                              ;   in Loop: Header=BB532_3 Depth=1
	v_mov_b64_e32 v[58:59], 0
	v_mov_b64_e32 v[60:61], 0
	v_mov_b64_e32 v[42:43], 0
	v_mov_b64_e32 v[46:47], 0
	v_mov_b64_e32 v[38:39], 0
	v_mov_b64_e32 v[40:41], 0
	v_mov_b64_e32 v[20:21], 0
	v_mov_b64_e32 v[22:23], 0
	v_mov_b64_e32 v[78:79], 0
	v_mov_b64_e32 v[80:81], 0
	v_mov_b64_e32 v[70:71], 0
	v_mov_b64_e32 v[74:75], 0
	v_mov_b64_e32 v[62:63], 0
	v_mov_b64_e32 v[66:67], 0
	v_mov_b64_e32 v[50:51], 0
	v_mov_b64_e32 v[54:55], 0
	v_mov_b64_e32 v[72:73], 0
	v_mov_b64_e32 v[76:77], 0
	v_mov_b64_e32 v[64:65], 0
	v_mov_b64_e32 v[68:69], 0
	v_mov_b64_e32 v[52:53], 0
	v_mov_b64_e32 v[56:57], 0
	v_mov_b64_e32 v[44:45], 0
	v_mov_b64_e32 v[48:49], 0
	v_mov_b64_e32 v[16:17], 0
	v_mov_b64_e32 v[18:19], 0
	v_mov_b64_e32 v[12:13], 0
	v_mov_b64_e32 v[14:15], 0
	v_mov_b64_e32 v[8:9], 0
	v_mov_b64_e32 v[10:11], 0
	v_mov_b64_e32 v[82:83], 0
	v_mov_b64_e32 v[84:85], 0
.LBB532_7:                              ;   in Loop: Header=BB532_3 Depth=1
	s_wait_kmcnt 0x0
	s_mul_u64 s[22:23], s[12:13], s[2:3]
	s_and_not1_b32 vcc_lo, exec_lo, s1
	s_lshl_b64 s[22:23], s[22:23], 4
	s_mov_b32 s25, -1
	s_add_nc_u64 s[22:23], s[48:49], s[22:23]
                                        ; implicit-def: $vgpr0_vgpr1
                                        ; implicit-def: $vgpr2_vgpr3
	s_cbranch_vccz .LBB532_9
; %bb.8:                                ;   in Loop: Header=BB532_3 Depth=1
	s_and_not1_b32 vcc_lo, exec_lo, s25
	s_cbranch_vccnz .LBB532_2
	s_branch .LBB532_10
.LBB532_9:                              ;   in Loop: Header=BB532_3 Depth=1
	s_wait_xcnt 0x0
	v_mul_f64_e32 v[0:1], s[8:9], v[60:61]
	v_mul_f64_e32 v[2:3], s[6:7], v[60:61]
	v_mul_f64_e32 v[4:5], s[8:9], v[46:47]
	v_mul_f64_e32 v[6:7], s[6:7], v[46:47]
	v_mul_f64_e32 v[34:35], s[8:9], v[40:41]
	v_mul_f64_e32 v[36:37], s[6:7], v[40:41]
	v_mul_f64_e32 v[86:87], s[8:9], v[22:23]
	v_mul_f64_e32 v[88:89], s[6:7], v[22:23]
	v_lshlrev_b64_e32 v[130:131], 4, v[26:27]
	v_lshl_add_u64 v[122:123], v[24:25], 4, s[22:23]
	v_mul_f64_e32 v[92:93], s[8:9], v[80:81]
	v_mul_f64_e32 v[90:91], s[6:7], v[80:81]
	;; [unrolled: 1-line block ×5, first 2 shown]
	v_add_nc_u64_e32 v[112:113], v[122:123], v[130:131]
	v_mul_f64_e32 v[104:105], s[6:7], v[66:67]
	v_mul_f64_e32 v[106:107], s[8:9], v[54:55]
	;; [unrolled: 1-line block ×13, first 2 shown]
	v_fma_f64 v[0:1], s[6:7], v[58:59], -v[0:1]
	v_fmac_f64_e32 v[2:3], s[8:9], v[58:59]
	v_fma_f64 v[4:5], s[6:7], v[42:43], -v[4:5]
	v_fmac_f64_e32 v[6:7], s[8:9], v[42:43]
	;; [unrolled: 2-line block ×4, first 2 shown]
	v_fmac_f64_e32 v[90:91], s[8:9], v[78:79]
	v_fmac_f64_e32 v[94:95], s[8:9], v[70:71]
	v_fma_f64 v[102:103], s[6:7], v[62:63], -v[102:103]
	v_fmac_f64_e32 v[104:105], s[8:9], v[62:63]
	v_fma_f64 v[106:107], s[6:7], v[50:51], -v[106:107]
	v_fmac_f64_e32 v[108:109], s[8:9], v[50:51]
	v_fmac_f64_e32 v[128:129], s[8:9], v[8:9]
	;; [unrolled: 1-line block ×5, first 2 shown]
	global_store_b128 v[112:113], v[0:3], off
	s_wait_xcnt 0x0
	v_mul_f64_e32 v[0:1], s[6:7], v[84:85]
	global_store_b128 v[112:113], v[4:7], off offset:256
	s_wait_xcnt 0x0
	v_mul_f64_e32 v[4:5], s[6:7], v[76:77]
	global_store_b128 v[112:113], v[34:37], off offset:512
	;; [unrolled: 3-line block ×3, first 2 shown]
	s_wait_xcnt 0x0
	v_mul_f64_e32 v[112:113], s[6:7], v[56:57]
	v_mul_f64_e32 v[6:7], s[8:9], v[10:11]
	v_mul_f64_e32 v[86:87], s[8:9], v[84:85]
	v_fma_f64 v[88:89], s[6:7], v[78:79], -v[92:93]
	v_fma_f64 v[92:93], s[6:7], v[70:71], -v[96:97]
	;; [unrolled: 1-line block ×3, first 2 shown]
	v_add_nc_u64_e32 v[96:97], s[20:21], v[122:123]
	v_fma_f64 v[34:35], s[6:7], v[64:65], -v[114:115]
	v_fma_f64 v[110:111], s[6:7], v[52:53], -v[118:119]
	;; [unrolled: 1-line block ×5, first 2 shown]
	v_fmac_f64_e32 v[0:1], s[8:9], v[82:83]
	v_fmac_f64_e32 v[4:5], s[8:9], v[72:73]
	;; [unrolled: 1-line block ×4, first 2 shown]
	v_fma_f64 v[126:127], s[6:7], v[8:9], -v[6:7]
	v_fma_f64 v[6:7], s[6:7], v[82:83], -v[86:87]
	v_add_nc_u64_e32 v[86:87], s[20:21], v[96:97]
	v_add_nc_u64_e32 v[96:97], v[96:97], v[130:131]
	s_delay_alu instid0(VALU_DEP_2)
	v_add_nc_u64_e32 v[132:133], s[20:21], v[86:87]
	v_add_nc_u64_e32 v[86:87], v[86:87], v[130:131]
	s_clause 0x5
	global_store_b128 v[96:97], v[88:91], off
	global_store_b128 v[96:97], v[92:95], off offset:256
	global_store_b128 v[96:97], v[102:105], off offset:512
	;; [unrolled: 1-line block ×3, first 2 shown]
	global_store_b128 v[86:87], v[2:5], off
	global_store_b128 v[86:87], v[34:37], off offset:256
	v_add_nc_u64_e32 v[130:131], v[132:133], v[130:131]
	s_clause 0x3
	global_store_b128 v[86:87], v[110:113], off offset:512
	global_store_b128 v[86:87], v[114:117], off offset:768
	global_store_b128 v[130:131], v[118:121], off
	global_store_b128 v[130:131], v[122:125], off offset:256
	s_wait_xcnt 0x5
	v_add_nc_u64_e32 v[2:3], 0x300, v[130:131]
	s_clause 0x1
	global_store_b128 v[130:131], v[126:129], off offset:512
	global_store_b64 v[130:131], v[6:7], off offset:768
	s_cbranch_execnz .LBB532_2
.LBB532_10:                             ;   in Loop: Header=BB532_3 Depth=1
	s_mul_u64 s[26:27], s[46:47], s[2:3]
	s_wait_xcnt 0x1
	v_lshlrev_b64_e32 v[4:5], 4, v[26:27]
	s_wait_xcnt 0x0
	v_lshl_add_u64 v[6:7], s[26:27], 4, v[28:29]
	v_mul_f64_e32 v[36:37], s[8:9], v[60:61]
	v_mul_f64_e32 v[60:61], s[6:7], v[60:61]
	s_delay_alu instid0(VALU_DEP_3)
	v_add_nc_u64_e32 v[34:35], v[6:7], v[4:5]
	v_add_nc_u64_e32 v[6:7], s[18:19], v[6:7]
	global_load_b128 v[0:3], v[34:35], off
	v_fma_f64 v[36:37], s[6:7], v[58:59], -v[36:37]
	v_fmac_f64_e32 v[60:61], s[8:9], v[58:59]
	s_wait_loadcnt 0x0
	v_mul_f64_e32 v[86:87], s[40:41], v[2:3]
	v_mul_f64_e32 v[2:3], s[38:39], v[2:3]
	s_delay_alu instid0(VALU_DEP_2) | instskip(NEXT) | instid1(VALU_DEP_2)
	v_fma_f64 v[58:59], s[38:39], v[0:1], -v[86:87]
	v_fmac_f64_e32 v[2:3], s[40:41], v[0:1]
	s_delay_alu instid0(VALU_DEP_2) | instskip(NEXT) | instid1(VALU_DEP_2)
	v_add_f64_e32 v[0:1], v[36:37], v[58:59]
	v_add_f64_e32 v[2:3], v[60:61], v[2:3]
	v_lshl_add_u64 v[36:37], v[24:25], 4, s[22:23]
	v_mul_f64_e32 v[60:61], s[8:9], v[46:47]
	v_mul_f64_e32 v[46:47], s[6:7], v[46:47]
	s_delay_alu instid0(VALU_DEP_3)
	v_add_nc_u64_e32 v[58:59], v[36:37], v[4:5]
	global_store_b128 v[58:59], v[0:3], off
	global_load_b128 v[0:3], v[34:35], off offset:256
	v_fma_f64 v[60:61], s[6:7], v[42:43], -v[60:61]
	v_fmac_f64_e32 v[46:47], s[8:9], v[42:43]
	s_wait_loadcnt 0x0
	v_mul_f64_e32 v[86:87], s[40:41], v[2:3]
	v_mul_f64_e32 v[2:3], s[38:39], v[2:3]
	s_delay_alu instid0(VALU_DEP_2) | instskip(NEXT) | instid1(VALU_DEP_2)
	v_fma_f64 v[42:43], s[38:39], v[0:1], -v[86:87]
	v_fmac_f64_e32 v[2:3], s[40:41], v[0:1]
	s_delay_alu instid0(VALU_DEP_2) | instskip(NEXT) | instid1(VALU_DEP_2)
	v_add_f64_e32 v[0:1], v[60:61], v[42:43]
	v_add_f64_e32 v[2:3], v[46:47], v[2:3]
	v_mul_f64_e32 v[42:43], s[8:9], v[40:41]
	v_mul_f64_e32 v[40:41], s[6:7], v[40:41]
	global_store_b128 v[58:59], v[0:3], off offset:256
	global_load_b128 v[0:3], v[34:35], off offset:512
	v_fma_f64 v[42:43], s[6:7], v[38:39], -v[42:43]
	v_fmac_f64_e32 v[40:41], s[8:9], v[38:39]
	s_wait_loadcnt 0x0
	v_mul_f64_e32 v[46:47], s[40:41], v[2:3]
	v_mul_f64_e32 v[2:3], s[38:39], v[2:3]
	s_delay_alu instid0(VALU_DEP_2) | instskip(NEXT) | instid1(VALU_DEP_2)
	v_fma_f64 v[38:39], s[38:39], v[0:1], -v[46:47]
	v_fmac_f64_e32 v[2:3], s[40:41], v[0:1]
	s_delay_alu instid0(VALU_DEP_2) | instskip(NEXT) | instid1(VALU_DEP_2)
	v_add_f64_e32 v[0:1], v[42:43], v[38:39]
	v_add_f64_e32 v[2:3], v[40:41], v[2:3]
	global_store_b128 v[58:59], v[0:3], off offset:512
	global_load_b128 v[0:3], v[34:35], off offset:768
	s_wait_xcnt 0x0
	v_mul_f64_e32 v[34:35], s[8:9], v[22:23]
	v_mul_f64_e32 v[22:23], s[6:7], v[22:23]
	s_delay_alu instid0(VALU_DEP_2) | instskip(NEXT) | instid1(VALU_DEP_2)
	v_fma_f64 v[34:35], s[6:7], v[20:21], -v[34:35]
	v_fmac_f64_e32 v[22:23], s[8:9], v[20:21]
	s_wait_loadcnt 0x0
	v_mul_f64_e32 v[38:39], s[40:41], v[2:3]
	v_mul_f64_e32 v[2:3], s[38:39], v[2:3]
	s_delay_alu instid0(VALU_DEP_2) | instskip(NEXT) | instid1(VALU_DEP_2)
	v_fma_f64 v[20:21], s[38:39], v[0:1], -v[38:39]
	v_fmac_f64_e32 v[2:3], s[40:41], v[0:1]
	s_delay_alu instid0(VALU_DEP_2) | instskip(NEXT) | instid1(VALU_DEP_2)
	v_add_f64_e32 v[0:1], v[34:35], v[20:21]
	v_add_f64_e32 v[2:3], v[22:23], v[2:3]
	v_add_nc_u64_e32 v[20:21], v[6:7], v[4:5]
	v_mul_f64_e32 v[22:23], s[8:9], v[80:81]
	v_mul_f64_e32 v[34:35], s[6:7], v[80:81]
	v_add_nc_u64_e32 v[6:7], s[18:19], v[6:7]
	global_store_b128 v[58:59], v[0:3], off offset:768
	global_load_b128 v[0:3], v[20:21], off
	v_fma_f64 v[22:23], s[6:7], v[78:79], -v[22:23]
	v_fmac_f64_e32 v[34:35], s[8:9], v[78:79]
	s_wait_loadcnt 0x0
	v_mul_f64_e32 v[38:39], s[40:41], v[2:3]
	v_mul_f64_e32 v[2:3], s[38:39], v[2:3]
	s_delay_alu instid0(VALU_DEP_2) | instskip(NEXT) | instid1(VALU_DEP_2)
	v_fma_f64 v[38:39], s[38:39], v[0:1], -v[38:39]
	v_fmac_f64_e32 v[2:3], s[40:41], v[0:1]
	s_delay_alu instid0(VALU_DEP_2) | instskip(NEXT) | instid1(VALU_DEP_2)
	v_add_f64_e32 v[0:1], v[22:23], v[38:39]
	v_add_f64_e32 v[2:3], v[34:35], v[2:3]
	v_add_nc_u64_e32 v[22:23], s[20:21], v[36:37]
	v_mul_f64_e32 v[36:37], s[8:9], v[74:75]
	v_mul_f64_e32 v[38:39], s[6:7], v[74:75]
	s_delay_alu instid0(VALU_DEP_3)
	v_add_nc_u64_e32 v[34:35], v[22:23], v[4:5]
	v_add_nc_u64_e32 v[22:23], s[20:21], v[22:23]
	global_store_b128 v[34:35], v[0:3], off
	global_load_b128 v[0:3], v[20:21], off offset:256
	v_fma_f64 v[36:37], s[6:7], v[70:71], -v[36:37]
	v_fmac_f64_e32 v[38:39], s[8:9], v[70:71]
	s_wait_loadcnt 0x0
	v_mul_f64_e32 v[40:41], s[40:41], v[2:3]
	v_mul_f64_e32 v[2:3], s[38:39], v[2:3]
	s_delay_alu instid0(VALU_DEP_2) | instskip(NEXT) | instid1(VALU_DEP_2)
	v_fma_f64 v[40:41], s[38:39], v[0:1], -v[40:41]
	v_fmac_f64_e32 v[2:3], s[40:41], v[0:1]
	s_delay_alu instid0(VALU_DEP_2) | instskip(NEXT) | instid1(VALU_DEP_2)
	v_add_f64_e32 v[0:1], v[36:37], v[40:41]
	v_add_f64_e32 v[2:3], v[38:39], v[2:3]
	v_mul_f64_e32 v[36:37], s[8:9], v[66:67]
	v_mul_f64_e32 v[38:39], s[6:7], v[66:67]
	global_store_b128 v[34:35], v[0:3], off offset:256
	global_load_b128 v[0:3], v[20:21], off offset:512
	v_fma_f64 v[36:37], s[6:7], v[62:63], -v[36:37]
	v_fmac_f64_e32 v[38:39], s[8:9], v[62:63]
	s_wait_loadcnt 0x0
	v_mul_f64_e32 v[40:41], s[40:41], v[2:3]
	v_mul_f64_e32 v[2:3], s[38:39], v[2:3]
	s_delay_alu instid0(VALU_DEP_2) | instskip(NEXT) | instid1(VALU_DEP_2)
	v_fma_f64 v[40:41], s[38:39], v[0:1], -v[40:41]
	v_fmac_f64_e32 v[2:3], s[40:41], v[0:1]
	s_delay_alu instid0(VALU_DEP_2) | instskip(NEXT) | instid1(VALU_DEP_2)
	v_add_f64_e32 v[0:1], v[36:37], v[40:41]
	v_add_f64_e32 v[2:3], v[38:39], v[2:3]
	v_mul_f64_e32 v[36:37], s[6:7], v[54:55]
	global_store_b128 v[34:35], v[0:3], off offset:512
	global_load_b128 v[0:3], v[20:21], off offset:768
	s_wait_xcnt 0x0
	v_mul_f64_e32 v[20:21], s[8:9], v[54:55]
	v_fmac_f64_e32 v[36:37], s[8:9], v[50:51]
	s_delay_alu instid0(VALU_DEP_2) | instskip(SKIP_3) | instid1(VALU_DEP_2)
	v_fma_f64 v[20:21], s[6:7], v[50:51], -v[20:21]
	s_wait_loadcnt 0x0
	v_mul_f64_e32 v[38:39], s[40:41], v[2:3]
	v_mul_f64_e32 v[2:3], s[38:39], v[2:3]
	v_fma_f64 v[38:39], s[38:39], v[0:1], -v[38:39]
	s_delay_alu instid0(VALU_DEP_2) | instskip(NEXT) | instid1(VALU_DEP_2)
	v_fmac_f64_e32 v[2:3], s[40:41], v[0:1]
	v_add_f64_e32 v[0:1], v[20:21], v[38:39]
	s_delay_alu instid0(VALU_DEP_2) | instskip(SKIP_3) | instid1(VALU_DEP_1)
	v_add_f64_e32 v[2:3], v[36:37], v[2:3]
	v_add_nc_u64_e32 v[20:21], v[6:7], v[4:5]
	v_mul_f64_e32 v[36:37], s[6:7], v[76:77]
	v_add_nc_u64_e32 v[6:7], s[18:19], v[6:7]
	v_add_nc_u64_e32 v[6:7], v[6:7], v[4:5]
	global_store_b128 v[34:35], v[0:3], off offset:768
	global_load_b128 v[0:3], v[20:21], off
	v_mul_f64_e32 v[34:35], s[8:9], v[76:77]
	v_fmac_f64_e32 v[36:37], s[8:9], v[72:73]
	s_delay_alu instid0(VALU_DEP_2) | instskip(SKIP_3) | instid1(VALU_DEP_2)
	v_fma_f64 v[34:35], s[6:7], v[72:73], -v[34:35]
	s_wait_loadcnt 0x0
	v_mul_f64_e32 v[38:39], s[40:41], v[2:3]
	v_mul_f64_e32 v[2:3], s[38:39], v[2:3]
	v_fma_f64 v[38:39], s[38:39], v[0:1], -v[38:39]
	s_delay_alu instid0(VALU_DEP_2) | instskip(NEXT) | instid1(VALU_DEP_2)
	v_fmac_f64_e32 v[2:3], s[40:41], v[0:1]
	v_add_f64_e32 v[0:1], v[34:35], v[38:39]
	s_delay_alu instid0(VALU_DEP_2)
	v_add_f64_e32 v[2:3], v[36:37], v[2:3]
	v_add_nc_u64_e32 v[34:35], v[22:23], v[4:5]
	v_mul_f64_e32 v[36:37], s[8:9], v[68:69]
	v_mul_f64_e32 v[38:39], s[6:7], v[68:69]
	global_store_b128 v[34:35], v[0:3], off
	global_load_b128 v[0:3], v[20:21], off offset:256
	v_fma_f64 v[36:37], s[6:7], v[64:65], -v[36:37]
	v_fmac_f64_e32 v[38:39], s[8:9], v[64:65]
	s_wait_loadcnt 0x0
	v_mul_f64_e32 v[40:41], s[40:41], v[2:3]
	v_mul_f64_e32 v[2:3], s[38:39], v[2:3]
	s_delay_alu instid0(VALU_DEP_2) | instskip(NEXT) | instid1(VALU_DEP_2)
	v_fma_f64 v[40:41], s[38:39], v[0:1], -v[40:41]
	v_fmac_f64_e32 v[2:3], s[40:41], v[0:1]
	s_delay_alu instid0(VALU_DEP_2) | instskip(NEXT) | instid1(VALU_DEP_2)
	v_add_f64_e32 v[0:1], v[36:37], v[40:41]
	v_add_f64_e32 v[2:3], v[38:39], v[2:3]
	v_mul_f64_e32 v[36:37], s[8:9], v[56:57]
	v_mul_f64_e32 v[38:39], s[6:7], v[56:57]
	global_store_b128 v[34:35], v[0:3], off offset:256
	global_load_b128 v[0:3], v[20:21], off offset:512
	v_fma_f64 v[36:37], s[6:7], v[52:53], -v[36:37]
	v_fmac_f64_e32 v[38:39], s[8:9], v[52:53]
	s_wait_loadcnt 0x0
	v_mul_f64_e32 v[40:41], s[40:41], v[2:3]
	v_mul_f64_e32 v[2:3], s[38:39], v[2:3]
	s_delay_alu instid0(VALU_DEP_2) | instskip(NEXT) | instid1(VALU_DEP_2)
	v_fma_f64 v[40:41], s[38:39], v[0:1], -v[40:41]
	v_fmac_f64_e32 v[2:3], s[40:41], v[0:1]
	s_delay_alu instid0(VALU_DEP_2) | instskip(NEXT) | instid1(VALU_DEP_2)
	v_add_f64_e32 v[0:1], v[36:37], v[40:41]
	v_add_f64_e32 v[2:3], v[38:39], v[2:3]
	v_mul_f64_e32 v[36:37], s[6:7], v[48:49]
	global_store_b128 v[34:35], v[0:3], off offset:512
	global_load_b128 v[0:3], v[20:21], off offset:768
	s_wait_xcnt 0x0
	v_mul_f64_e32 v[20:21], s[8:9], v[48:49]
	v_fmac_f64_e32 v[36:37], s[8:9], v[44:45]
	s_delay_alu instid0(VALU_DEP_2) | instskip(SKIP_3) | instid1(VALU_DEP_2)
	v_fma_f64 v[20:21], s[6:7], v[44:45], -v[20:21]
	s_wait_loadcnt 0x0
	v_mul_f64_e32 v[38:39], s[40:41], v[2:3]
	v_mul_f64_e32 v[2:3], s[38:39], v[2:3]
	v_fma_f64 v[38:39], s[38:39], v[0:1], -v[38:39]
	s_delay_alu instid0(VALU_DEP_2) | instskip(NEXT) | instid1(VALU_DEP_2)
	v_fmac_f64_e32 v[2:3], s[40:41], v[0:1]
	v_add_f64_e32 v[0:1], v[20:21], v[38:39]
	s_delay_alu instid0(VALU_DEP_2)
	v_add_f64_e32 v[2:3], v[36:37], v[2:3]
	v_mul_f64_e32 v[20:21], s[8:9], v[18:19]
	v_mul_f64_e32 v[18:19], s[6:7], v[18:19]
	global_store_b128 v[34:35], v[0:3], off offset:768
	global_load_b128 v[0:3], v[6:7], off
	v_fma_f64 v[20:21], s[6:7], v[16:17], -v[20:21]
	v_fmac_f64_e32 v[18:19], s[8:9], v[16:17]
	s_wait_loadcnt 0x0
	v_mul_f64_e32 v[34:35], s[40:41], v[2:3]
	v_mul_f64_e32 v[2:3], s[38:39], v[2:3]
	s_delay_alu instid0(VALU_DEP_2) | instskip(NEXT) | instid1(VALU_DEP_2)
	v_fma_f64 v[16:17], s[38:39], v[0:1], -v[34:35]
	v_fmac_f64_e32 v[2:3], s[40:41], v[0:1]
	s_delay_alu instid0(VALU_DEP_2) | instskip(NEXT) | instid1(VALU_DEP_2)
	v_add_f64_e32 v[0:1], v[20:21], v[16:17]
	v_add_f64_e32 v[2:3], v[18:19], v[2:3]
	v_add_nc_u64_e32 v[16:17], s[20:21], v[22:23]
	s_delay_alu instid0(VALU_DEP_1)
	v_add_nc_u64_e32 v[4:5], v[16:17], v[4:5]
	v_mul_f64_e32 v[16:17], s[8:9], v[14:15]
	v_mul_f64_e32 v[14:15], s[6:7], v[14:15]
	global_store_b128 v[4:5], v[0:3], off
	global_load_b128 v[0:3], v[6:7], off offset:256
	v_fma_f64 v[16:17], s[6:7], v[12:13], -v[16:17]
	v_fmac_f64_e32 v[14:15], s[8:9], v[12:13]
	s_wait_loadcnt 0x0
	v_mul_f64_e32 v[18:19], s[40:41], v[2:3]
	v_mul_f64_e32 v[2:3], s[38:39], v[2:3]
	s_delay_alu instid0(VALU_DEP_2) | instskip(NEXT) | instid1(VALU_DEP_2)
	v_fma_f64 v[12:13], s[38:39], v[0:1], -v[18:19]
	v_fmac_f64_e32 v[2:3], s[40:41], v[0:1]
	s_delay_alu instid0(VALU_DEP_2) | instskip(NEXT) | instid1(VALU_DEP_2)
	v_add_f64_e32 v[0:1], v[16:17], v[12:13]
	v_add_f64_e32 v[2:3], v[14:15], v[2:3]
	v_mul_f64_e32 v[12:13], s[8:9], v[10:11]
	v_mul_f64_e32 v[10:11], s[6:7], v[10:11]
	global_store_b128 v[4:5], v[0:3], off offset:256
	global_load_b128 v[0:3], v[6:7], off offset:512
	v_fma_f64 v[12:13], s[6:7], v[8:9], -v[12:13]
	v_fmac_f64_e32 v[10:11], s[8:9], v[8:9]
	s_wait_loadcnt 0x0
	v_mul_f64_e32 v[14:15], s[40:41], v[2:3]
	v_mul_f64_e32 v[2:3], s[38:39], v[2:3]
	s_delay_alu instid0(VALU_DEP_2) | instskip(NEXT) | instid1(VALU_DEP_2)
	v_fma_f64 v[8:9], s[38:39], v[0:1], -v[14:15]
	v_fmac_f64_e32 v[2:3], s[40:41], v[0:1]
	s_delay_alu instid0(VALU_DEP_2) | instskip(NEXT) | instid1(VALU_DEP_2)
	v_add_f64_e32 v[0:1], v[12:13], v[8:9]
	v_add_f64_e32 v[2:3], v[10:11], v[2:3]
	v_mul_f64_e32 v[8:9], s[6:7], v[84:85]
	global_store_b128 v[4:5], v[0:3], off offset:512
	global_load_b128 v[0:3], v[6:7], off offset:768
	s_wait_xcnt 0x0
	v_mul_f64_e32 v[6:7], s[8:9], v[84:85]
	v_fmac_f64_e32 v[8:9], s[8:9], v[82:83]
	s_delay_alu instid0(VALU_DEP_2) | instskip(SKIP_3) | instid1(VALU_DEP_2)
	v_fma_f64 v[6:7], s[6:7], v[82:83], -v[6:7]
	s_wait_loadcnt 0x0
	v_mul_f64_e32 v[10:11], s[40:41], v[2:3]
	v_mul_f64_e32 v[2:3], s[38:39], v[2:3]
	v_fma_f64 v[10:11], s[38:39], v[0:1], -v[10:11]
	s_delay_alu instid0(VALU_DEP_2) | instskip(NEXT) | instid1(VALU_DEP_2)
	v_fmac_f64_e32 v[2:3], s[40:41], v[0:1]
	v_add_f64_e32 v[6:7], v[6:7], v[10:11]
	s_delay_alu instid0(VALU_DEP_2)
	v_add_f64_e32 v[0:1], v[8:9], v[2:3]
	v_add_nc_u64_e32 v[2:3], 0x300, v[4:5]
	global_store_b64 v[4:5], v[6:7], off offset:768
	s_branch .LBB532_2
.LBB532_11:
	s_sendmsg sendmsg(MSG_DEALLOC_VGPRS)
	s_endpgm
	.section	.rodata,"a",@progbits
	.p2align	6, 0x0
	.amdhsa_kernel _ZN12_GLOBAL__N_127rocblas_gemm_batched_kernelI19rocblas_complex_numIdELi16ELi16ELi64ELi64ELi4ELi64ELi4ELi4ELi64ELc84ELc84EKS2_S3_S2_EEvlllT_PT11_llS6_llS4_PT12_llPT13_lli
		.amdhsa_group_segment_fixed_size 8192
		.amdhsa_private_segment_fixed_size 0
		.amdhsa_kernarg_size 156
		.amdhsa_user_sgpr_count 2
		.amdhsa_user_sgpr_dispatch_ptr 0
		.amdhsa_user_sgpr_queue_ptr 0
		.amdhsa_user_sgpr_kernarg_segment_ptr 1
		.amdhsa_user_sgpr_dispatch_id 0
		.amdhsa_user_sgpr_kernarg_preload_length 0
		.amdhsa_user_sgpr_kernarg_preload_offset 0
		.amdhsa_user_sgpr_private_segment_size 0
		.amdhsa_wavefront_size32 1
		.amdhsa_uses_dynamic_stack 0
		.amdhsa_enable_private_segment 0
		.amdhsa_system_sgpr_workgroup_id_x 1
		.amdhsa_system_sgpr_workgroup_id_y 1
		.amdhsa_system_sgpr_workgroup_id_z 1
		.amdhsa_system_sgpr_workgroup_info 0
		.amdhsa_system_vgpr_workitem_id 1
		.amdhsa_next_free_vgpr 144
		.amdhsa_next_free_sgpr 52
		.amdhsa_named_barrier_count 0
		.amdhsa_reserve_vcc 1
		.amdhsa_float_round_mode_32 0
		.amdhsa_float_round_mode_16_64 0
		.amdhsa_float_denorm_mode_32 3
		.amdhsa_float_denorm_mode_16_64 3
		.amdhsa_fp16_overflow 0
		.amdhsa_memory_ordered 1
		.amdhsa_forward_progress 1
		.amdhsa_inst_pref_size 44
		.amdhsa_round_robin_scheduling 0
		.amdhsa_exception_fp_ieee_invalid_op 0
		.amdhsa_exception_fp_denorm_src 0
		.amdhsa_exception_fp_ieee_div_zero 0
		.amdhsa_exception_fp_ieee_overflow 0
		.amdhsa_exception_fp_ieee_underflow 0
		.amdhsa_exception_fp_ieee_inexact 0
		.amdhsa_exception_int_div_zero 0
	.end_amdhsa_kernel
	.section	.text._ZN12_GLOBAL__N_127rocblas_gemm_batched_kernelI19rocblas_complex_numIdELi16ELi16ELi64ELi64ELi4ELi64ELi4ELi4ELi64ELc84ELc84EKS2_S3_S2_EEvlllT_PT11_llS6_llS4_PT12_llPT13_lli,"axG",@progbits,_ZN12_GLOBAL__N_127rocblas_gemm_batched_kernelI19rocblas_complex_numIdELi16ELi16ELi64ELi64ELi4ELi64ELi4ELi4ELi64ELc84ELc84EKS2_S3_S2_EEvlllT_PT11_llS6_llS4_PT12_llPT13_lli,comdat
.Lfunc_end532:
	.size	_ZN12_GLOBAL__N_127rocblas_gemm_batched_kernelI19rocblas_complex_numIdELi16ELi16ELi64ELi64ELi4ELi64ELi4ELi4ELi64ELc84ELc84EKS2_S3_S2_EEvlllT_PT11_llS6_llS4_PT12_llPT13_lli, .Lfunc_end532-_ZN12_GLOBAL__N_127rocblas_gemm_batched_kernelI19rocblas_complex_numIdELi16ELi16ELi64ELi64ELi4ELi64ELi4ELi4ELi64ELc84ELc84EKS2_S3_S2_EEvlllT_PT11_llS6_llS4_PT12_llPT13_lli
                                        ; -- End function
	.set _ZN12_GLOBAL__N_127rocblas_gemm_batched_kernelI19rocblas_complex_numIdELi16ELi16ELi64ELi64ELi4ELi64ELi4ELi4ELi64ELc84ELc84EKS2_S3_S2_EEvlllT_PT11_llS6_llS4_PT12_llPT13_lli.num_vgpr, 144
	.set _ZN12_GLOBAL__N_127rocblas_gemm_batched_kernelI19rocblas_complex_numIdELi16ELi16ELi64ELi64ELi4ELi64ELi4ELi4ELi64ELc84ELc84EKS2_S3_S2_EEvlllT_PT11_llS6_llS4_PT12_llPT13_lli.num_agpr, 0
	.set _ZN12_GLOBAL__N_127rocblas_gemm_batched_kernelI19rocblas_complex_numIdELi16ELi16ELi64ELi64ELi4ELi64ELi4ELi4ELi64ELc84ELc84EKS2_S3_S2_EEvlllT_PT11_llS6_llS4_PT12_llPT13_lli.numbered_sgpr, 52
	.set _ZN12_GLOBAL__N_127rocblas_gemm_batched_kernelI19rocblas_complex_numIdELi16ELi16ELi64ELi64ELi4ELi64ELi4ELi4ELi64ELc84ELc84EKS2_S3_S2_EEvlllT_PT11_llS6_llS4_PT12_llPT13_lli.num_named_barrier, 0
	.set _ZN12_GLOBAL__N_127rocblas_gemm_batched_kernelI19rocblas_complex_numIdELi16ELi16ELi64ELi64ELi4ELi64ELi4ELi4ELi64ELc84ELc84EKS2_S3_S2_EEvlllT_PT11_llS6_llS4_PT12_llPT13_lli.private_seg_size, 0
	.set _ZN12_GLOBAL__N_127rocblas_gemm_batched_kernelI19rocblas_complex_numIdELi16ELi16ELi64ELi64ELi4ELi64ELi4ELi4ELi64ELc84ELc84EKS2_S3_S2_EEvlllT_PT11_llS6_llS4_PT12_llPT13_lli.uses_vcc, 1
	.set _ZN12_GLOBAL__N_127rocblas_gemm_batched_kernelI19rocblas_complex_numIdELi16ELi16ELi64ELi64ELi4ELi64ELi4ELi4ELi64ELc84ELc84EKS2_S3_S2_EEvlllT_PT11_llS6_llS4_PT12_llPT13_lli.uses_flat_scratch, 0
	.set _ZN12_GLOBAL__N_127rocblas_gemm_batched_kernelI19rocblas_complex_numIdELi16ELi16ELi64ELi64ELi4ELi64ELi4ELi4ELi64ELc84ELc84EKS2_S3_S2_EEvlllT_PT11_llS6_llS4_PT12_llPT13_lli.has_dyn_sized_stack, 0
	.set _ZN12_GLOBAL__N_127rocblas_gemm_batched_kernelI19rocblas_complex_numIdELi16ELi16ELi64ELi64ELi4ELi64ELi4ELi4ELi64ELc84ELc84EKS2_S3_S2_EEvlllT_PT11_llS6_llS4_PT12_llPT13_lli.has_recursion, 0
	.set _ZN12_GLOBAL__N_127rocblas_gemm_batched_kernelI19rocblas_complex_numIdELi16ELi16ELi64ELi64ELi4ELi64ELi4ELi4ELi64ELc84ELc84EKS2_S3_S2_EEvlllT_PT11_llS6_llS4_PT12_llPT13_lli.has_indirect_call, 0
	.section	.AMDGPU.csdata,"",@progbits
; Kernel info:
; codeLenInByte = 5632
; TotalNumSgprs: 54
; NumVgprs: 144
; ScratchSize: 0
; MemoryBound: 0
; FloatMode: 240
; IeeeMode: 1
; LDSByteSize: 8192 bytes/workgroup (compile time only)
; SGPRBlocks: 0
; VGPRBlocks: 8
; NumSGPRsForWavesPerEU: 54
; NumVGPRsForWavesPerEU: 144
; NamedBarCnt: 0
; Occupancy: 7
; WaveLimiterHint : 1
; COMPUTE_PGM_RSRC2:SCRATCH_EN: 0
; COMPUTE_PGM_RSRC2:USER_SGPR: 2
; COMPUTE_PGM_RSRC2:TRAP_HANDLER: 0
; COMPUTE_PGM_RSRC2:TGID_X_EN: 1
; COMPUTE_PGM_RSRC2:TGID_Y_EN: 1
; COMPUTE_PGM_RSRC2:TGID_Z_EN: 1
; COMPUTE_PGM_RSRC2:TIDIG_COMP_CNT: 1
	.section	.text._ZN12_GLOBAL__N_127rocblas_gemm_batched_kernelI19rocblas_complex_numIdELi16ELi16ELi64ELi64ELi4ELi64ELi4ELi4ELi64ELc67ELc67EKS2_S3_S2_EEvlllT_PT11_llS6_llS4_PT12_llPT13_lli,"axG",@progbits,_ZN12_GLOBAL__N_127rocblas_gemm_batched_kernelI19rocblas_complex_numIdELi16ELi16ELi64ELi64ELi4ELi64ELi4ELi4ELi64ELc67ELc67EKS2_S3_S2_EEvlllT_PT11_llS6_llS4_PT12_llPT13_lli,comdat
	.globl	_ZN12_GLOBAL__N_127rocblas_gemm_batched_kernelI19rocblas_complex_numIdELi16ELi16ELi64ELi64ELi4ELi64ELi4ELi4ELi64ELc67ELc67EKS2_S3_S2_EEvlllT_PT11_llS6_llS4_PT12_llPT13_lli ; -- Begin function _ZN12_GLOBAL__N_127rocblas_gemm_batched_kernelI19rocblas_complex_numIdELi16ELi16ELi64ELi64ELi4ELi64ELi4ELi4ELi64ELc67ELc67EKS2_S3_S2_EEvlllT_PT11_llS6_llS4_PT12_llPT13_lli
	.p2align	8
	.type	_ZN12_GLOBAL__N_127rocblas_gemm_batched_kernelI19rocblas_complex_numIdELi16ELi16ELi64ELi64ELi4ELi64ELi4ELi4ELi64ELc67ELc67EKS2_S3_S2_EEvlllT_PT11_llS6_llS4_PT12_llPT13_lli,@function
_ZN12_GLOBAL__N_127rocblas_gemm_batched_kernelI19rocblas_complex_numIdELi16ELi16ELi64ELi64ELi4ELi64ELi4ELi4ELi64ELc67ELc67EKS2_S3_S2_EEvlllT_PT11_llS6_llS4_PT12_llPT13_lli: ; @_ZN12_GLOBAL__N_127rocblas_gemm_batched_kernelI19rocblas_complex_numIdELi16ELi16ELi64ELi64ELi4ELi64ELi4ELi4ELi64ELc67ELc67EKS2_S3_S2_EEvlllT_PT11_llS6_llS4_PT12_llPT13_lli
; %bb.0:
	s_load_b32 s24, s[0:1], 0x98
	s_bfe_u32 s2, ttmp6, 0x40014
	s_lshr_b32 s3, ttmp7, 16
	s_add_co_i32 s2, s2, 1
	s_bfe_u32 s4, ttmp6, 0x40008
	s_mul_i32 s2, s3, s2
	s_getreg_b32 s20, hwreg(HW_REG_IB_STS2, 6, 4)
	s_add_co_i32 s4, s4, s2
	s_cmp_eq_u32 s20, 0
	s_cselect_b32 s2, s3, s4
	s_mov_b32 s3, 0
	s_wait_kmcnt 0x0
	s_cmp_ge_i32 s2, s24
	s_cbranch_scc1 .LBB533_11
; %bb.1:
	s_bfe_u32 s21, ttmp6, 0x4000c
	s_bfe_u32 s23, ttmp6, 0x40010
	s_add_co_i32 s21, s21, 1
	s_and_b32 s25, ttmp7, 0xffff
	s_add_co_i32 s23, s23, 1
	v_bfe_u32 v2, v0, 10, 10
	v_and_b32_e32 v4, 0x3ff, v0
	s_clause 0x1
	s_load_b512 s[4:19], s[0:1], 0x10
	s_load_b512 s[36:51], s[0:1], 0x50
	s_and_b32 s22, ttmp6, 15
	s_mul_i32 s21, ttmp9, s21
	s_mul_i32 s23, s25, s23
	s_bfe_u32 s26, ttmp6, 0x40004
	s_add_co_i32 s22, s22, s21
	s_add_co_i32 s26, s26, s23
	s_cmp_eq_u32 s20, 0
	v_lshl_add_u32 v5, v2, 4, v4
	s_cselect_b32 s20, ttmp9, s22
	s_cselect_b32 s22, s25, s26
	s_ashr_i32 s21, s20, 31
	v_mov_b32_e32 v3, 0
	s_lshl_b64 s[20:21], s[20:21], 6
	s_delay_alu instid0(SALU_CYCLE_1) | instskip(NEXT) | instid1(VALU_DEP_2)
	v_dual_mov_b32 v7, s21 :: v_dual_bitop2_b32 v16, 63, v5 bitop3:0x40
	v_dual_mov_b32 v9, v3 :: v_dual_lshrrev_b32 v8, 2, v5
	v_lshl_add_u32 v98, v2, 6, 0x1000
	s_delay_alu instid0(VALU_DEP_3)
	v_or_b32_e32 v6, s20, v16
	s_wait_kmcnt 0x0
	v_cmp_eq_f64_e64 s25, s[38:39], 0
	v_cmp_eq_f64_e64 s26, s[40:41], 0
	v_lshlrev_b32_e32 v99, 4, v4
	v_mul_u64_e32 v[6:7], s[12:13], v[6:7]
	s_lshl_b32 s12, s22, 6
	s_mov_b32 s13, s3
	s_lshl_b64 s[22:23], s[44:45], 4
	v_add_nc_u64_e32 v[10:11], s[12:13], v[2:3]
	v_add_nc_u64_e32 v[12:13], s[12:13], v[8:9]
	v_and_b32_e32 v9, 3, v0
	s_load_b64 s[12:13], s[0:1], 0x90
	s_wait_xcnt 0x0
	v_cmp_gt_i64_e64 s0, s[4:5], 0
	s_delay_alu instid0(VALU_DEP_4) | instskip(SKIP_4) | instid1(VALU_DEP_3)
	v_mul_u64_e32 v[14:15], s[44:45], v[10:11]
	v_mul_u64_e32 v[24:25], s[50:51], v[10:11]
	v_lshrrev_b32_e32 v10, 6, v5
	v_mad_nc_u64_u32 v[0:1], s18, v9, v[12:13]
	v_dual_mov_b32 v5, v3 :: v_dual_lshlrev_b32 v12, 4, v16
	v_dual_lshlrev_b32 v11, 4, v9 :: v_dual_lshlrev_b32 v2, 4, v10
	s_delay_alu instid0(VALU_DEP_2) | instskip(NEXT) | instid1(VALU_DEP_3)
	v_lshl_or_b32 v100, v10, 10, v12
	v_add_nc_u64_e32 v[26:27], s[20:21], v[4:5]
	s_delay_alu instid0(VALU_DEP_3)
	v_lshl_or_b32 v8, v8, 6, v11
	v_cndmask_b32_e64 v4, 0, 1, s0
	s_lshl_b64 s[20:21], s[50:51], 4
	v_mad_u32 v1, s19, v9, v1
	s_lshl_b64 s[20:21], s[20:21], 4
	v_add_nc_u32_e32 v101, 0x1000, v8
	v_cmp_ne_u32_e64 s0, 1, v4
	s_and_b32 s1, s25, s26
	v_lshl_add_u64 v[2:3], v[6:7], 4, v[2:3]
	v_lshl_add_u64 v[0:1], v[0:1], 4, s[16:17]
	s_delay_alu instid0(VALU_DEP_2)
	v_add_nc_u64_e32 v[2:3], s[10:11], v[2:3]
	s_lshl_b64 s[10:11], s[14:15], 4
	s_lshl_b64 s[14:15], s[36:37], 4
	;; [unrolled: 1-line block ×3, first 2 shown]
	v_add_nc_u64_e32 v[32:33], 8, v[0:1]
	s_lshl_b64 s[18:19], s[22:23], 4
	v_lshl_add_u64 v[28:29], v[14:15], 4, s[42:43]
	v_add_nc_u64_e32 v[30:31], 8, v[2:3]
	s_branch .LBB533_3
.LBB533_2:                              ;   in Loop: Header=BB533_3 Depth=1
	s_add_co_i32 s2, s2, 0x10000
	global_store_b64 v[2:3], v[0:1], off offset:8
	s_cmp_lt_i32 s2, s24
	s_cbranch_scc0 .LBB533_11
.LBB533_3:                              ; =>This Loop Header: Depth=1
                                        ;     Child Loop BB533_5 Depth 2
	s_and_b32 vcc_lo, exec_lo, s0
	s_cbranch_vccnz .LBB533_6
; %bb.4:                                ;   in Loop: Header=BB533_3 Depth=1
	s_wait_xcnt 0x7
	s_delay_alu instid0(VALU_DEP_1)
	v_mad_nc_u64_u32 v[34:35], s10, s2, v[30:31]
	v_mad_nc_u64_u32 v[36:37], s14, s2, v[32:33]
	v_mov_b64_e32 v[84:85], 0
	v_mov_b64_e32 v[82:83], 0
	;; [unrolled: 1-line block ×9, first 2 shown]
	v_mad_u32 v35, s11, s2, v35
	v_mad_u32 v37, s15, s2, v37
	v_mov_b64_e32 v[44:45], 0
	v_mov_b64_e32 v[56:57], 0
	;; [unrolled: 1-line block ×23, first 2 shown]
	s_mov_b64 s[22:23], 0
.LBB533_5:                              ;   Parent Loop BB533_3 Depth=1
                                        ; =>  This Inner Loop Header: Depth=2
	global_load_b128 v[0:3], v[34:35], off offset:-8
	s_add_nc_u64 s[22:23], s[22:23], 4
	s_wait_xcnt 0x0
	v_add_nc_u64_e32 v[34:35], 64, v[34:35]
	v_cmp_lt_i64_e64 s25, s[22:23], s[4:5]
	s_and_b32 vcc_lo, exec_lo, s25
	s_wait_loadcnt 0x0
	v_xor_b32_e32 v3, 0x80000000, v3
	ds_store_b128 v100, v[0:3]
	global_load_b128 v[0:3], v[36:37], off offset:-8
	s_wait_xcnt 0x0
	v_add_nc_u64_e32 v[36:37], s[16:17], v[36:37]
	s_wait_loadcnt 0x0
	v_xor_b32_e32 v3, 0x80000000, v3
	ds_store_b128 v101, v[0:3]
	s_wait_dscnt 0x0
	s_barrier_signal -1
	s_barrier_wait -1
	ds_load_b128 v[86:89], v98
	ds_load_b128 v[90:93], v98 offset:16
	ds_load_b128 v[4:7], v98 offset:32
	;; [unrolled: 1-line block ×3, first 2 shown]
	ds_load_b128 v[94:97], v99
	s_wait_dscnt 0x0
	v_mul_f64_e32 v[102:103], v[88:89], v[96:97]
	v_mul_f64_e32 v[104:105], v[86:87], v[96:97]
	s_delay_alu instid0(VALU_DEP_2) | instskip(NEXT) | instid1(VALU_DEP_2)
	v_fma_f64 v[102:103], v[86:87], v[94:95], -v[102:103]
	v_fmac_f64_e32 v[104:105], v[88:89], v[94:95]
	s_delay_alu instid0(VALU_DEP_2) | instskip(NEXT) | instid1(VALU_DEP_2)
	v_add_f64_e32 v[106:107], v[58:59], v[102:103]
	v_add_f64_e32 v[108:109], v[104:105], v[60:61]
	ds_load_b128 v[58:61], v99 offset:256
	s_wait_dscnt 0x0
	v_mul_f64_e32 v[102:103], v[88:89], v[60:61]
	v_mul_f64_e32 v[104:105], v[86:87], v[60:61]
	s_delay_alu instid0(VALU_DEP_2) | instskip(NEXT) | instid1(VALU_DEP_2)
	v_fma_f64 v[102:103], v[86:87], v[58:59], -v[102:103]
	v_fmac_f64_e32 v[104:105], v[88:89], v[58:59]
	s_delay_alu instid0(VALU_DEP_2) | instskip(NEXT) | instid1(VALU_DEP_2)
	v_add_f64_e32 v[42:43], v[42:43], v[102:103]
	v_add_f64_e32 v[110:111], v[104:105], v[46:47]
	ds_load_b128 v[102:105], v99 offset:512
	;; [unrolled: 10-line block ×3, first 2 shown]
	s_wait_dscnt 0x0
	v_mul_f64_e32 v[46:47], v[88:89], v[40:41]
	s_delay_alu instid0(VALU_DEP_1) | instskip(SKIP_1) | instid1(VALU_DEP_1)
	v_fma_f64 v[46:47], v[86:87], v[38:39], -v[46:47]
	v_mul_f64_e32 v[86:87], v[86:87], v[40:41]
	v_fmac_f64_e32 v[86:87], v[88:89], v[38:39]
	s_delay_alu instid0(VALU_DEP_3) | instskip(NEXT) | instid1(VALU_DEP_2)
	v_add_f64_e32 v[88:89], v[20:21], v[46:47]
	v_add_f64_e32 v[86:87], v[86:87], v[22:23]
	ds_load_b128 v[20:23], v98 offset:1024
	s_wait_dscnt 0x0
	v_mul_f64_e32 v[46:47], v[22:23], v[96:97]
	v_mul_f64_e32 v[116:117], v[20:21], v[96:97]
	s_delay_alu instid0(VALU_DEP_2) | instskip(NEXT) | instid1(VALU_DEP_2)
	v_fma_f64 v[46:47], v[20:21], v[94:95], -v[46:47]
	v_fmac_f64_e32 v[116:117], v[22:23], v[94:95]
	s_delay_alu instid0(VALU_DEP_2) | instskip(SKIP_1) | instid1(VALU_DEP_3)
	v_add_f64_e32 v[78:79], v[78:79], v[46:47]
	v_mul_f64_e32 v[46:47], v[22:23], v[60:61]
	v_add_f64_e32 v[80:81], v[116:117], v[80:81]
	v_mul_f64_e32 v[116:117], v[20:21], v[60:61]
	s_delay_alu instid0(VALU_DEP_3) | instskip(NEXT) | instid1(VALU_DEP_2)
	v_fma_f64 v[46:47], v[20:21], v[58:59], -v[46:47]
	v_fmac_f64_e32 v[116:117], v[22:23], v[58:59]
	s_delay_alu instid0(VALU_DEP_2) | instskip(SKIP_2) | instid1(VALU_DEP_4)
	v_add_f64_e32 v[118:119], v[70:71], v[46:47]
	v_mul_f64_e32 v[46:47], v[22:23], v[104:105]
	v_mul_f64_e32 v[70:71], v[20:21], v[104:105]
	v_add_f64_e32 v[116:117], v[116:117], v[74:75]
	s_delay_alu instid0(VALU_DEP_3) | instskip(NEXT) | instid1(VALU_DEP_3)
	v_fma_f64 v[46:47], v[20:21], v[102:103], -v[46:47]
	v_fmac_f64_e32 v[70:71], v[22:23], v[102:103]
	s_delay_alu instid0(VALU_DEP_2) | instskip(SKIP_1) | instid1(VALU_DEP_3)
	v_add_f64_e32 v[120:121], v[62:63], v[46:47]
	v_mul_f64_e32 v[46:47], v[22:23], v[40:41]
	v_add_f64_e32 v[122:123], v[70:71], v[66:67]
	s_delay_alu instid0(VALU_DEP_2) | instskip(SKIP_1) | instid1(VALU_DEP_2)
	v_fma_f64 v[46:47], v[20:21], v[38:39], -v[46:47]
	v_mul_f64_e32 v[20:21], v[20:21], v[40:41]
	v_add_f64_e32 v[124:125], v[50:51], v[46:47]
	s_delay_alu instid0(VALU_DEP_2) | instskip(NEXT) | instid1(VALU_DEP_1)
	v_fmac_f64_e32 v[20:21], v[22:23], v[38:39]
	v_add_f64_e32 v[126:127], v[20:21], v[54:55]
	ds_load_b128 v[20:23], v98 offset:2048
	s_wait_dscnt 0x0
	v_mul_f64_e32 v[46:47], v[22:23], v[96:97]
	v_mul_f64_e32 v[50:51], v[20:21], v[96:97]
	s_delay_alu instid0(VALU_DEP_2) | instskip(NEXT) | instid1(VALU_DEP_2)
	v_fma_f64 v[46:47], v[20:21], v[94:95], -v[46:47]
	v_fmac_f64_e32 v[50:51], v[22:23], v[94:95]
	s_delay_alu instid0(VALU_DEP_2) | instskip(SKIP_1) | instid1(VALU_DEP_3)
	v_add_f64_e32 v[128:129], v[72:73], v[46:47]
	v_mul_f64_e32 v[46:47], v[22:23], v[60:61]
	v_add_f64_e32 v[130:131], v[50:51], v[76:77]
	v_mul_f64_e32 v[50:51], v[20:21], v[60:61]
	s_delay_alu instid0(VALU_DEP_3) | instskip(NEXT) | instid1(VALU_DEP_2)
	v_fma_f64 v[46:47], v[20:21], v[58:59], -v[46:47]
	v_fmac_f64_e32 v[50:51], v[22:23], v[58:59]
	s_delay_alu instid0(VALU_DEP_2) | instskip(SKIP_1) | instid1(VALU_DEP_3)
	v_add_f64_e32 v[132:133], v[64:65], v[46:47]
	v_mul_f64_e32 v[46:47], v[22:23], v[104:105]
	v_add_f64_e32 v[134:135], v[50:51], v[68:69]
	v_mul_f64_e32 v[50:51], v[20:21], v[104:105]
	s_delay_alu instid0(VALU_DEP_3) | instskip(NEXT) | instid1(VALU_DEP_2)
	v_fma_f64 v[46:47], v[20:21], v[102:103], -v[46:47]
	v_fmac_f64_e32 v[50:51], v[22:23], v[102:103]
	s_delay_alu instid0(VALU_DEP_2) | instskip(SKIP_1) | instid1(VALU_DEP_3)
	v_add_f64_e32 v[136:137], v[52:53], v[46:47]
	v_mul_f64_e32 v[46:47], v[22:23], v[40:41]
	v_add_f64_e32 v[138:139], v[50:51], v[56:57]
	s_delay_alu instid0(VALU_DEP_2) | instskip(SKIP_1) | instid1(VALU_DEP_2)
	v_fma_f64 v[46:47], v[20:21], v[38:39], -v[46:47]
	v_mul_f64_e32 v[20:21], v[20:21], v[40:41]
	v_add_f64_e32 v[140:141], v[44:45], v[46:47]
	s_delay_alu instid0(VALU_DEP_2) | instskip(NEXT) | instid1(VALU_DEP_1)
	v_fmac_f64_e32 v[20:21], v[22:23], v[38:39]
	v_add_f64_e32 v[142:143], v[20:21], v[48:49]
	ds_load_b128 v[20:23], v98 offset:3072
	s_wait_dscnt 0x0
	v_mul_f64_e32 v[44:45], v[22:23], v[96:97]
	v_mul_f64_e32 v[46:47], v[20:21], v[96:97]
	s_delay_alu instid0(VALU_DEP_2) | instskip(NEXT) | instid1(VALU_DEP_2)
	v_fma_f64 v[44:45], v[20:21], v[94:95], -v[44:45]
	v_fmac_f64_e32 v[46:47], v[22:23], v[94:95]
	s_delay_alu instid0(VALU_DEP_2) | instskip(NEXT) | instid1(VALU_DEP_2)
	v_add_f64_e32 v[66:67], v[16:17], v[44:45]
	v_add_f64_e32 v[68:69], v[46:47], v[18:19]
	v_mul_f64_e32 v[16:17], v[22:23], v[60:61]
	v_mul_f64_e32 v[18:19], v[20:21], v[60:61]
	s_delay_alu instid0(VALU_DEP_2) | instskip(NEXT) | instid1(VALU_DEP_2)
	v_fma_f64 v[16:17], v[20:21], v[58:59], -v[16:17]
	v_fmac_f64_e32 v[18:19], v[22:23], v[58:59]
	s_delay_alu instid0(VALU_DEP_2) | instskip(NEXT) | instid1(VALU_DEP_2)
	v_add_f64_e32 v[62:63], v[12:13], v[16:17]
	v_add_f64_e32 v[64:65], v[18:19], v[14:15]
	v_mul_f64_e32 v[12:13], v[22:23], v[104:105]
	v_mul_f64_e32 v[14:15], v[20:21], v[104:105]
	ds_load_b128 v[16:19], v99 offset:1280
	v_fma_f64 v[12:13], v[20:21], v[102:103], -v[12:13]
	v_fmac_f64_e32 v[14:15], v[22:23], v[102:103]
	s_delay_alu instid0(VALU_DEP_2) | instskip(NEXT) | instid1(VALU_DEP_2)
	v_add_f64_e32 v[58:59], v[8:9], v[12:13]
	v_add_f64_e32 v[60:61], v[14:15], v[10:11]
	v_mul_f64_e32 v[8:9], v[22:23], v[40:41]
	v_mul_f64_e32 v[10:11], v[20:21], v[40:41]
	ds_load_b128 v[12:15], v99 offset:1536
	v_fma_f64 v[8:9], v[20:21], v[38:39], -v[8:9]
	v_fmac_f64_e32 v[10:11], v[22:23], v[38:39]
	ds_load_b128 v[20:23], v99 offset:1024
	v_add_f64_e32 v[54:55], v[82:83], v[8:9]
	v_add_f64_e32 v[56:57], v[10:11], v[84:85]
	ds_load_b128 v[82:85], v98 offset:1040
	s_wait_dscnt 0x1
	v_mul_f64_e32 v[8:9], v[92:93], v[22:23]
	v_mul_f64_e32 v[10:11], v[90:91], v[22:23]
	s_wait_dscnt 0x0
	v_mul_f64_e32 v[70:71], v[84:85], v[22:23]
	v_mul_f64_e32 v[72:73], v[82:83], v[22:23]
	;; [unrolled: 1-line block ×4, first 2 shown]
	v_fma_f64 v[8:9], v[90:91], v[20:21], -v[8:9]
	v_fmac_f64_e32 v[10:11], v[92:93], v[20:21]
	v_fma_f64 v[70:71], v[82:83], v[20:21], -v[70:71]
	v_fmac_f64_e32 v[72:73], v[84:85], v[20:21]
	;; [unrolled: 2-line block ×3, first 2 shown]
	v_add_f64_e32 v[50:51], v[106:107], v[8:9]
	v_add_f64_e32 v[52:53], v[10:11], v[108:109]
	v_mul_f64_e32 v[8:9], v[92:93], v[18:19]
	v_mul_f64_e32 v[10:11], v[90:91], v[18:19]
	v_add_f64_e32 v[70:71], v[78:79], v[70:71]
	v_add_f64_e32 v[72:73], v[72:73], v[80:81]
	v_mul_f64_e32 v[78:79], v[84:85], v[14:15]
	v_mul_f64_e32 v[80:81], v[82:83], v[14:15]
	v_add_f64_e32 v[74:75], v[118:119], v[74:75]
	v_add_f64_e32 v[76:77], v[76:77], v[116:117]
	v_fma_f64 v[8:9], v[90:91], v[16:17], -v[8:9]
	v_fmac_f64_e32 v[10:11], v[92:93], v[16:17]
	v_fma_f64 v[78:79], v[82:83], v[12:13], -v[78:79]
	v_fmac_f64_e32 v[80:81], v[84:85], v[12:13]
	s_delay_alu instid0(VALU_DEP_4) | instskip(NEXT) | instid1(VALU_DEP_4)
	v_add_f64_e32 v[46:47], v[42:43], v[8:9]
	v_add_f64_e32 v[48:49], v[10:11], v[110:111]
	v_mul_f64_e32 v[8:9], v[92:93], v[14:15]
	v_mul_f64_e32 v[10:11], v[90:91], v[14:15]
	v_add_f64_e32 v[78:79], v[120:121], v[78:79]
	v_add_f64_e32 v[80:81], v[80:81], v[122:123]
	s_delay_alu instid0(VALU_DEP_4) | instskip(NEXT) | instid1(VALU_DEP_4)
	v_fma_f64 v[8:9], v[90:91], v[12:13], -v[8:9]
	v_fmac_f64_e32 v[10:11], v[92:93], v[12:13]
	s_delay_alu instid0(VALU_DEP_2) | instskip(NEXT) | instid1(VALU_DEP_2)
	v_add_f64_e32 v[42:43], v[114:115], v[8:9]
	v_add_f64_e32 v[44:45], v[10:11], v[112:113]
	ds_load_b128 v[8:11], v99 offset:1792
	s_wait_dscnt 0x0
	v_mul_f64_e32 v[38:39], v[92:93], v[10:11]
	v_mul_f64_e32 v[40:41], v[90:91], v[10:11]
	s_delay_alu instid0(VALU_DEP_2) | instskip(NEXT) | instid1(VALU_DEP_2)
	v_fma_f64 v[38:39], v[90:91], v[8:9], -v[38:39]
	v_fmac_f64_e32 v[40:41], v[92:93], v[8:9]
	s_delay_alu instid0(VALU_DEP_2) | instskip(NEXT) | instid1(VALU_DEP_2)
	v_add_f64_e32 v[38:39], v[88:89], v[38:39]
	v_add_f64_e32 v[40:41], v[40:41], v[86:87]
	v_mul_f64_e32 v[86:87], v[84:85], v[10:11]
	v_mul_f64_e32 v[88:89], v[82:83], v[10:11]
	s_delay_alu instid0(VALU_DEP_2) | instskip(NEXT) | instid1(VALU_DEP_2)
	v_fma_f64 v[86:87], v[82:83], v[8:9], -v[86:87]
	v_fmac_f64_e32 v[88:89], v[84:85], v[8:9]
	s_delay_alu instid0(VALU_DEP_2) | instskip(NEXT) | instid1(VALU_DEP_2)
	v_add_f64_e32 v[82:83], v[124:125], v[86:87]
	v_add_f64_e32 v[84:85], v[88:89], v[126:127]
	ds_load_b128 v[86:89], v98 offset:2064
	s_wait_dscnt 0x0
	v_mul_f64_e32 v[90:91], v[88:89], v[22:23]
	v_mul_f64_e32 v[94:95], v[88:89], v[18:19]
	;; [unrolled: 1-line block ×7, first 2 shown]
	v_fma_f64 v[90:91], v[86:87], v[20:21], -v[90:91]
	v_fma_f64 v[94:95], v[86:87], v[16:17], -v[94:95]
	;; [unrolled: 1-line block ×4, first 2 shown]
	v_mul_f64_e32 v[86:87], v[86:87], v[10:11]
	v_fmac_f64_e32 v[92:93], v[88:89], v[20:21]
	v_fmac_f64_e32 v[96:97], v[88:89], v[16:17]
	;; [unrolled: 1-line block ×3, first 2 shown]
	v_add_f64_e32 v[90:91], v[128:129], v[90:91]
	v_add_f64_e32 v[94:95], v[132:133], v[94:95]
	;; [unrolled: 1-line block ×4, first 2 shown]
	v_fmac_f64_e32 v[86:87], v[88:89], v[8:9]
	v_add_f64_e32 v[92:93], v[92:93], v[130:131]
	v_add_f64_e32 v[96:97], v[96:97], v[134:135]
	;; [unrolled: 1-line block ×3, first 2 shown]
	s_delay_alu instid0(VALU_DEP_4) | instskip(SKIP_4) | instid1(VALU_DEP_2)
	v_add_f64_e32 v[108:109], v[86:87], v[142:143]
	ds_load_b128 v[86:89], v98 offset:3088
	s_wait_dscnt 0x0
	v_mul_f64_e32 v[110:111], v[88:89], v[22:23]
	v_mul_f64_e32 v[22:23], v[86:87], v[22:23]
	v_fma_f64 v[110:111], v[86:87], v[20:21], -v[110:111]
	s_delay_alu instid0(VALU_DEP_2) | instskip(SKIP_2) | instid1(VALU_DEP_4)
	v_fmac_f64_e32 v[22:23], v[88:89], v[20:21]
	v_mul_f64_e32 v[20:21], v[88:89], v[18:19]
	v_mul_f64_e32 v[18:19], v[86:87], v[18:19]
	v_add_f64_e32 v[66:67], v[66:67], v[110:111]
	s_delay_alu instid0(VALU_DEP_4) | instskip(NEXT) | instid1(VALU_DEP_4)
	v_add_f64_e32 v[68:69], v[22:23], v[68:69]
	v_fma_f64 v[20:21], v[86:87], v[16:17], -v[20:21]
	s_delay_alu instid0(VALU_DEP_4) | instskip(SKIP_2) | instid1(VALU_DEP_4)
	v_fmac_f64_e32 v[18:19], v[88:89], v[16:17]
	v_mul_f64_e32 v[16:17], v[88:89], v[14:15]
	v_mul_f64_e32 v[14:15], v[86:87], v[14:15]
	v_add_f64_e32 v[62:63], v[62:63], v[20:21]
	s_delay_alu instid0(VALU_DEP_4) | instskip(NEXT) | instid1(VALU_DEP_4)
	v_add_f64_e32 v[64:65], v[18:19], v[64:65]
	v_fma_f64 v[16:17], v[86:87], v[12:13], -v[16:17]
	s_delay_alu instid0(VALU_DEP_4) | instskip(SKIP_2) | instid1(VALU_DEP_4)
	v_fmac_f64_e32 v[14:15], v[88:89], v[12:13]
	v_mul_f64_e32 v[12:13], v[88:89], v[10:11]
	v_mul_f64_e32 v[10:11], v[86:87], v[10:11]
	v_add_f64_e32 v[58:59], v[58:59], v[16:17]
	s_delay_alu instid0(VALU_DEP_4) | instskip(NEXT) | instid1(VALU_DEP_4)
	v_add_f64_e32 v[60:61], v[14:15], v[60:61]
	v_fma_f64 v[12:13], v[86:87], v[8:9], -v[12:13]
	s_delay_alu instid0(VALU_DEP_4) | instskip(NEXT) | instid1(VALU_DEP_2)
	v_fmac_f64_e32 v[10:11], v[88:89], v[8:9]
	v_add_f64_e32 v[54:55], v[54:55], v[12:13]
	s_delay_alu instid0(VALU_DEP_2) | instskip(SKIP_4) | instid1(VALU_DEP_2)
	v_add_f64_e32 v[56:57], v[10:11], v[56:57]
	ds_load_b128 v[8:11], v99 offset:2048
	s_wait_dscnt 0x0
	v_mul_f64_e32 v[12:13], v[6:7], v[10:11]
	v_mul_f64_e32 v[14:15], v[4:5], v[10:11]
	v_fma_f64 v[12:13], v[4:5], v[8:9], -v[12:13]
	s_delay_alu instid0(VALU_DEP_2) | instskip(NEXT) | instid1(VALU_DEP_2)
	v_fmac_f64_e32 v[14:15], v[6:7], v[8:9]
	v_add_f64_e32 v[50:51], v[50:51], v[12:13]
	s_delay_alu instid0(VALU_DEP_2) | instskip(SKIP_4) | instid1(VALU_DEP_2)
	v_add_f64_e32 v[52:53], v[14:15], v[52:53]
	ds_load_b128 v[12:15], v99 offset:2304
	s_wait_dscnt 0x0
	v_mul_f64_e32 v[16:17], v[6:7], v[14:15]
	v_mul_f64_e32 v[18:19], v[4:5], v[14:15]
	v_fma_f64 v[16:17], v[4:5], v[12:13], -v[16:17]
	s_delay_alu instid0(VALU_DEP_2) | instskip(NEXT) | instid1(VALU_DEP_2)
	v_fmac_f64_e32 v[18:19], v[6:7], v[12:13]
	v_add_f64_e32 v[46:47], v[46:47], v[16:17]
	s_delay_alu instid0(VALU_DEP_2) | instskip(SKIP_4) | instid1(VALU_DEP_2)
	v_add_f64_e32 v[48:49], v[18:19], v[48:49]
	ds_load_b128 v[16:19], v99 offset:2560
	s_wait_dscnt 0x0
	v_mul_f64_e32 v[20:21], v[6:7], v[18:19]
	v_mul_f64_e32 v[22:23], v[4:5], v[18:19]
	v_fma_f64 v[20:21], v[4:5], v[16:17], -v[20:21]
	s_delay_alu instid0(VALU_DEP_2) | instskip(NEXT) | instid1(VALU_DEP_2)
	v_fmac_f64_e32 v[22:23], v[6:7], v[16:17]
	v_add_f64_e32 v[110:111], v[42:43], v[20:21]
	s_delay_alu instid0(VALU_DEP_2) | instskip(SKIP_3) | instid1(VALU_DEP_1)
	v_add_f64_e32 v[44:45], v[22:23], v[44:45]
	ds_load_b128 v[20:23], v99 offset:2816
	s_wait_dscnt 0x0
	v_mul_f64_e32 v[42:43], v[6:7], v[22:23]
	v_fma_f64 v[42:43], v[4:5], v[20:21], -v[42:43]
	v_mul_f64_e32 v[4:5], v[4:5], v[22:23]
	s_delay_alu instid0(VALU_DEP_2) | instskip(NEXT) | instid1(VALU_DEP_2)
	v_add_f64_e32 v[112:113], v[38:39], v[42:43]
	v_fmac_f64_e32 v[4:5], v[6:7], v[20:21]
	s_delay_alu instid0(VALU_DEP_1) | instskip(SKIP_4) | instid1(VALU_DEP_2)
	v_add_f64_e32 v[114:115], v[4:5], v[40:41]
	ds_load_b128 v[4:7], v98 offset:1056
	s_wait_dscnt 0x0
	v_mul_f64_e32 v[38:39], v[6:7], v[10:11]
	v_mul_f64_e32 v[40:41], v[4:5], v[10:11]
	v_fma_f64 v[38:39], v[4:5], v[8:9], -v[38:39]
	s_delay_alu instid0(VALU_DEP_2) | instskip(NEXT) | instid1(VALU_DEP_2)
	v_fmac_f64_e32 v[40:41], v[6:7], v[8:9]
	v_add_f64_e32 v[70:71], v[70:71], v[38:39]
	v_mul_f64_e32 v[38:39], v[6:7], v[14:15]
	s_delay_alu instid0(VALU_DEP_3) | instskip(SKIP_1) | instid1(VALU_DEP_3)
	v_add_f64_e32 v[72:73], v[40:41], v[72:73]
	v_mul_f64_e32 v[40:41], v[4:5], v[14:15]
	v_fma_f64 v[38:39], v[4:5], v[12:13], -v[38:39]
	s_delay_alu instid0(VALU_DEP_2) | instskip(NEXT) | instid1(VALU_DEP_2)
	v_fmac_f64_e32 v[40:41], v[6:7], v[12:13]
	v_add_f64_e32 v[74:75], v[74:75], v[38:39]
	v_mul_f64_e32 v[38:39], v[6:7], v[18:19]
	s_delay_alu instid0(VALU_DEP_3) | instskip(SKIP_1) | instid1(VALU_DEP_3)
	v_add_f64_e32 v[76:77], v[40:41], v[76:77]
	v_mul_f64_e32 v[40:41], v[4:5], v[18:19]
	v_fma_f64 v[38:39], v[4:5], v[16:17], -v[38:39]
	s_delay_alu instid0(VALU_DEP_2) | instskip(NEXT) | instid1(VALU_DEP_2)
	v_fmac_f64_e32 v[40:41], v[6:7], v[16:17]
	v_add_f64_e32 v[116:117], v[78:79], v[38:39]
	v_mul_f64_e32 v[38:39], v[6:7], v[22:23]
	s_delay_alu instid0(VALU_DEP_3) | instskip(NEXT) | instid1(VALU_DEP_2)
	v_add_f64_e32 v[118:119], v[40:41], v[80:81]
	v_fma_f64 v[38:39], v[4:5], v[20:21], -v[38:39]
	v_mul_f64_e32 v[4:5], v[4:5], v[22:23]
	s_delay_alu instid0(VALU_DEP_2) | instskip(NEXT) | instid1(VALU_DEP_2)
	v_add_f64_e32 v[120:121], v[82:83], v[38:39]
	v_fmac_f64_e32 v[4:5], v[6:7], v[20:21]
	s_delay_alu instid0(VALU_DEP_1) | instskip(SKIP_4) | instid1(VALU_DEP_2)
	v_add_f64_e32 v[122:123], v[4:5], v[84:85]
	ds_load_b128 v[4:7], v98 offset:2080
	s_wait_dscnt 0x0
	v_mul_f64_e32 v[38:39], v[6:7], v[10:11]
	v_mul_f64_e32 v[40:41], v[4:5], v[10:11]
	v_fma_f64 v[38:39], v[4:5], v[8:9], -v[38:39]
	s_delay_alu instid0(VALU_DEP_2) | instskip(NEXT) | instid1(VALU_DEP_2)
	v_fmac_f64_e32 v[40:41], v[6:7], v[8:9]
	v_add_f64_e32 v[124:125], v[90:91], v[38:39]
	v_mul_f64_e32 v[38:39], v[6:7], v[14:15]
	s_delay_alu instid0(VALU_DEP_3) | instskip(SKIP_1) | instid1(VALU_DEP_3)
	v_add_f64_e32 v[126:127], v[40:41], v[92:93]
	v_mul_f64_e32 v[40:41], v[4:5], v[14:15]
	v_fma_f64 v[38:39], v[4:5], v[12:13], -v[38:39]
	s_delay_alu instid0(VALU_DEP_2) | instskip(NEXT) | instid1(VALU_DEP_2)
	v_fmac_f64_e32 v[40:41], v[6:7], v[12:13]
	v_add_f64_e32 v[128:129], v[94:95], v[38:39]
	v_mul_f64_e32 v[38:39], v[6:7], v[18:19]
	s_delay_alu instid0(VALU_DEP_3) | instskip(SKIP_1) | instid1(VALU_DEP_3)
	v_add_f64_e32 v[130:131], v[40:41], v[96:97]
	v_mul_f64_e32 v[40:41], v[4:5], v[18:19]
	v_fma_f64 v[38:39], v[4:5], v[16:17], -v[38:39]
	s_delay_alu instid0(VALU_DEP_2) | instskip(NEXT) | instid1(VALU_DEP_2)
	v_fmac_f64_e32 v[40:41], v[6:7], v[16:17]
	v_add_f64_e32 v[102:103], v[102:103], v[38:39]
	v_mul_f64_e32 v[38:39], v[6:7], v[22:23]
	s_delay_alu instid0(VALU_DEP_3) | instskip(NEXT) | instid1(VALU_DEP_2)
	v_add_f64_e32 v[104:105], v[40:41], v[104:105]
	v_fma_f64 v[38:39], v[4:5], v[20:21], -v[38:39]
	v_mul_f64_e32 v[4:5], v[4:5], v[22:23]
	s_delay_alu instid0(VALU_DEP_2) | instskip(NEXT) | instid1(VALU_DEP_2)
	v_add_f64_e32 v[106:107], v[106:107], v[38:39]
	v_fmac_f64_e32 v[4:5], v[6:7], v[20:21]
	s_delay_alu instid0(VALU_DEP_1) | instskip(SKIP_4) | instid1(VALU_DEP_2)
	v_add_f64_e32 v[108:109], v[4:5], v[108:109]
	ds_load_b128 v[4:7], v98 offset:3104
	s_wait_dscnt 0x0
	v_mul_f64_e32 v[38:39], v[6:7], v[10:11]
	v_mul_f64_e32 v[10:11], v[4:5], v[10:11]
	v_fma_f64 v[38:39], v[4:5], v[8:9], -v[38:39]
	s_delay_alu instid0(VALU_DEP_2) | instskip(SKIP_1) | instid1(VALU_DEP_3)
	v_fmac_f64_e32 v[10:11], v[6:7], v[8:9]
	v_mul_f64_e32 v[8:9], v[6:7], v[14:15]
	v_add_f64_e32 v[94:95], v[66:67], v[38:39]
	s_delay_alu instid0(VALU_DEP_3) | instskip(NEXT) | instid1(VALU_DEP_3)
	v_add_f64_e32 v[96:97], v[10:11], v[68:69]
	v_fma_f64 v[8:9], v[4:5], v[12:13], -v[8:9]
	v_mul_f64_e32 v[10:11], v[4:5], v[14:15]
	s_delay_alu instid0(VALU_DEP_2) | instskip(SKIP_1) | instid1(VALU_DEP_3)
	v_add_f64_e32 v[90:91], v[62:63], v[8:9]
	v_mul_f64_e32 v[8:9], v[6:7], v[18:19]
	v_fmac_f64_e32 v[10:11], v[6:7], v[12:13]
	ds_load_b128 v[12:15], v99 offset:3328
	v_fma_f64 v[8:9], v[4:5], v[16:17], -v[8:9]
	v_add_f64_e32 v[92:93], v[10:11], v[64:65]
	v_mul_f64_e32 v[10:11], v[4:5], v[18:19]
	s_delay_alu instid0(VALU_DEP_3) | instskip(SKIP_1) | instid1(VALU_DEP_3)
	v_add_f64_e32 v[86:87], v[58:59], v[8:9]
	v_mul_f64_e32 v[8:9], v[6:7], v[22:23]
	v_fmac_f64_e32 v[10:11], v[6:7], v[16:17]
	ds_load_b128 v[16:19], v99 offset:3072
	v_fma_f64 v[8:9], v[4:5], v[20:21], -v[8:9]
	v_mul_f64_e32 v[4:5], v[4:5], v[22:23]
	v_add_f64_e32 v[88:89], v[10:11], v[60:61]
	s_delay_alu instid0(VALU_DEP_3) | instskip(NEXT) | instid1(VALU_DEP_3)
	v_add_f64_e32 v[82:83], v[54:55], v[8:9]
	v_fmac_f64_e32 v[4:5], v[6:7], v[20:21]
	s_wait_dscnt 0x0
	v_mul_f64_e32 v[6:7], v[0:1], v[18:19]
	ds_load_b128 v[8:11], v99 offset:3584
	v_add_f64_e32 v[84:85], v[4:5], v[56:57]
	v_mul_f64_e32 v[4:5], v[2:3], v[18:19]
	v_fmac_f64_e32 v[6:7], v[2:3], v[16:17]
	s_delay_alu instid0(VALU_DEP_2) | instskip(NEXT) | instid1(VALU_DEP_2)
	v_fma_f64 v[4:5], v[0:1], v[16:17], -v[4:5]
	v_add_f64_e32 v[60:61], v[6:7], v[52:53]
	v_mul_f64_e32 v[6:7], v[0:1], v[14:15]
	s_delay_alu instid0(VALU_DEP_3) | instskip(SKIP_1) | instid1(VALU_DEP_3)
	v_add_f64_e32 v[58:59], v[50:51], v[4:5]
	v_mul_f64_e32 v[4:5], v[2:3], v[14:15]
	v_fmac_f64_e32 v[6:7], v[2:3], v[12:13]
	s_delay_alu instid0(VALU_DEP_2) | instskip(NEXT) | instid1(VALU_DEP_1)
	v_fma_f64 v[4:5], v[0:1], v[12:13], -v[4:5]
	v_add_f64_e32 v[42:43], v[46:47], v[4:5]
	s_delay_alu instid0(VALU_DEP_3) | instskip(SKIP_3) | instid1(VALU_DEP_2)
	v_add_f64_e32 v[46:47], v[6:7], v[48:49]
	s_wait_dscnt 0x0
	v_mul_f64_e32 v[4:5], v[2:3], v[10:11]
	v_mul_f64_e32 v[6:7], v[0:1], v[10:11]
	v_fma_f64 v[4:5], v[0:1], v[8:9], -v[4:5]
	s_delay_alu instid0(VALU_DEP_2) | instskip(NEXT) | instid1(VALU_DEP_2)
	v_fmac_f64_e32 v[6:7], v[2:3], v[8:9]
	v_add_f64_e32 v[38:39], v[110:111], v[4:5]
	s_delay_alu instid0(VALU_DEP_2) | instskip(SKIP_3) | instid1(VALU_DEP_1)
	v_add_f64_e32 v[40:41], v[6:7], v[44:45]
	ds_load_b128 v[4:7], v99 offset:3840
	s_wait_dscnt 0x0
	v_mul_f64_e32 v[20:21], v[2:3], v[6:7]
	v_fma_f64 v[20:21], v[0:1], v[4:5], -v[20:21]
	v_mul_f64_e32 v[0:1], v[0:1], v[6:7]
	s_delay_alu instid0(VALU_DEP_2) | instskip(NEXT) | instid1(VALU_DEP_2)
	v_add_f64_e32 v[20:21], v[112:113], v[20:21]
	v_fmac_f64_e32 v[0:1], v[2:3], v[4:5]
	s_delay_alu instid0(VALU_DEP_1) | instskip(SKIP_4) | instid1(VALU_DEP_2)
	v_add_f64_e32 v[22:23], v[0:1], v[114:115]
	ds_load_b128 v[0:3], v98 offset:1072
	s_wait_dscnt 0x0
	v_mul_f64_e32 v[44:45], v[2:3], v[18:19]
	v_mul_f64_e32 v[48:49], v[0:1], v[18:19]
	v_fma_f64 v[44:45], v[0:1], v[16:17], -v[44:45]
	s_delay_alu instid0(VALU_DEP_2) | instskip(NEXT) | instid1(VALU_DEP_2)
	v_fmac_f64_e32 v[48:49], v[2:3], v[16:17]
	v_add_f64_e32 v[78:79], v[70:71], v[44:45]
	v_mul_f64_e32 v[44:45], v[2:3], v[14:15]
	s_delay_alu instid0(VALU_DEP_3) | instskip(SKIP_1) | instid1(VALU_DEP_3)
	v_add_f64_e32 v[80:81], v[48:49], v[72:73]
	v_mul_f64_e32 v[48:49], v[0:1], v[14:15]
	v_fma_f64 v[44:45], v[0:1], v[12:13], -v[44:45]
	s_delay_alu instid0(VALU_DEP_2) | instskip(NEXT) | instid1(VALU_DEP_2)
	v_fmac_f64_e32 v[48:49], v[2:3], v[12:13]
	v_add_f64_e32 v[70:71], v[74:75], v[44:45]
	v_mul_f64_e32 v[44:45], v[2:3], v[10:11]
	s_delay_alu instid0(VALU_DEP_3) | instskip(SKIP_1) | instid1(VALU_DEP_3)
	v_add_f64_e32 v[74:75], v[48:49], v[76:77]
	v_mul_f64_e32 v[48:49], v[0:1], v[10:11]
	v_fma_f64 v[44:45], v[0:1], v[8:9], -v[44:45]
	s_delay_alu instid0(VALU_DEP_2) | instskip(NEXT) | instid1(VALU_DEP_2)
	v_fmac_f64_e32 v[48:49], v[2:3], v[8:9]
	v_add_f64_e32 v[62:63], v[116:117], v[44:45]
	v_mul_f64_e32 v[44:45], v[2:3], v[6:7]
	s_delay_alu instid0(VALU_DEP_3) | instskip(NEXT) | instid1(VALU_DEP_2)
	v_add_f64_e32 v[66:67], v[48:49], v[118:119]
	v_fma_f64 v[44:45], v[0:1], v[4:5], -v[44:45]
	v_mul_f64_e32 v[0:1], v[0:1], v[6:7]
	s_delay_alu instid0(VALU_DEP_2) | instskip(NEXT) | instid1(VALU_DEP_2)
	v_add_f64_e32 v[50:51], v[120:121], v[44:45]
	v_fmac_f64_e32 v[0:1], v[2:3], v[4:5]
	s_delay_alu instid0(VALU_DEP_1) | instskip(SKIP_4) | instid1(VALU_DEP_2)
	v_add_f64_e32 v[54:55], v[0:1], v[122:123]
	ds_load_b128 v[0:3], v98 offset:2096
	s_wait_dscnt 0x0
	v_mul_f64_e32 v[44:45], v[2:3], v[18:19]
	v_mul_f64_e32 v[48:49], v[0:1], v[18:19]
	v_fma_f64 v[44:45], v[0:1], v[16:17], -v[44:45]
	s_delay_alu instid0(VALU_DEP_2) | instskip(NEXT) | instid1(VALU_DEP_2)
	v_fmac_f64_e32 v[48:49], v[2:3], v[16:17]
	v_add_f64_e32 v[72:73], v[124:125], v[44:45]
	v_mul_f64_e32 v[44:45], v[2:3], v[14:15]
	s_delay_alu instid0(VALU_DEP_3) | instskip(SKIP_1) | instid1(VALU_DEP_3)
	v_add_f64_e32 v[76:77], v[48:49], v[126:127]
	v_mul_f64_e32 v[48:49], v[0:1], v[14:15]
	v_fma_f64 v[44:45], v[0:1], v[12:13], -v[44:45]
	s_delay_alu instid0(VALU_DEP_2) | instskip(NEXT) | instid1(VALU_DEP_2)
	v_fmac_f64_e32 v[48:49], v[2:3], v[12:13]
	v_add_f64_e32 v[64:65], v[128:129], v[44:45]
	v_mul_f64_e32 v[44:45], v[2:3], v[10:11]
	s_delay_alu instid0(VALU_DEP_3) | instskip(SKIP_1) | instid1(VALU_DEP_3)
	v_add_f64_e32 v[68:69], v[48:49], v[130:131]
	v_mul_f64_e32 v[48:49], v[0:1], v[10:11]
	v_fma_f64 v[44:45], v[0:1], v[8:9], -v[44:45]
	s_delay_alu instid0(VALU_DEP_2) | instskip(NEXT) | instid1(VALU_DEP_2)
	v_fmac_f64_e32 v[48:49], v[2:3], v[8:9]
	v_add_f64_e32 v[52:53], v[102:103], v[44:45]
	v_mul_f64_e32 v[44:45], v[2:3], v[6:7]
	s_delay_alu instid0(VALU_DEP_3) | instskip(NEXT) | instid1(VALU_DEP_2)
	v_add_f64_e32 v[56:57], v[48:49], v[104:105]
	v_fma_f64 v[44:45], v[0:1], v[4:5], -v[44:45]
	v_mul_f64_e32 v[0:1], v[0:1], v[6:7]
	s_delay_alu instid0(VALU_DEP_2) | instskip(NEXT) | instid1(VALU_DEP_2)
	v_add_f64_e32 v[44:45], v[106:107], v[44:45]
	v_fmac_f64_e32 v[0:1], v[2:3], v[4:5]
	s_delay_alu instid0(VALU_DEP_1)
	v_add_f64_e32 v[48:49], v[0:1], v[108:109]
	ds_load_b128 v[0:3], v98 offset:3120
	s_wait_dscnt 0x0
	s_barrier_signal -1
	s_barrier_wait -1
	v_mul_f64_e32 v[102:103], v[2:3], v[18:19]
	v_mul_f64_e32 v[18:19], v[0:1], v[18:19]
	s_delay_alu instid0(VALU_DEP_2) | instskip(NEXT) | instid1(VALU_DEP_2)
	v_fma_f64 v[102:103], v[0:1], v[16:17], -v[102:103]
	v_fmac_f64_e32 v[18:19], v[2:3], v[16:17]
	s_delay_alu instid0(VALU_DEP_2) | instskip(SKIP_2) | instid1(VALU_DEP_4)
	v_add_f64_e32 v[16:17], v[94:95], v[102:103]
	v_mul_f64_e32 v[94:95], v[2:3], v[14:15]
	v_mul_f64_e32 v[14:15], v[0:1], v[14:15]
	v_add_f64_e32 v[18:19], v[18:19], v[96:97]
	s_delay_alu instid0(VALU_DEP_3) | instskip(NEXT) | instid1(VALU_DEP_3)
	v_fma_f64 v[94:95], v[0:1], v[12:13], -v[94:95]
	v_fmac_f64_e32 v[14:15], v[2:3], v[12:13]
	s_delay_alu instid0(VALU_DEP_2) | instskip(SKIP_2) | instid1(VALU_DEP_4)
	v_add_f64_e32 v[12:13], v[90:91], v[94:95]
	v_mul_f64_e32 v[90:91], v[2:3], v[10:11]
	v_mul_f64_e32 v[10:11], v[0:1], v[10:11]
	v_add_f64_e32 v[14:15], v[14:15], v[92:93]
	s_delay_alu instid0(VALU_DEP_3) | instskip(NEXT) | instid1(VALU_DEP_3)
	v_fma_f64 v[90:91], v[0:1], v[8:9], -v[90:91]
	v_fmac_f64_e32 v[10:11], v[2:3], v[8:9]
	s_delay_alu instid0(VALU_DEP_2) | instskip(SKIP_1) | instid1(VALU_DEP_3)
	v_add_f64_e32 v[8:9], v[86:87], v[90:91]
	v_mul_f64_e32 v[86:87], v[2:3], v[6:7]
	v_add_f64_e32 v[10:11], v[10:11], v[88:89]
	s_delay_alu instid0(VALU_DEP_2) | instskip(SKIP_1) | instid1(VALU_DEP_2)
	v_fma_f64 v[86:87], v[0:1], v[4:5], -v[86:87]
	v_mul_f64_e32 v[0:1], v[0:1], v[6:7]
	v_add_f64_e32 v[82:83], v[82:83], v[86:87]
	s_delay_alu instid0(VALU_DEP_2) | instskip(NEXT) | instid1(VALU_DEP_1)
	v_fmac_f64_e32 v[0:1], v[2:3], v[4:5]
	v_add_f64_e32 v[84:85], v[0:1], v[84:85]
	s_cbranch_vccnz .LBB533_5
	s_branch .LBB533_7
.LBB533_6:                              ;   in Loop: Header=BB533_3 Depth=1
	v_mov_b64_e32 v[58:59], 0
	v_mov_b64_e32 v[60:61], 0
	;; [unrolled: 1-line block ×32, first 2 shown]
.LBB533_7:                              ;   in Loop: Header=BB533_3 Depth=1
	s_wait_kmcnt 0x0
	s_mul_u64 s[22:23], s[12:13], s[2:3]
	s_and_not1_b32 vcc_lo, exec_lo, s1
	s_lshl_b64 s[22:23], s[22:23], 4
	s_mov_b32 s25, -1
	s_add_nc_u64 s[22:23], s[48:49], s[22:23]
                                        ; implicit-def: $vgpr0_vgpr1
                                        ; implicit-def: $vgpr2_vgpr3
	s_cbranch_vccz .LBB533_9
; %bb.8:                                ;   in Loop: Header=BB533_3 Depth=1
	s_and_not1_b32 vcc_lo, exec_lo, s25
	s_cbranch_vccnz .LBB533_2
	s_branch .LBB533_10
.LBB533_9:                              ;   in Loop: Header=BB533_3 Depth=1
	s_wait_xcnt 0x0
	v_mul_f64_e32 v[0:1], s[8:9], v[60:61]
	v_mul_f64_e32 v[2:3], s[6:7], v[60:61]
	;; [unrolled: 1-line block ×8, first 2 shown]
	v_lshlrev_b64_e32 v[130:131], 4, v[26:27]
	v_lshl_add_u64 v[122:123], v[24:25], 4, s[22:23]
	v_mul_f64_e32 v[92:93], s[8:9], v[80:81]
	v_mul_f64_e32 v[90:91], s[6:7], v[80:81]
	;; [unrolled: 1-line block ×5, first 2 shown]
	v_add_nc_u64_e32 v[112:113], v[122:123], v[130:131]
	v_mul_f64_e32 v[104:105], s[6:7], v[66:67]
	v_mul_f64_e32 v[106:107], s[8:9], v[54:55]
	;; [unrolled: 1-line block ×13, first 2 shown]
	v_fma_f64 v[0:1], s[6:7], v[58:59], -v[0:1]
	v_fmac_f64_e32 v[2:3], s[8:9], v[58:59]
	v_fma_f64 v[4:5], s[6:7], v[42:43], -v[4:5]
	v_fmac_f64_e32 v[6:7], s[8:9], v[42:43]
	;; [unrolled: 2-line block ×4, first 2 shown]
	v_fmac_f64_e32 v[90:91], s[8:9], v[78:79]
	v_fmac_f64_e32 v[94:95], s[8:9], v[70:71]
	v_fma_f64 v[102:103], s[6:7], v[62:63], -v[102:103]
	v_fmac_f64_e32 v[104:105], s[8:9], v[62:63]
	v_fma_f64 v[106:107], s[6:7], v[50:51], -v[106:107]
	v_fmac_f64_e32 v[108:109], s[8:9], v[50:51]
	v_fmac_f64_e32 v[128:129], s[8:9], v[8:9]
	v_fmac_f64_e32 v[116:117], s[8:9], v[44:45]
	v_fmac_f64_e32 v[120:121], s[8:9], v[16:17]
	v_fmac_f64_e32 v[124:125], s[8:9], v[12:13]
	global_store_b128 v[112:113], v[0:3], off
	s_wait_xcnt 0x0
	v_mul_f64_e32 v[0:1], s[6:7], v[84:85]
	global_store_b128 v[112:113], v[4:7], off offset:256
	s_wait_xcnt 0x0
	v_mul_f64_e32 v[4:5], s[6:7], v[76:77]
	global_store_b128 v[112:113], v[34:37], off offset:512
	;; [unrolled: 3-line block ×3, first 2 shown]
	s_wait_xcnt 0x0
	v_mul_f64_e32 v[112:113], s[6:7], v[56:57]
	v_mul_f64_e32 v[6:7], s[8:9], v[10:11]
	v_mul_f64_e32 v[86:87], s[8:9], v[84:85]
	v_fma_f64 v[88:89], s[6:7], v[78:79], -v[92:93]
	v_fma_f64 v[92:93], s[6:7], v[70:71], -v[96:97]
	v_fma_f64 v[2:3], s[6:7], v[72:73], -v[110:111]
	v_add_nc_u64_e32 v[96:97], s[20:21], v[122:123]
	v_fma_f64 v[34:35], s[6:7], v[64:65], -v[114:115]
	v_fma_f64 v[110:111], s[6:7], v[52:53], -v[118:119]
	;; [unrolled: 1-line block ×5, first 2 shown]
	v_fmac_f64_e32 v[0:1], s[8:9], v[82:83]
	v_fmac_f64_e32 v[4:5], s[8:9], v[72:73]
	;; [unrolled: 1-line block ×4, first 2 shown]
	v_fma_f64 v[126:127], s[6:7], v[8:9], -v[6:7]
	v_fma_f64 v[6:7], s[6:7], v[82:83], -v[86:87]
	v_add_nc_u64_e32 v[86:87], s[20:21], v[96:97]
	v_add_nc_u64_e32 v[96:97], v[96:97], v[130:131]
	s_delay_alu instid0(VALU_DEP_2)
	v_add_nc_u64_e32 v[132:133], s[20:21], v[86:87]
	v_add_nc_u64_e32 v[86:87], v[86:87], v[130:131]
	s_clause 0x5
	global_store_b128 v[96:97], v[88:91], off
	global_store_b128 v[96:97], v[92:95], off offset:256
	global_store_b128 v[96:97], v[102:105], off offset:512
	;; [unrolled: 1-line block ×3, first 2 shown]
	global_store_b128 v[86:87], v[2:5], off
	global_store_b128 v[86:87], v[34:37], off offset:256
	v_add_nc_u64_e32 v[130:131], v[132:133], v[130:131]
	s_clause 0x3
	global_store_b128 v[86:87], v[110:113], off offset:512
	global_store_b128 v[86:87], v[114:117], off offset:768
	global_store_b128 v[130:131], v[118:121], off
	global_store_b128 v[130:131], v[122:125], off offset:256
	s_wait_xcnt 0x5
	v_add_nc_u64_e32 v[2:3], 0x300, v[130:131]
	s_clause 0x1
	global_store_b128 v[130:131], v[126:129], off offset:512
	global_store_b64 v[130:131], v[6:7], off offset:768
	s_cbranch_execnz .LBB533_2
.LBB533_10:                             ;   in Loop: Header=BB533_3 Depth=1
	s_mul_u64 s[26:27], s[46:47], s[2:3]
	s_wait_xcnt 0x1
	v_lshlrev_b64_e32 v[4:5], 4, v[26:27]
	s_wait_xcnt 0x0
	v_lshl_add_u64 v[6:7], s[26:27], 4, v[28:29]
	v_mul_f64_e32 v[36:37], s[8:9], v[60:61]
	v_mul_f64_e32 v[60:61], s[6:7], v[60:61]
	s_delay_alu instid0(VALU_DEP_3)
	v_add_nc_u64_e32 v[34:35], v[6:7], v[4:5]
	v_add_nc_u64_e32 v[6:7], s[18:19], v[6:7]
	global_load_b128 v[0:3], v[34:35], off
	v_fma_f64 v[36:37], s[6:7], v[58:59], -v[36:37]
	v_fmac_f64_e32 v[60:61], s[8:9], v[58:59]
	s_wait_loadcnt 0x0
	v_mul_f64_e32 v[86:87], s[40:41], v[2:3]
	v_mul_f64_e32 v[2:3], s[38:39], v[2:3]
	s_delay_alu instid0(VALU_DEP_2) | instskip(NEXT) | instid1(VALU_DEP_2)
	v_fma_f64 v[58:59], s[38:39], v[0:1], -v[86:87]
	v_fmac_f64_e32 v[2:3], s[40:41], v[0:1]
	s_delay_alu instid0(VALU_DEP_2) | instskip(NEXT) | instid1(VALU_DEP_2)
	v_add_f64_e32 v[0:1], v[36:37], v[58:59]
	v_add_f64_e32 v[2:3], v[60:61], v[2:3]
	v_lshl_add_u64 v[36:37], v[24:25], 4, s[22:23]
	v_mul_f64_e32 v[60:61], s[8:9], v[46:47]
	v_mul_f64_e32 v[46:47], s[6:7], v[46:47]
	s_delay_alu instid0(VALU_DEP_3)
	v_add_nc_u64_e32 v[58:59], v[36:37], v[4:5]
	global_store_b128 v[58:59], v[0:3], off
	global_load_b128 v[0:3], v[34:35], off offset:256
	v_fma_f64 v[60:61], s[6:7], v[42:43], -v[60:61]
	v_fmac_f64_e32 v[46:47], s[8:9], v[42:43]
	s_wait_loadcnt 0x0
	v_mul_f64_e32 v[86:87], s[40:41], v[2:3]
	v_mul_f64_e32 v[2:3], s[38:39], v[2:3]
	s_delay_alu instid0(VALU_DEP_2) | instskip(NEXT) | instid1(VALU_DEP_2)
	v_fma_f64 v[42:43], s[38:39], v[0:1], -v[86:87]
	v_fmac_f64_e32 v[2:3], s[40:41], v[0:1]
	s_delay_alu instid0(VALU_DEP_2) | instskip(NEXT) | instid1(VALU_DEP_2)
	v_add_f64_e32 v[0:1], v[60:61], v[42:43]
	v_add_f64_e32 v[2:3], v[46:47], v[2:3]
	v_mul_f64_e32 v[42:43], s[8:9], v[40:41]
	v_mul_f64_e32 v[40:41], s[6:7], v[40:41]
	global_store_b128 v[58:59], v[0:3], off offset:256
	global_load_b128 v[0:3], v[34:35], off offset:512
	v_fma_f64 v[42:43], s[6:7], v[38:39], -v[42:43]
	v_fmac_f64_e32 v[40:41], s[8:9], v[38:39]
	s_wait_loadcnt 0x0
	v_mul_f64_e32 v[46:47], s[40:41], v[2:3]
	v_mul_f64_e32 v[2:3], s[38:39], v[2:3]
	s_delay_alu instid0(VALU_DEP_2) | instskip(NEXT) | instid1(VALU_DEP_2)
	v_fma_f64 v[38:39], s[38:39], v[0:1], -v[46:47]
	v_fmac_f64_e32 v[2:3], s[40:41], v[0:1]
	s_delay_alu instid0(VALU_DEP_2) | instskip(NEXT) | instid1(VALU_DEP_2)
	v_add_f64_e32 v[0:1], v[42:43], v[38:39]
	v_add_f64_e32 v[2:3], v[40:41], v[2:3]
	global_store_b128 v[58:59], v[0:3], off offset:512
	global_load_b128 v[0:3], v[34:35], off offset:768
	s_wait_xcnt 0x0
	v_mul_f64_e32 v[34:35], s[8:9], v[22:23]
	v_mul_f64_e32 v[22:23], s[6:7], v[22:23]
	s_delay_alu instid0(VALU_DEP_2) | instskip(NEXT) | instid1(VALU_DEP_2)
	v_fma_f64 v[34:35], s[6:7], v[20:21], -v[34:35]
	v_fmac_f64_e32 v[22:23], s[8:9], v[20:21]
	s_wait_loadcnt 0x0
	v_mul_f64_e32 v[38:39], s[40:41], v[2:3]
	v_mul_f64_e32 v[2:3], s[38:39], v[2:3]
	s_delay_alu instid0(VALU_DEP_2) | instskip(NEXT) | instid1(VALU_DEP_2)
	v_fma_f64 v[20:21], s[38:39], v[0:1], -v[38:39]
	v_fmac_f64_e32 v[2:3], s[40:41], v[0:1]
	s_delay_alu instid0(VALU_DEP_2) | instskip(NEXT) | instid1(VALU_DEP_2)
	v_add_f64_e32 v[0:1], v[34:35], v[20:21]
	v_add_f64_e32 v[2:3], v[22:23], v[2:3]
	v_add_nc_u64_e32 v[20:21], v[6:7], v[4:5]
	v_mul_f64_e32 v[22:23], s[8:9], v[80:81]
	v_mul_f64_e32 v[34:35], s[6:7], v[80:81]
	v_add_nc_u64_e32 v[6:7], s[18:19], v[6:7]
	global_store_b128 v[58:59], v[0:3], off offset:768
	global_load_b128 v[0:3], v[20:21], off
	v_fma_f64 v[22:23], s[6:7], v[78:79], -v[22:23]
	v_fmac_f64_e32 v[34:35], s[8:9], v[78:79]
	s_wait_loadcnt 0x0
	v_mul_f64_e32 v[38:39], s[40:41], v[2:3]
	v_mul_f64_e32 v[2:3], s[38:39], v[2:3]
	s_delay_alu instid0(VALU_DEP_2) | instskip(NEXT) | instid1(VALU_DEP_2)
	v_fma_f64 v[38:39], s[38:39], v[0:1], -v[38:39]
	v_fmac_f64_e32 v[2:3], s[40:41], v[0:1]
	s_delay_alu instid0(VALU_DEP_2) | instskip(NEXT) | instid1(VALU_DEP_2)
	v_add_f64_e32 v[0:1], v[22:23], v[38:39]
	v_add_f64_e32 v[2:3], v[34:35], v[2:3]
	v_add_nc_u64_e32 v[22:23], s[20:21], v[36:37]
	v_mul_f64_e32 v[36:37], s[8:9], v[74:75]
	v_mul_f64_e32 v[38:39], s[6:7], v[74:75]
	s_delay_alu instid0(VALU_DEP_3)
	v_add_nc_u64_e32 v[34:35], v[22:23], v[4:5]
	v_add_nc_u64_e32 v[22:23], s[20:21], v[22:23]
	global_store_b128 v[34:35], v[0:3], off
	global_load_b128 v[0:3], v[20:21], off offset:256
	v_fma_f64 v[36:37], s[6:7], v[70:71], -v[36:37]
	v_fmac_f64_e32 v[38:39], s[8:9], v[70:71]
	s_wait_loadcnt 0x0
	v_mul_f64_e32 v[40:41], s[40:41], v[2:3]
	v_mul_f64_e32 v[2:3], s[38:39], v[2:3]
	s_delay_alu instid0(VALU_DEP_2) | instskip(NEXT) | instid1(VALU_DEP_2)
	v_fma_f64 v[40:41], s[38:39], v[0:1], -v[40:41]
	v_fmac_f64_e32 v[2:3], s[40:41], v[0:1]
	s_delay_alu instid0(VALU_DEP_2) | instskip(NEXT) | instid1(VALU_DEP_2)
	v_add_f64_e32 v[0:1], v[36:37], v[40:41]
	v_add_f64_e32 v[2:3], v[38:39], v[2:3]
	v_mul_f64_e32 v[36:37], s[8:9], v[66:67]
	v_mul_f64_e32 v[38:39], s[6:7], v[66:67]
	global_store_b128 v[34:35], v[0:3], off offset:256
	global_load_b128 v[0:3], v[20:21], off offset:512
	v_fma_f64 v[36:37], s[6:7], v[62:63], -v[36:37]
	v_fmac_f64_e32 v[38:39], s[8:9], v[62:63]
	s_wait_loadcnt 0x0
	v_mul_f64_e32 v[40:41], s[40:41], v[2:3]
	v_mul_f64_e32 v[2:3], s[38:39], v[2:3]
	s_delay_alu instid0(VALU_DEP_2) | instskip(NEXT) | instid1(VALU_DEP_2)
	v_fma_f64 v[40:41], s[38:39], v[0:1], -v[40:41]
	v_fmac_f64_e32 v[2:3], s[40:41], v[0:1]
	s_delay_alu instid0(VALU_DEP_2) | instskip(NEXT) | instid1(VALU_DEP_2)
	v_add_f64_e32 v[0:1], v[36:37], v[40:41]
	v_add_f64_e32 v[2:3], v[38:39], v[2:3]
	v_mul_f64_e32 v[36:37], s[6:7], v[54:55]
	global_store_b128 v[34:35], v[0:3], off offset:512
	global_load_b128 v[0:3], v[20:21], off offset:768
	s_wait_xcnt 0x0
	v_mul_f64_e32 v[20:21], s[8:9], v[54:55]
	v_fmac_f64_e32 v[36:37], s[8:9], v[50:51]
	s_delay_alu instid0(VALU_DEP_2) | instskip(SKIP_3) | instid1(VALU_DEP_2)
	v_fma_f64 v[20:21], s[6:7], v[50:51], -v[20:21]
	s_wait_loadcnt 0x0
	v_mul_f64_e32 v[38:39], s[40:41], v[2:3]
	v_mul_f64_e32 v[2:3], s[38:39], v[2:3]
	v_fma_f64 v[38:39], s[38:39], v[0:1], -v[38:39]
	s_delay_alu instid0(VALU_DEP_2) | instskip(NEXT) | instid1(VALU_DEP_2)
	v_fmac_f64_e32 v[2:3], s[40:41], v[0:1]
	v_add_f64_e32 v[0:1], v[20:21], v[38:39]
	s_delay_alu instid0(VALU_DEP_2) | instskip(SKIP_3) | instid1(VALU_DEP_1)
	v_add_f64_e32 v[2:3], v[36:37], v[2:3]
	v_add_nc_u64_e32 v[20:21], v[6:7], v[4:5]
	v_mul_f64_e32 v[36:37], s[6:7], v[76:77]
	v_add_nc_u64_e32 v[6:7], s[18:19], v[6:7]
	v_add_nc_u64_e32 v[6:7], v[6:7], v[4:5]
	global_store_b128 v[34:35], v[0:3], off offset:768
	global_load_b128 v[0:3], v[20:21], off
	v_mul_f64_e32 v[34:35], s[8:9], v[76:77]
	v_fmac_f64_e32 v[36:37], s[8:9], v[72:73]
	s_delay_alu instid0(VALU_DEP_2) | instskip(SKIP_3) | instid1(VALU_DEP_2)
	v_fma_f64 v[34:35], s[6:7], v[72:73], -v[34:35]
	s_wait_loadcnt 0x0
	v_mul_f64_e32 v[38:39], s[40:41], v[2:3]
	v_mul_f64_e32 v[2:3], s[38:39], v[2:3]
	v_fma_f64 v[38:39], s[38:39], v[0:1], -v[38:39]
	s_delay_alu instid0(VALU_DEP_2) | instskip(NEXT) | instid1(VALU_DEP_2)
	v_fmac_f64_e32 v[2:3], s[40:41], v[0:1]
	v_add_f64_e32 v[0:1], v[34:35], v[38:39]
	s_delay_alu instid0(VALU_DEP_2)
	v_add_f64_e32 v[2:3], v[36:37], v[2:3]
	v_add_nc_u64_e32 v[34:35], v[22:23], v[4:5]
	v_mul_f64_e32 v[36:37], s[8:9], v[68:69]
	v_mul_f64_e32 v[38:39], s[6:7], v[68:69]
	global_store_b128 v[34:35], v[0:3], off
	global_load_b128 v[0:3], v[20:21], off offset:256
	v_fma_f64 v[36:37], s[6:7], v[64:65], -v[36:37]
	v_fmac_f64_e32 v[38:39], s[8:9], v[64:65]
	s_wait_loadcnt 0x0
	v_mul_f64_e32 v[40:41], s[40:41], v[2:3]
	v_mul_f64_e32 v[2:3], s[38:39], v[2:3]
	s_delay_alu instid0(VALU_DEP_2) | instskip(NEXT) | instid1(VALU_DEP_2)
	v_fma_f64 v[40:41], s[38:39], v[0:1], -v[40:41]
	v_fmac_f64_e32 v[2:3], s[40:41], v[0:1]
	s_delay_alu instid0(VALU_DEP_2) | instskip(NEXT) | instid1(VALU_DEP_2)
	v_add_f64_e32 v[0:1], v[36:37], v[40:41]
	v_add_f64_e32 v[2:3], v[38:39], v[2:3]
	v_mul_f64_e32 v[36:37], s[8:9], v[56:57]
	v_mul_f64_e32 v[38:39], s[6:7], v[56:57]
	global_store_b128 v[34:35], v[0:3], off offset:256
	global_load_b128 v[0:3], v[20:21], off offset:512
	v_fma_f64 v[36:37], s[6:7], v[52:53], -v[36:37]
	v_fmac_f64_e32 v[38:39], s[8:9], v[52:53]
	s_wait_loadcnt 0x0
	v_mul_f64_e32 v[40:41], s[40:41], v[2:3]
	v_mul_f64_e32 v[2:3], s[38:39], v[2:3]
	s_delay_alu instid0(VALU_DEP_2) | instskip(NEXT) | instid1(VALU_DEP_2)
	v_fma_f64 v[40:41], s[38:39], v[0:1], -v[40:41]
	v_fmac_f64_e32 v[2:3], s[40:41], v[0:1]
	s_delay_alu instid0(VALU_DEP_2) | instskip(NEXT) | instid1(VALU_DEP_2)
	v_add_f64_e32 v[0:1], v[36:37], v[40:41]
	v_add_f64_e32 v[2:3], v[38:39], v[2:3]
	v_mul_f64_e32 v[36:37], s[6:7], v[48:49]
	global_store_b128 v[34:35], v[0:3], off offset:512
	global_load_b128 v[0:3], v[20:21], off offset:768
	s_wait_xcnt 0x0
	v_mul_f64_e32 v[20:21], s[8:9], v[48:49]
	v_fmac_f64_e32 v[36:37], s[8:9], v[44:45]
	s_delay_alu instid0(VALU_DEP_2) | instskip(SKIP_3) | instid1(VALU_DEP_2)
	v_fma_f64 v[20:21], s[6:7], v[44:45], -v[20:21]
	s_wait_loadcnt 0x0
	v_mul_f64_e32 v[38:39], s[40:41], v[2:3]
	v_mul_f64_e32 v[2:3], s[38:39], v[2:3]
	v_fma_f64 v[38:39], s[38:39], v[0:1], -v[38:39]
	s_delay_alu instid0(VALU_DEP_2) | instskip(NEXT) | instid1(VALU_DEP_2)
	v_fmac_f64_e32 v[2:3], s[40:41], v[0:1]
	v_add_f64_e32 v[0:1], v[20:21], v[38:39]
	s_delay_alu instid0(VALU_DEP_2)
	v_add_f64_e32 v[2:3], v[36:37], v[2:3]
	v_mul_f64_e32 v[20:21], s[8:9], v[18:19]
	v_mul_f64_e32 v[18:19], s[6:7], v[18:19]
	global_store_b128 v[34:35], v[0:3], off offset:768
	global_load_b128 v[0:3], v[6:7], off
	v_fma_f64 v[20:21], s[6:7], v[16:17], -v[20:21]
	v_fmac_f64_e32 v[18:19], s[8:9], v[16:17]
	s_wait_loadcnt 0x0
	v_mul_f64_e32 v[34:35], s[40:41], v[2:3]
	v_mul_f64_e32 v[2:3], s[38:39], v[2:3]
	s_delay_alu instid0(VALU_DEP_2) | instskip(NEXT) | instid1(VALU_DEP_2)
	v_fma_f64 v[16:17], s[38:39], v[0:1], -v[34:35]
	v_fmac_f64_e32 v[2:3], s[40:41], v[0:1]
	s_delay_alu instid0(VALU_DEP_2) | instskip(NEXT) | instid1(VALU_DEP_2)
	v_add_f64_e32 v[0:1], v[20:21], v[16:17]
	v_add_f64_e32 v[2:3], v[18:19], v[2:3]
	v_add_nc_u64_e32 v[16:17], s[20:21], v[22:23]
	s_delay_alu instid0(VALU_DEP_1)
	v_add_nc_u64_e32 v[4:5], v[16:17], v[4:5]
	v_mul_f64_e32 v[16:17], s[8:9], v[14:15]
	v_mul_f64_e32 v[14:15], s[6:7], v[14:15]
	global_store_b128 v[4:5], v[0:3], off
	global_load_b128 v[0:3], v[6:7], off offset:256
	v_fma_f64 v[16:17], s[6:7], v[12:13], -v[16:17]
	v_fmac_f64_e32 v[14:15], s[8:9], v[12:13]
	s_wait_loadcnt 0x0
	v_mul_f64_e32 v[18:19], s[40:41], v[2:3]
	v_mul_f64_e32 v[2:3], s[38:39], v[2:3]
	s_delay_alu instid0(VALU_DEP_2) | instskip(NEXT) | instid1(VALU_DEP_2)
	v_fma_f64 v[12:13], s[38:39], v[0:1], -v[18:19]
	v_fmac_f64_e32 v[2:3], s[40:41], v[0:1]
	s_delay_alu instid0(VALU_DEP_2) | instskip(NEXT) | instid1(VALU_DEP_2)
	v_add_f64_e32 v[0:1], v[16:17], v[12:13]
	v_add_f64_e32 v[2:3], v[14:15], v[2:3]
	v_mul_f64_e32 v[12:13], s[8:9], v[10:11]
	v_mul_f64_e32 v[10:11], s[6:7], v[10:11]
	global_store_b128 v[4:5], v[0:3], off offset:256
	global_load_b128 v[0:3], v[6:7], off offset:512
	v_fma_f64 v[12:13], s[6:7], v[8:9], -v[12:13]
	v_fmac_f64_e32 v[10:11], s[8:9], v[8:9]
	s_wait_loadcnt 0x0
	v_mul_f64_e32 v[14:15], s[40:41], v[2:3]
	v_mul_f64_e32 v[2:3], s[38:39], v[2:3]
	s_delay_alu instid0(VALU_DEP_2) | instskip(NEXT) | instid1(VALU_DEP_2)
	v_fma_f64 v[8:9], s[38:39], v[0:1], -v[14:15]
	v_fmac_f64_e32 v[2:3], s[40:41], v[0:1]
	s_delay_alu instid0(VALU_DEP_2) | instskip(NEXT) | instid1(VALU_DEP_2)
	v_add_f64_e32 v[0:1], v[12:13], v[8:9]
	v_add_f64_e32 v[2:3], v[10:11], v[2:3]
	v_mul_f64_e32 v[8:9], s[6:7], v[84:85]
	global_store_b128 v[4:5], v[0:3], off offset:512
	global_load_b128 v[0:3], v[6:7], off offset:768
	s_wait_xcnt 0x0
	v_mul_f64_e32 v[6:7], s[8:9], v[84:85]
	v_fmac_f64_e32 v[8:9], s[8:9], v[82:83]
	s_delay_alu instid0(VALU_DEP_2) | instskip(SKIP_3) | instid1(VALU_DEP_2)
	v_fma_f64 v[6:7], s[6:7], v[82:83], -v[6:7]
	s_wait_loadcnt 0x0
	v_mul_f64_e32 v[10:11], s[40:41], v[2:3]
	v_mul_f64_e32 v[2:3], s[38:39], v[2:3]
	v_fma_f64 v[10:11], s[38:39], v[0:1], -v[10:11]
	s_delay_alu instid0(VALU_DEP_2) | instskip(NEXT) | instid1(VALU_DEP_2)
	v_fmac_f64_e32 v[2:3], s[40:41], v[0:1]
	v_add_f64_e32 v[6:7], v[6:7], v[10:11]
	s_delay_alu instid0(VALU_DEP_2)
	v_add_f64_e32 v[0:1], v[8:9], v[2:3]
	v_add_nc_u64_e32 v[2:3], 0x300, v[4:5]
	global_store_b64 v[4:5], v[6:7], off offset:768
	s_branch .LBB533_2
.LBB533_11:
	s_sendmsg sendmsg(MSG_DEALLOC_VGPRS)
	s_endpgm
	.section	.rodata,"a",@progbits
	.p2align	6, 0x0
	.amdhsa_kernel _ZN12_GLOBAL__N_127rocblas_gemm_batched_kernelI19rocblas_complex_numIdELi16ELi16ELi64ELi64ELi4ELi64ELi4ELi4ELi64ELc67ELc67EKS2_S3_S2_EEvlllT_PT11_llS6_llS4_PT12_llPT13_lli
		.amdhsa_group_segment_fixed_size 8192
		.amdhsa_private_segment_fixed_size 0
		.amdhsa_kernarg_size 156
		.amdhsa_user_sgpr_count 2
		.amdhsa_user_sgpr_dispatch_ptr 0
		.amdhsa_user_sgpr_queue_ptr 0
		.amdhsa_user_sgpr_kernarg_segment_ptr 1
		.amdhsa_user_sgpr_dispatch_id 0
		.amdhsa_user_sgpr_kernarg_preload_length 0
		.amdhsa_user_sgpr_kernarg_preload_offset 0
		.amdhsa_user_sgpr_private_segment_size 0
		.amdhsa_wavefront_size32 1
		.amdhsa_uses_dynamic_stack 0
		.amdhsa_enable_private_segment 0
		.amdhsa_system_sgpr_workgroup_id_x 1
		.amdhsa_system_sgpr_workgroup_id_y 1
		.amdhsa_system_sgpr_workgroup_id_z 1
		.amdhsa_system_sgpr_workgroup_info 0
		.amdhsa_system_vgpr_workitem_id 1
		.amdhsa_next_free_vgpr 144
		.amdhsa_next_free_sgpr 52
		.amdhsa_named_barrier_count 0
		.amdhsa_reserve_vcc 1
		.amdhsa_float_round_mode_32 0
		.amdhsa_float_round_mode_16_64 0
		.amdhsa_float_denorm_mode_32 3
		.amdhsa_float_denorm_mode_16_64 3
		.amdhsa_fp16_overflow 0
		.amdhsa_memory_ordered 1
		.amdhsa_forward_progress 1
		.amdhsa_inst_pref_size 45
		.amdhsa_round_robin_scheduling 0
		.amdhsa_exception_fp_ieee_invalid_op 0
		.amdhsa_exception_fp_denorm_src 0
		.amdhsa_exception_fp_ieee_div_zero 0
		.amdhsa_exception_fp_ieee_overflow 0
		.amdhsa_exception_fp_ieee_underflow 0
		.amdhsa_exception_fp_ieee_inexact 0
		.amdhsa_exception_int_div_zero 0
	.end_amdhsa_kernel
	.section	.text._ZN12_GLOBAL__N_127rocblas_gemm_batched_kernelI19rocblas_complex_numIdELi16ELi16ELi64ELi64ELi4ELi64ELi4ELi4ELi64ELc67ELc67EKS2_S3_S2_EEvlllT_PT11_llS6_llS4_PT12_llPT13_lli,"axG",@progbits,_ZN12_GLOBAL__N_127rocblas_gemm_batched_kernelI19rocblas_complex_numIdELi16ELi16ELi64ELi64ELi4ELi64ELi4ELi4ELi64ELc67ELc67EKS2_S3_S2_EEvlllT_PT11_llS6_llS4_PT12_llPT13_lli,comdat
.Lfunc_end533:
	.size	_ZN12_GLOBAL__N_127rocblas_gemm_batched_kernelI19rocblas_complex_numIdELi16ELi16ELi64ELi64ELi4ELi64ELi4ELi4ELi64ELc67ELc67EKS2_S3_S2_EEvlllT_PT11_llS6_llS4_PT12_llPT13_lli, .Lfunc_end533-_ZN12_GLOBAL__N_127rocblas_gemm_batched_kernelI19rocblas_complex_numIdELi16ELi16ELi64ELi64ELi4ELi64ELi4ELi4ELi64ELc67ELc67EKS2_S3_S2_EEvlllT_PT11_llS6_llS4_PT12_llPT13_lli
                                        ; -- End function
	.set _ZN12_GLOBAL__N_127rocblas_gemm_batched_kernelI19rocblas_complex_numIdELi16ELi16ELi64ELi64ELi4ELi64ELi4ELi4ELi64ELc67ELc67EKS2_S3_S2_EEvlllT_PT11_llS6_llS4_PT12_llPT13_lli.num_vgpr, 144
	.set _ZN12_GLOBAL__N_127rocblas_gemm_batched_kernelI19rocblas_complex_numIdELi16ELi16ELi64ELi64ELi4ELi64ELi4ELi4ELi64ELc67ELc67EKS2_S3_S2_EEvlllT_PT11_llS6_llS4_PT12_llPT13_lli.num_agpr, 0
	.set _ZN12_GLOBAL__N_127rocblas_gemm_batched_kernelI19rocblas_complex_numIdELi16ELi16ELi64ELi64ELi4ELi64ELi4ELi4ELi64ELc67ELc67EKS2_S3_S2_EEvlllT_PT11_llS6_llS4_PT12_llPT13_lli.numbered_sgpr, 52
	.set _ZN12_GLOBAL__N_127rocblas_gemm_batched_kernelI19rocblas_complex_numIdELi16ELi16ELi64ELi64ELi4ELi64ELi4ELi4ELi64ELc67ELc67EKS2_S3_S2_EEvlllT_PT11_llS6_llS4_PT12_llPT13_lli.num_named_barrier, 0
	.set _ZN12_GLOBAL__N_127rocblas_gemm_batched_kernelI19rocblas_complex_numIdELi16ELi16ELi64ELi64ELi4ELi64ELi4ELi4ELi64ELc67ELc67EKS2_S3_S2_EEvlllT_PT11_llS6_llS4_PT12_llPT13_lli.private_seg_size, 0
	.set _ZN12_GLOBAL__N_127rocblas_gemm_batched_kernelI19rocblas_complex_numIdELi16ELi16ELi64ELi64ELi4ELi64ELi4ELi4ELi64ELc67ELc67EKS2_S3_S2_EEvlllT_PT11_llS6_llS4_PT12_llPT13_lli.uses_vcc, 1
	.set _ZN12_GLOBAL__N_127rocblas_gemm_batched_kernelI19rocblas_complex_numIdELi16ELi16ELi64ELi64ELi4ELi64ELi4ELi4ELi64ELc67ELc67EKS2_S3_S2_EEvlllT_PT11_llS6_llS4_PT12_llPT13_lli.uses_flat_scratch, 0
	.set _ZN12_GLOBAL__N_127rocblas_gemm_batched_kernelI19rocblas_complex_numIdELi16ELi16ELi64ELi64ELi4ELi64ELi4ELi4ELi64ELc67ELc67EKS2_S3_S2_EEvlllT_PT11_llS6_llS4_PT12_llPT13_lli.has_dyn_sized_stack, 0
	.set _ZN12_GLOBAL__N_127rocblas_gemm_batched_kernelI19rocblas_complex_numIdELi16ELi16ELi64ELi64ELi4ELi64ELi4ELi4ELi64ELc67ELc67EKS2_S3_S2_EEvlllT_PT11_llS6_llS4_PT12_llPT13_lli.has_recursion, 0
	.set _ZN12_GLOBAL__N_127rocblas_gemm_batched_kernelI19rocblas_complex_numIdELi16ELi16ELi64ELi64ELi4ELi64ELi4ELi4ELi64ELc67ELc67EKS2_S3_S2_EEvlllT_PT11_llS6_llS4_PT12_llPT13_lli.has_indirect_call, 0
	.section	.AMDGPU.csdata,"",@progbits
; Kernel info:
; codeLenInByte = 5668
; TotalNumSgprs: 54
; NumVgprs: 144
; ScratchSize: 0
; MemoryBound: 0
; FloatMode: 240
; IeeeMode: 1
; LDSByteSize: 8192 bytes/workgroup (compile time only)
; SGPRBlocks: 0
; VGPRBlocks: 8
; NumSGPRsForWavesPerEU: 54
; NumVGPRsForWavesPerEU: 144
; NamedBarCnt: 0
; Occupancy: 7
; WaveLimiterHint : 1
; COMPUTE_PGM_RSRC2:SCRATCH_EN: 0
; COMPUTE_PGM_RSRC2:USER_SGPR: 2
; COMPUTE_PGM_RSRC2:TRAP_HANDLER: 0
; COMPUTE_PGM_RSRC2:TGID_X_EN: 1
; COMPUTE_PGM_RSRC2:TGID_Y_EN: 1
; COMPUTE_PGM_RSRC2:TGID_Z_EN: 1
; COMPUTE_PGM_RSRC2:TIDIG_COMP_CNT: 1
	.section	.text._ZN12_GLOBAL__N_127rocblas_gemm_batched_kernelI19rocblas_complex_numIdELi16ELi16ELi64ELi64ELi4ELi64ELi4ELi4ELi64ELc67ELc78EKS2_S3_S2_EEvlllT_PT11_llS6_llS4_PT12_llPT13_lli,"axG",@progbits,_ZN12_GLOBAL__N_127rocblas_gemm_batched_kernelI19rocblas_complex_numIdELi16ELi16ELi64ELi64ELi4ELi64ELi4ELi4ELi64ELc67ELc78EKS2_S3_S2_EEvlllT_PT11_llS6_llS4_PT12_llPT13_lli,comdat
	.globl	_ZN12_GLOBAL__N_127rocblas_gemm_batched_kernelI19rocblas_complex_numIdELi16ELi16ELi64ELi64ELi4ELi64ELi4ELi4ELi64ELc67ELc78EKS2_S3_S2_EEvlllT_PT11_llS6_llS4_PT12_llPT13_lli ; -- Begin function _ZN12_GLOBAL__N_127rocblas_gemm_batched_kernelI19rocblas_complex_numIdELi16ELi16ELi64ELi64ELi4ELi64ELi4ELi4ELi64ELc67ELc78EKS2_S3_S2_EEvlllT_PT11_llS6_llS4_PT12_llPT13_lli
	.p2align	8
	.type	_ZN12_GLOBAL__N_127rocblas_gemm_batched_kernelI19rocblas_complex_numIdELi16ELi16ELi64ELi64ELi4ELi64ELi4ELi4ELi64ELc67ELc78EKS2_S3_S2_EEvlllT_PT11_llS6_llS4_PT12_llPT13_lli,@function
_ZN12_GLOBAL__N_127rocblas_gemm_batched_kernelI19rocblas_complex_numIdELi16ELi16ELi64ELi64ELi4ELi64ELi4ELi4ELi64ELc67ELc78EKS2_S3_S2_EEvlllT_PT11_llS6_llS4_PT12_llPT13_lli: ; @_ZN12_GLOBAL__N_127rocblas_gemm_batched_kernelI19rocblas_complex_numIdELi16ELi16ELi64ELi64ELi4ELi64ELi4ELi4ELi64ELc67ELc78EKS2_S3_S2_EEvlllT_PT11_llS6_llS4_PT12_llPT13_lli
; %bb.0:
	s_load_b32 s22, s[0:1], 0x98
	s_bfe_u32 s2, ttmp6, 0x40014
	s_lshr_b32 s3, ttmp7, 16
	s_add_co_i32 s2, s2, 1
	s_bfe_u32 s4, ttmp6, 0x40008
	s_mul_i32 s2, s3, s2
	s_getreg_b32 s20, hwreg(HW_REG_IB_STS2, 6, 4)
	s_add_co_i32 s4, s4, s2
	s_cmp_eq_u32 s20, 0
	s_cselect_b32 s2, s3, s4
	s_mov_b32 s3, 0
	s_wait_kmcnt 0x0
	s_cmp_ge_i32 s2, s22
	s_cbranch_scc1 .LBB534_11
; %bb.1:
	v_bfe_u32 v2, v0, 10, 10
	v_and_b32_e32 v4, 0x3ff, v0
	s_bfe_u32 s21, ttmp6, 0x4000c
	s_bfe_u32 s24, ttmp6, 0x40010
	s_clause 0x1
	s_load_b512 s[4:19], s[0:1], 0x10
	s_load_b512 s[36:51], s[0:1], 0x50
	s_add_co_i32 s21, s21, 1
	s_and_b32 s25, ttmp7, 0xffff
	s_add_co_i32 s24, s24, 1
	s_and_b32 s23, ttmp6, 15
	s_mul_i32 s21, ttmp9, s21
	s_mul_i32 s24, s25, s24
	s_bfe_u32 s26, ttmp6, 0x40004
	v_lshl_add_u32 v1, v2, 4, v4
	s_add_co_i32 s23, s23, s21
	s_add_co_i32 s26, s26, s24
	s_cmp_eq_u32 s20, 0
	s_delay_alu instid0(VALU_DEP_1) | instskip(SKIP_3) | instid1(VALU_DEP_1)
	v_dual_mov_b32 v3, 0 :: v_dual_bitop2_b32 v16, 63, v1 bitop3:0x40
	s_cselect_b32 s20, ttmp9, s23
	s_cselect_b32 s23, s25, s26
	s_ashr_i32 s21, s20, 31
	v_dual_mov_b32 v7, v3 :: v_dual_lshrrev_b32 v6, 2, v1
	s_lshl_b64 s[20:21], s[20:21], 6
	s_lshl_b32 s24, s23, 6
	v_dual_mov_b32 v9, s21 :: v_dual_bitop2_b32 v8, s20, v16 bitop3:0x54
	s_mov_b32 s25, s3
	s_wait_kmcnt 0x0
	v_cmp_eq_f64_e64 s23, s[38:39], 0
	v_add_nc_u64_e32 v[10:11], s[24:25], v[6:7]
	v_add_nc_u64_e32 v[12:13], s[24:25], v[2:3]
	v_mul_u64_e32 v[8:9], s[12:13], v[8:9]
	v_cmp_eq_f64_e64 s24, s[40:41], 0
	v_dual_lshlrev_b32 v0, 4, v0 :: v_dual_lshrrev_b32 v7, 6, v1
	v_lshl_add_u32 v98, v2, 6, 0x1000
	v_mul_u64_e32 v[10:11], s[18:19], v[10:11]
	v_mul_u64_e32 v[14:15], s[44:45], v[12:13]
	;; [unrolled: 1-line block ×3, first 2 shown]
	v_dual_lshlrev_b32 v2, 4, v7 :: v_dual_lshlrev_b32 v99, 4, v4
	s_load_b64 s[12:13], s[0:1], 0x90
	v_dual_mov_b32 v5, v3 :: v_dual_bitop2_b32 v0, 48, v0 bitop3:0x40
	v_dual_mov_b32 v1, v3 :: v_dual_lshlrev_b32 v12, 4, v16
	s_wait_xcnt 0x0
	v_cmp_gt_i64_e64 s0, s[4:5], 0
	s_delay_alu instid0(VALU_DEP_3)
	v_add_nc_u64_e32 v[26:27], s[20:21], v[4:5]
	v_lshl_or_b32 v6, v6, 6, v0
	v_lshl_or_b32 v100, v7, 10, v12
	s_lshl_b64 s[18:19], s[50:51], 4
	s_lshl_b64 s[20:21], s[44:45], 4
	;; [unrolled: 1-line block ×3, first 2 shown]
	v_cndmask_b32_e64 v4, 0, 1, s0
	v_add_nc_u32_e32 v101, 0x1000, v6
	s_delay_alu instid0(VALU_DEP_2) | instskip(SKIP_2) | instid1(VALU_DEP_1)
	v_cmp_ne_u32_e64 s0, 1, v4
	v_lshl_add_u64 v[2:3], v[8:9], 4, v[2:3]
	s_and_b32 s1, s23, s24
	v_add_nc_u64_e32 v[2:3], s[10:11], v[2:3]
	v_lshl_add_u64 v[0:1], v[10:11], 4, v[0:1]
	v_lshl_add_u64 v[28:29], v[14:15], 4, s[42:43]
	s_lshl_b64 s[10:11], s[14:15], 4
	s_lshl_b64 s[14:15], s[36:37], 4
	s_delay_alu instid0(VALU_DEP_2) | instskip(NEXT) | instid1(VALU_DEP_4)
	v_add_nc_u64_e32 v[32:33], s[16:17], v[0:1]
	v_add_nc_u64_e32 v[30:31], 8, v[2:3]
	s_lshl_b64 s[16:17], s[20:21], 4
	s_branch .LBB534_3
.LBB534_2:                              ;   in Loop: Header=BB534_3 Depth=1
	s_add_co_i32 s2, s2, 0x10000
	global_store_b64 v[2:3], v[0:1], off offset:8
	s_cmp_lt_i32 s2, s22
	s_cbranch_scc0 .LBB534_11
.LBB534_3:                              ; =>This Loop Header: Depth=1
                                        ;     Child Loop BB534_5 Depth 2
	s_and_b32 vcc_lo, exec_lo, s0
	s_cbranch_vccnz .LBB534_6
; %bb.4:                                ;   in Loop: Header=BB534_3 Depth=1
	s_wait_xcnt 0x7
	s_delay_alu instid0(VALU_DEP_1)
	v_mad_nc_u64_u32 v[34:35], s10, s2, v[30:31]
	v_mad_nc_u64_u32 v[36:37], s14, s2, v[32:33]
	v_mov_b64_e32 v[84:85], 0
	v_mov_b64_e32 v[82:83], 0
	;; [unrolled: 1-line block ×9, first 2 shown]
	v_mad_u32 v35, s11, s2, v35
	v_mad_u32 v37, s15, s2, v37
	v_mov_b64_e32 v[44:45], 0
	v_mov_b64_e32 v[56:57], 0
	;; [unrolled: 1-line block ×23, first 2 shown]
	s_mov_b64 s[20:21], 0
.LBB534_5:                              ;   Parent Loop BB534_3 Depth=1
                                        ; =>  This Inner Loop Header: Depth=2
	global_load_b128 v[0:3], v[34:35], off offset:-8
	s_add_nc_u64 s[20:21], s[20:21], 4
	s_wait_xcnt 0x0
	v_add_nc_u64_e32 v[34:35], 64, v[34:35]
	v_cmp_lt_i64_e64 s23, s[20:21], s[4:5]
	s_and_b32 vcc_lo, exec_lo, s23
	s_wait_loadcnt 0x0
	v_xor_b32_e32 v3, 0x80000000, v3
	ds_store_b128 v100, v[0:3]
	global_load_b128 v[0:3], v[36:37], off
	s_wait_xcnt 0x0
	v_add_nc_u64_e32 v[36:37], 64, v[36:37]
	s_wait_loadcnt 0x0
	ds_store_2addr_b64 v101, v[0:1], v[2:3] offset1:1
	s_wait_dscnt 0x0
	s_barrier_signal -1
	s_barrier_wait -1
	ds_load_b128 v[86:89], v98
	ds_load_b128 v[90:93], v98 offset:16
	ds_load_b128 v[4:7], v98 offset:32
	;; [unrolled: 1-line block ×3, first 2 shown]
	ds_load_b128 v[94:97], v99
	s_wait_dscnt 0x0
	v_mul_f64_e32 v[102:103], v[88:89], v[96:97]
	v_mul_f64_e32 v[104:105], v[86:87], v[96:97]
	s_delay_alu instid0(VALU_DEP_2) | instskip(NEXT) | instid1(VALU_DEP_2)
	v_fma_f64 v[102:103], v[86:87], v[94:95], -v[102:103]
	v_fmac_f64_e32 v[104:105], v[88:89], v[94:95]
	s_delay_alu instid0(VALU_DEP_2) | instskip(NEXT) | instid1(VALU_DEP_2)
	v_add_f64_e32 v[106:107], v[58:59], v[102:103]
	v_add_f64_e32 v[108:109], v[104:105], v[60:61]
	ds_load_b128 v[58:61], v99 offset:256
	s_wait_dscnt 0x0
	v_mul_f64_e32 v[102:103], v[88:89], v[60:61]
	v_mul_f64_e32 v[104:105], v[86:87], v[60:61]
	s_delay_alu instid0(VALU_DEP_2) | instskip(NEXT) | instid1(VALU_DEP_2)
	v_fma_f64 v[102:103], v[86:87], v[58:59], -v[102:103]
	v_fmac_f64_e32 v[104:105], v[88:89], v[58:59]
	s_delay_alu instid0(VALU_DEP_2) | instskip(NEXT) | instid1(VALU_DEP_2)
	v_add_f64_e32 v[42:43], v[42:43], v[102:103]
	v_add_f64_e32 v[110:111], v[104:105], v[46:47]
	ds_load_b128 v[102:105], v99 offset:512
	;; [unrolled: 10-line block ×3, first 2 shown]
	s_wait_dscnt 0x0
	v_mul_f64_e32 v[46:47], v[88:89], v[40:41]
	s_delay_alu instid0(VALU_DEP_1) | instskip(SKIP_1) | instid1(VALU_DEP_1)
	v_fma_f64 v[46:47], v[86:87], v[38:39], -v[46:47]
	v_mul_f64_e32 v[86:87], v[86:87], v[40:41]
	v_fmac_f64_e32 v[86:87], v[88:89], v[38:39]
	s_delay_alu instid0(VALU_DEP_3) | instskip(NEXT) | instid1(VALU_DEP_2)
	v_add_f64_e32 v[88:89], v[20:21], v[46:47]
	v_add_f64_e32 v[86:87], v[86:87], v[22:23]
	ds_load_b128 v[20:23], v98 offset:1024
	s_wait_dscnt 0x0
	v_mul_f64_e32 v[46:47], v[22:23], v[96:97]
	v_mul_f64_e32 v[116:117], v[20:21], v[96:97]
	s_delay_alu instid0(VALU_DEP_2) | instskip(NEXT) | instid1(VALU_DEP_2)
	v_fma_f64 v[46:47], v[20:21], v[94:95], -v[46:47]
	v_fmac_f64_e32 v[116:117], v[22:23], v[94:95]
	s_delay_alu instid0(VALU_DEP_2) | instskip(SKIP_1) | instid1(VALU_DEP_3)
	v_add_f64_e32 v[78:79], v[78:79], v[46:47]
	v_mul_f64_e32 v[46:47], v[22:23], v[60:61]
	v_add_f64_e32 v[80:81], v[116:117], v[80:81]
	v_mul_f64_e32 v[116:117], v[20:21], v[60:61]
	s_delay_alu instid0(VALU_DEP_3) | instskip(NEXT) | instid1(VALU_DEP_2)
	v_fma_f64 v[46:47], v[20:21], v[58:59], -v[46:47]
	v_fmac_f64_e32 v[116:117], v[22:23], v[58:59]
	s_delay_alu instid0(VALU_DEP_2) | instskip(SKIP_2) | instid1(VALU_DEP_4)
	v_add_f64_e32 v[118:119], v[70:71], v[46:47]
	v_mul_f64_e32 v[46:47], v[22:23], v[104:105]
	v_mul_f64_e32 v[70:71], v[20:21], v[104:105]
	v_add_f64_e32 v[116:117], v[116:117], v[74:75]
	s_delay_alu instid0(VALU_DEP_3) | instskip(NEXT) | instid1(VALU_DEP_3)
	v_fma_f64 v[46:47], v[20:21], v[102:103], -v[46:47]
	v_fmac_f64_e32 v[70:71], v[22:23], v[102:103]
	s_delay_alu instid0(VALU_DEP_2) | instskip(SKIP_1) | instid1(VALU_DEP_3)
	v_add_f64_e32 v[120:121], v[62:63], v[46:47]
	v_mul_f64_e32 v[46:47], v[22:23], v[40:41]
	v_add_f64_e32 v[122:123], v[70:71], v[66:67]
	s_delay_alu instid0(VALU_DEP_2) | instskip(SKIP_1) | instid1(VALU_DEP_2)
	v_fma_f64 v[46:47], v[20:21], v[38:39], -v[46:47]
	v_mul_f64_e32 v[20:21], v[20:21], v[40:41]
	v_add_f64_e32 v[124:125], v[50:51], v[46:47]
	s_delay_alu instid0(VALU_DEP_2) | instskip(NEXT) | instid1(VALU_DEP_1)
	v_fmac_f64_e32 v[20:21], v[22:23], v[38:39]
	v_add_f64_e32 v[126:127], v[20:21], v[54:55]
	ds_load_b128 v[20:23], v98 offset:2048
	s_wait_dscnt 0x0
	v_mul_f64_e32 v[46:47], v[22:23], v[96:97]
	v_mul_f64_e32 v[50:51], v[20:21], v[96:97]
	s_delay_alu instid0(VALU_DEP_2) | instskip(NEXT) | instid1(VALU_DEP_2)
	v_fma_f64 v[46:47], v[20:21], v[94:95], -v[46:47]
	v_fmac_f64_e32 v[50:51], v[22:23], v[94:95]
	s_delay_alu instid0(VALU_DEP_2) | instskip(SKIP_1) | instid1(VALU_DEP_3)
	v_add_f64_e32 v[128:129], v[72:73], v[46:47]
	v_mul_f64_e32 v[46:47], v[22:23], v[60:61]
	v_add_f64_e32 v[130:131], v[50:51], v[76:77]
	v_mul_f64_e32 v[50:51], v[20:21], v[60:61]
	s_delay_alu instid0(VALU_DEP_3) | instskip(NEXT) | instid1(VALU_DEP_2)
	v_fma_f64 v[46:47], v[20:21], v[58:59], -v[46:47]
	v_fmac_f64_e32 v[50:51], v[22:23], v[58:59]
	s_delay_alu instid0(VALU_DEP_2) | instskip(SKIP_1) | instid1(VALU_DEP_3)
	v_add_f64_e32 v[132:133], v[64:65], v[46:47]
	v_mul_f64_e32 v[46:47], v[22:23], v[104:105]
	v_add_f64_e32 v[134:135], v[50:51], v[68:69]
	v_mul_f64_e32 v[50:51], v[20:21], v[104:105]
	s_delay_alu instid0(VALU_DEP_3) | instskip(NEXT) | instid1(VALU_DEP_2)
	v_fma_f64 v[46:47], v[20:21], v[102:103], -v[46:47]
	v_fmac_f64_e32 v[50:51], v[22:23], v[102:103]
	s_delay_alu instid0(VALU_DEP_2) | instskip(SKIP_1) | instid1(VALU_DEP_3)
	v_add_f64_e32 v[136:137], v[52:53], v[46:47]
	v_mul_f64_e32 v[46:47], v[22:23], v[40:41]
	v_add_f64_e32 v[138:139], v[50:51], v[56:57]
	s_delay_alu instid0(VALU_DEP_2) | instskip(SKIP_1) | instid1(VALU_DEP_2)
	v_fma_f64 v[46:47], v[20:21], v[38:39], -v[46:47]
	v_mul_f64_e32 v[20:21], v[20:21], v[40:41]
	v_add_f64_e32 v[140:141], v[44:45], v[46:47]
	s_delay_alu instid0(VALU_DEP_2) | instskip(NEXT) | instid1(VALU_DEP_1)
	v_fmac_f64_e32 v[20:21], v[22:23], v[38:39]
	v_add_f64_e32 v[142:143], v[20:21], v[48:49]
	ds_load_b128 v[20:23], v98 offset:3072
	s_wait_dscnt 0x0
	v_mul_f64_e32 v[44:45], v[22:23], v[96:97]
	v_mul_f64_e32 v[46:47], v[20:21], v[96:97]
	s_delay_alu instid0(VALU_DEP_2) | instskip(NEXT) | instid1(VALU_DEP_2)
	v_fma_f64 v[44:45], v[20:21], v[94:95], -v[44:45]
	v_fmac_f64_e32 v[46:47], v[22:23], v[94:95]
	s_delay_alu instid0(VALU_DEP_2) | instskip(NEXT) | instid1(VALU_DEP_2)
	v_add_f64_e32 v[66:67], v[16:17], v[44:45]
	v_add_f64_e32 v[68:69], v[46:47], v[18:19]
	v_mul_f64_e32 v[16:17], v[22:23], v[60:61]
	v_mul_f64_e32 v[18:19], v[20:21], v[60:61]
	s_delay_alu instid0(VALU_DEP_2) | instskip(NEXT) | instid1(VALU_DEP_2)
	v_fma_f64 v[16:17], v[20:21], v[58:59], -v[16:17]
	v_fmac_f64_e32 v[18:19], v[22:23], v[58:59]
	s_delay_alu instid0(VALU_DEP_2) | instskip(NEXT) | instid1(VALU_DEP_2)
	v_add_f64_e32 v[62:63], v[12:13], v[16:17]
	v_add_f64_e32 v[64:65], v[18:19], v[14:15]
	v_mul_f64_e32 v[12:13], v[22:23], v[104:105]
	v_mul_f64_e32 v[14:15], v[20:21], v[104:105]
	ds_load_b128 v[16:19], v99 offset:1280
	v_fma_f64 v[12:13], v[20:21], v[102:103], -v[12:13]
	v_fmac_f64_e32 v[14:15], v[22:23], v[102:103]
	s_delay_alu instid0(VALU_DEP_2) | instskip(NEXT) | instid1(VALU_DEP_2)
	v_add_f64_e32 v[58:59], v[8:9], v[12:13]
	v_add_f64_e32 v[60:61], v[14:15], v[10:11]
	v_mul_f64_e32 v[8:9], v[22:23], v[40:41]
	v_mul_f64_e32 v[10:11], v[20:21], v[40:41]
	ds_load_b128 v[12:15], v99 offset:1536
	v_fma_f64 v[8:9], v[20:21], v[38:39], -v[8:9]
	v_fmac_f64_e32 v[10:11], v[22:23], v[38:39]
	ds_load_b128 v[20:23], v99 offset:1024
	v_add_f64_e32 v[54:55], v[82:83], v[8:9]
	v_add_f64_e32 v[56:57], v[10:11], v[84:85]
	ds_load_b128 v[82:85], v98 offset:1040
	s_wait_dscnt 0x1
	v_mul_f64_e32 v[8:9], v[92:93], v[22:23]
	v_mul_f64_e32 v[10:11], v[90:91], v[22:23]
	s_wait_dscnt 0x0
	v_mul_f64_e32 v[70:71], v[84:85], v[22:23]
	v_mul_f64_e32 v[72:73], v[82:83], v[22:23]
	;; [unrolled: 1-line block ×4, first 2 shown]
	v_fma_f64 v[8:9], v[90:91], v[20:21], -v[8:9]
	v_fmac_f64_e32 v[10:11], v[92:93], v[20:21]
	v_fma_f64 v[70:71], v[82:83], v[20:21], -v[70:71]
	v_fmac_f64_e32 v[72:73], v[84:85], v[20:21]
	;; [unrolled: 2-line block ×3, first 2 shown]
	v_add_f64_e32 v[50:51], v[106:107], v[8:9]
	v_add_f64_e32 v[52:53], v[10:11], v[108:109]
	v_mul_f64_e32 v[8:9], v[92:93], v[18:19]
	v_mul_f64_e32 v[10:11], v[90:91], v[18:19]
	v_add_f64_e32 v[70:71], v[78:79], v[70:71]
	v_add_f64_e32 v[72:73], v[72:73], v[80:81]
	v_mul_f64_e32 v[78:79], v[84:85], v[14:15]
	v_mul_f64_e32 v[80:81], v[82:83], v[14:15]
	v_add_f64_e32 v[74:75], v[118:119], v[74:75]
	v_add_f64_e32 v[76:77], v[76:77], v[116:117]
	v_fma_f64 v[8:9], v[90:91], v[16:17], -v[8:9]
	v_fmac_f64_e32 v[10:11], v[92:93], v[16:17]
	v_fma_f64 v[78:79], v[82:83], v[12:13], -v[78:79]
	v_fmac_f64_e32 v[80:81], v[84:85], v[12:13]
	s_delay_alu instid0(VALU_DEP_4) | instskip(NEXT) | instid1(VALU_DEP_4)
	v_add_f64_e32 v[46:47], v[42:43], v[8:9]
	v_add_f64_e32 v[48:49], v[10:11], v[110:111]
	v_mul_f64_e32 v[8:9], v[92:93], v[14:15]
	v_mul_f64_e32 v[10:11], v[90:91], v[14:15]
	v_add_f64_e32 v[78:79], v[120:121], v[78:79]
	v_add_f64_e32 v[80:81], v[80:81], v[122:123]
	s_delay_alu instid0(VALU_DEP_4) | instskip(NEXT) | instid1(VALU_DEP_4)
	v_fma_f64 v[8:9], v[90:91], v[12:13], -v[8:9]
	v_fmac_f64_e32 v[10:11], v[92:93], v[12:13]
	s_delay_alu instid0(VALU_DEP_2) | instskip(NEXT) | instid1(VALU_DEP_2)
	v_add_f64_e32 v[42:43], v[114:115], v[8:9]
	v_add_f64_e32 v[44:45], v[10:11], v[112:113]
	ds_load_b128 v[8:11], v99 offset:1792
	s_wait_dscnt 0x0
	v_mul_f64_e32 v[38:39], v[92:93], v[10:11]
	v_mul_f64_e32 v[40:41], v[90:91], v[10:11]
	s_delay_alu instid0(VALU_DEP_2) | instskip(NEXT) | instid1(VALU_DEP_2)
	v_fma_f64 v[38:39], v[90:91], v[8:9], -v[38:39]
	v_fmac_f64_e32 v[40:41], v[92:93], v[8:9]
	s_delay_alu instid0(VALU_DEP_2) | instskip(NEXT) | instid1(VALU_DEP_2)
	v_add_f64_e32 v[38:39], v[88:89], v[38:39]
	v_add_f64_e32 v[40:41], v[40:41], v[86:87]
	v_mul_f64_e32 v[86:87], v[84:85], v[10:11]
	v_mul_f64_e32 v[88:89], v[82:83], v[10:11]
	s_delay_alu instid0(VALU_DEP_2) | instskip(NEXT) | instid1(VALU_DEP_2)
	v_fma_f64 v[86:87], v[82:83], v[8:9], -v[86:87]
	v_fmac_f64_e32 v[88:89], v[84:85], v[8:9]
	s_delay_alu instid0(VALU_DEP_2) | instskip(NEXT) | instid1(VALU_DEP_2)
	v_add_f64_e32 v[82:83], v[124:125], v[86:87]
	v_add_f64_e32 v[84:85], v[88:89], v[126:127]
	ds_load_b128 v[86:89], v98 offset:2064
	s_wait_dscnt 0x0
	v_mul_f64_e32 v[90:91], v[88:89], v[22:23]
	v_mul_f64_e32 v[94:95], v[88:89], v[18:19]
	v_mul_f64_e32 v[102:103], v[88:89], v[14:15]
	v_mul_f64_e32 v[106:107], v[88:89], v[10:11]
	v_mul_f64_e32 v[92:93], v[86:87], v[22:23]
	v_mul_f64_e32 v[96:97], v[86:87], v[18:19]
	v_mul_f64_e32 v[104:105], v[86:87], v[14:15]
	v_fma_f64 v[90:91], v[86:87], v[20:21], -v[90:91]
	v_fma_f64 v[94:95], v[86:87], v[16:17], -v[94:95]
	;; [unrolled: 1-line block ×4, first 2 shown]
	v_mul_f64_e32 v[86:87], v[86:87], v[10:11]
	v_fmac_f64_e32 v[92:93], v[88:89], v[20:21]
	v_fmac_f64_e32 v[96:97], v[88:89], v[16:17]
	;; [unrolled: 1-line block ×3, first 2 shown]
	v_add_f64_e32 v[90:91], v[128:129], v[90:91]
	v_add_f64_e32 v[94:95], v[132:133], v[94:95]
	;; [unrolled: 1-line block ×4, first 2 shown]
	v_fmac_f64_e32 v[86:87], v[88:89], v[8:9]
	v_add_f64_e32 v[92:93], v[92:93], v[130:131]
	v_add_f64_e32 v[96:97], v[96:97], v[134:135]
	;; [unrolled: 1-line block ×3, first 2 shown]
	s_delay_alu instid0(VALU_DEP_4) | instskip(SKIP_4) | instid1(VALU_DEP_2)
	v_add_f64_e32 v[108:109], v[86:87], v[142:143]
	ds_load_b128 v[86:89], v98 offset:3088
	s_wait_dscnt 0x0
	v_mul_f64_e32 v[110:111], v[88:89], v[22:23]
	v_mul_f64_e32 v[22:23], v[86:87], v[22:23]
	v_fma_f64 v[110:111], v[86:87], v[20:21], -v[110:111]
	s_delay_alu instid0(VALU_DEP_2) | instskip(SKIP_2) | instid1(VALU_DEP_4)
	v_fmac_f64_e32 v[22:23], v[88:89], v[20:21]
	v_mul_f64_e32 v[20:21], v[88:89], v[18:19]
	v_mul_f64_e32 v[18:19], v[86:87], v[18:19]
	v_add_f64_e32 v[66:67], v[66:67], v[110:111]
	s_delay_alu instid0(VALU_DEP_4) | instskip(NEXT) | instid1(VALU_DEP_4)
	v_add_f64_e32 v[68:69], v[22:23], v[68:69]
	v_fma_f64 v[20:21], v[86:87], v[16:17], -v[20:21]
	s_delay_alu instid0(VALU_DEP_4) | instskip(SKIP_2) | instid1(VALU_DEP_4)
	v_fmac_f64_e32 v[18:19], v[88:89], v[16:17]
	v_mul_f64_e32 v[16:17], v[88:89], v[14:15]
	v_mul_f64_e32 v[14:15], v[86:87], v[14:15]
	v_add_f64_e32 v[62:63], v[62:63], v[20:21]
	s_delay_alu instid0(VALU_DEP_4) | instskip(NEXT) | instid1(VALU_DEP_4)
	v_add_f64_e32 v[64:65], v[18:19], v[64:65]
	v_fma_f64 v[16:17], v[86:87], v[12:13], -v[16:17]
	s_delay_alu instid0(VALU_DEP_4) | instskip(SKIP_2) | instid1(VALU_DEP_4)
	v_fmac_f64_e32 v[14:15], v[88:89], v[12:13]
	v_mul_f64_e32 v[12:13], v[88:89], v[10:11]
	v_mul_f64_e32 v[10:11], v[86:87], v[10:11]
	v_add_f64_e32 v[58:59], v[58:59], v[16:17]
	s_delay_alu instid0(VALU_DEP_4) | instskip(NEXT) | instid1(VALU_DEP_4)
	v_add_f64_e32 v[60:61], v[14:15], v[60:61]
	v_fma_f64 v[12:13], v[86:87], v[8:9], -v[12:13]
	s_delay_alu instid0(VALU_DEP_4) | instskip(NEXT) | instid1(VALU_DEP_2)
	v_fmac_f64_e32 v[10:11], v[88:89], v[8:9]
	v_add_f64_e32 v[54:55], v[54:55], v[12:13]
	s_delay_alu instid0(VALU_DEP_2) | instskip(SKIP_4) | instid1(VALU_DEP_2)
	v_add_f64_e32 v[56:57], v[10:11], v[56:57]
	ds_load_b128 v[8:11], v99 offset:2048
	s_wait_dscnt 0x0
	v_mul_f64_e32 v[12:13], v[6:7], v[10:11]
	v_mul_f64_e32 v[14:15], v[4:5], v[10:11]
	v_fma_f64 v[12:13], v[4:5], v[8:9], -v[12:13]
	s_delay_alu instid0(VALU_DEP_2) | instskip(NEXT) | instid1(VALU_DEP_2)
	v_fmac_f64_e32 v[14:15], v[6:7], v[8:9]
	v_add_f64_e32 v[50:51], v[50:51], v[12:13]
	s_delay_alu instid0(VALU_DEP_2) | instskip(SKIP_4) | instid1(VALU_DEP_2)
	v_add_f64_e32 v[52:53], v[14:15], v[52:53]
	ds_load_b128 v[12:15], v99 offset:2304
	s_wait_dscnt 0x0
	v_mul_f64_e32 v[16:17], v[6:7], v[14:15]
	v_mul_f64_e32 v[18:19], v[4:5], v[14:15]
	v_fma_f64 v[16:17], v[4:5], v[12:13], -v[16:17]
	s_delay_alu instid0(VALU_DEP_2) | instskip(NEXT) | instid1(VALU_DEP_2)
	;; [unrolled: 10-line block ×3, first 2 shown]
	v_fmac_f64_e32 v[22:23], v[6:7], v[16:17]
	v_add_f64_e32 v[110:111], v[42:43], v[20:21]
	s_delay_alu instid0(VALU_DEP_2) | instskip(SKIP_3) | instid1(VALU_DEP_1)
	v_add_f64_e32 v[44:45], v[22:23], v[44:45]
	ds_load_b128 v[20:23], v99 offset:2816
	s_wait_dscnt 0x0
	v_mul_f64_e32 v[42:43], v[6:7], v[22:23]
	v_fma_f64 v[42:43], v[4:5], v[20:21], -v[42:43]
	v_mul_f64_e32 v[4:5], v[4:5], v[22:23]
	s_delay_alu instid0(VALU_DEP_2) | instskip(NEXT) | instid1(VALU_DEP_2)
	v_add_f64_e32 v[112:113], v[38:39], v[42:43]
	v_fmac_f64_e32 v[4:5], v[6:7], v[20:21]
	s_delay_alu instid0(VALU_DEP_1) | instskip(SKIP_4) | instid1(VALU_DEP_2)
	v_add_f64_e32 v[114:115], v[4:5], v[40:41]
	ds_load_b128 v[4:7], v98 offset:1056
	s_wait_dscnt 0x0
	v_mul_f64_e32 v[38:39], v[6:7], v[10:11]
	v_mul_f64_e32 v[40:41], v[4:5], v[10:11]
	v_fma_f64 v[38:39], v[4:5], v[8:9], -v[38:39]
	s_delay_alu instid0(VALU_DEP_2) | instskip(NEXT) | instid1(VALU_DEP_2)
	v_fmac_f64_e32 v[40:41], v[6:7], v[8:9]
	v_add_f64_e32 v[70:71], v[70:71], v[38:39]
	v_mul_f64_e32 v[38:39], v[6:7], v[14:15]
	s_delay_alu instid0(VALU_DEP_3) | instskip(SKIP_1) | instid1(VALU_DEP_3)
	v_add_f64_e32 v[72:73], v[40:41], v[72:73]
	v_mul_f64_e32 v[40:41], v[4:5], v[14:15]
	v_fma_f64 v[38:39], v[4:5], v[12:13], -v[38:39]
	s_delay_alu instid0(VALU_DEP_2) | instskip(NEXT) | instid1(VALU_DEP_2)
	v_fmac_f64_e32 v[40:41], v[6:7], v[12:13]
	v_add_f64_e32 v[74:75], v[74:75], v[38:39]
	v_mul_f64_e32 v[38:39], v[6:7], v[18:19]
	s_delay_alu instid0(VALU_DEP_3) | instskip(SKIP_1) | instid1(VALU_DEP_3)
	v_add_f64_e32 v[76:77], v[40:41], v[76:77]
	v_mul_f64_e32 v[40:41], v[4:5], v[18:19]
	v_fma_f64 v[38:39], v[4:5], v[16:17], -v[38:39]
	s_delay_alu instid0(VALU_DEP_2) | instskip(NEXT) | instid1(VALU_DEP_2)
	v_fmac_f64_e32 v[40:41], v[6:7], v[16:17]
	v_add_f64_e32 v[116:117], v[78:79], v[38:39]
	v_mul_f64_e32 v[38:39], v[6:7], v[22:23]
	s_delay_alu instid0(VALU_DEP_3) | instskip(NEXT) | instid1(VALU_DEP_2)
	v_add_f64_e32 v[118:119], v[40:41], v[80:81]
	v_fma_f64 v[38:39], v[4:5], v[20:21], -v[38:39]
	v_mul_f64_e32 v[4:5], v[4:5], v[22:23]
	s_delay_alu instid0(VALU_DEP_2) | instskip(NEXT) | instid1(VALU_DEP_2)
	v_add_f64_e32 v[120:121], v[82:83], v[38:39]
	v_fmac_f64_e32 v[4:5], v[6:7], v[20:21]
	s_delay_alu instid0(VALU_DEP_1) | instskip(SKIP_4) | instid1(VALU_DEP_2)
	v_add_f64_e32 v[122:123], v[4:5], v[84:85]
	ds_load_b128 v[4:7], v98 offset:2080
	s_wait_dscnt 0x0
	v_mul_f64_e32 v[38:39], v[6:7], v[10:11]
	v_mul_f64_e32 v[40:41], v[4:5], v[10:11]
	v_fma_f64 v[38:39], v[4:5], v[8:9], -v[38:39]
	s_delay_alu instid0(VALU_DEP_2) | instskip(NEXT) | instid1(VALU_DEP_2)
	v_fmac_f64_e32 v[40:41], v[6:7], v[8:9]
	v_add_f64_e32 v[124:125], v[90:91], v[38:39]
	v_mul_f64_e32 v[38:39], v[6:7], v[14:15]
	s_delay_alu instid0(VALU_DEP_3) | instskip(SKIP_1) | instid1(VALU_DEP_3)
	v_add_f64_e32 v[126:127], v[40:41], v[92:93]
	v_mul_f64_e32 v[40:41], v[4:5], v[14:15]
	v_fma_f64 v[38:39], v[4:5], v[12:13], -v[38:39]
	s_delay_alu instid0(VALU_DEP_2) | instskip(NEXT) | instid1(VALU_DEP_2)
	v_fmac_f64_e32 v[40:41], v[6:7], v[12:13]
	v_add_f64_e32 v[128:129], v[94:95], v[38:39]
	v_mul_f64_e32 v[38:39], v[6:7], v[18:19]
	s_delay_alu instid0(VALU_DEP_3) | instskip(SKIP_1) | instid1(VALU_DEP_3)
	v_add_f64_e32 v[130:131], v[40:41], v[96:97]
	v_mul_f64_e32 v[40:41], v[4:5], v[18:19]
	v_fma_f64 v[38:39], v[4:5], v[16:17], -v[38:39]
	s_delay_alu instid0(VALU_DEP_2) | instskip(NEXT) | instid1(VALU_DEP_2)
	v_fmac_f64_e32 v[40:41], v[6:7], v[16:17]
	v_add_f64_e32 v[102:103], v[102:103], v[38:39]
	v_mul_f64_e32 v[38:39], v[6:7], v[22:23]
	s_delay_alu instid0(VALU_DEP_3) | instskip(NEXT) | instid1(VALU_DEP_2)
	v_add_f64_e32 v[104:105], v[40:41], v[104:105]
	v_fma_f64 v[38:39], v[4:5], v[20:21], -v[38:39]
	v_mul_f64_e32 v[4:5], v[4:5], v[22:23]
	s_delay_alu instid0(VALU_DEP_2) | instskip(NEXT) | instid1(VALU_DEP_2)
	v_add_f64_e32 v[106:107], v[106:107], v[38:39]
	v_fmac_f64_e32 v[4:5], v[6:7], v[20:21]
	s_delay_alu instid0(VALU_DEP_1) | instskip(SKIP_4) | instid1(VALU_DEP_2)
	v_add_f64_e32 v[108:109], v[4:5], v[108:109]
	ds_load_b128 v[4:7], v98 offset:3104
	s_wait_dscnt 0x0
	v_mul_f64_e32 v[38:39], v[6:7], v[10:11]
	v_mul_f64_e32 v[10:11], v[4:5], v[10:11]
	v_fma_f64 v[38:39], v[4:5], v[8:9], -v[38:39]
	s_delay_alu instid0(VALU_DEP_2) | instskip(SKIP_1) | instid1(VALU_DEP_3)
	v_fmac_f64_e32 v[10:11], v[6:7], v[8:9]
	v_mul_f64_e32 v[8:9], v[6:7], v[14:15]
	v_add_f64_e32 v[94:95], v[66:67], v[38:39]
	s_delay_alu instid0(VALU_DEP_3) | instskip(NEXT) | instid1(VALU_DEP_3)
	v_add_f64_e32 v[96:97], v[10:11], v[68:69]
	v_fma_f64 v[8:9], v[4:5], v[12:13], -v[8:9]
	v_mul_f64_e32 v[10:11], v[4:5], v[14:15]
	s_delay_alu instid0(VALU_DEP_2) | instskip(SKIP_1) | instid1(VALU_DEP_3)
	v_add_f64_e32 v[90:91], v[62:63], v[8:9]
	v_mul_f64_e32 v[8:9], v[6:7], v[18:19]
	v_fmac_f64_e32 v[10:11], v[6:7], v[12:13]
	ds_load_b128 v[12:15], v99 offset:3328
	v_fma_f64 v[8:9], v[4:5], v[16:17], -v[8:9]
	v_add_f64_e32 v[92:93], v[10:11], v[64:65]
	v_mul_f64_e32 v[10:11], v[4:5], v[18:19]
	s_delay_alu instid0(VALU_DEP_3) | instskip(SKIP_1) | instid1(VALU_DEP_3)
	v_add_f64_e32 v[86:87], v[58:59], v[8:9]
	v_mul_f64_e32 v[8:9], v[6:7], v[22:23]
	v_fmac_f64_e32 v[10:11], v[6:7], v[16:17]
	ds_load_b128 v[16:19], v99 offset:3072
	v_fma_f64 v[8:9], v[4:5], v[20:21], -v[8:9]
	v_mul_f64_e32 v[4:5], v[4:5], v[22:23]
	v_add_f64_e32 v[88:89], v[10:11], v[60:61]
	s_delay_alu instid0(VALU_DEP_3) | instskip(NEXT) | instid1(VALU_DEP_3)
	v_add_f64_e32 v[82:83], v[54:55], v[8:9]
	v_fmac_f64_e32 v[4:5], v[6:7], v[20:21]
	s_wait_dscnt 0x0
	v_mul_f64_e32 v[6:7], v[0:1], v[18:19]
	ds_load_b128 v[8:11], v99 offset:3584
	v_add_f64_e32 v[84:85], v[4:5], v[56:57]
	v_mul_f64_e32 v[4:5], v[2:3], v[18:19]
	v_fmac_f64_e32 v[6:7], v[2:3], v[16:17]
	s_delay_alu instid0(VALU_DEP_2) | instskip(NEXT) | instid1(VALU_DEP_2)
	v_fma_f64 v[4:5], v[0:1], v[16:17], -v[4:5]
	v_add_f64_e32 v[60:61], v[6:7], v[52:53]
	v_mul_f64_e32 v[6:7], v[0:1], v[14:15]
	s_delay_alu instid0(VALU_DEP_3) | instskip(SKIP_1) | instid1(VALU_DEP_3)
	v_add_f64_e32 v[58:59], v[50:51], v[4:5]
	v_mul_f64_e32 v[4:5], v[2:3], v[14:15]
	v_fmac_f64_e32 v[6:7], v[2:3], v[12:13]
	s_delay_alu instid0(VALU_DEP_2) | instskip(NEXT) | instid1(VALU_DEP_1)
	v_fma_f64 v[4:5], v[0:1], v[12:13], -v[4:5]
	v_add_f64_e32 v[42:43], v[46:47], v[4:5]
	s_delay_alu instid0(VALU_DEP_3) | instskip(SKIP_3) | instid1(VALU_DEP_2)
	v_add_f64_e32 v[46:47], v[6:7], v[48:49]
	s_wait_dscnt 0x0
	v_mul_f64_e32 v[4:5], v[2:3], v[10:11]
	v_mul_f64_e32 v[6:7], v[0:1], v[10:11]
	v_fma_f64 v[4:5], v[0:1], v[8:9], -v[4:5]
	s_delay_alu instid0(VALU_DEP_2) | instskip(NEXT) | instid1(VALU_DEP_2)
	v_fmac_f64_e32 v[6:7], v[2:3], v[8:9]
	v_add_f64_e32 v[38:39], v[110:111], v[4:5]
	s_delay_alu instid0(VALU_DEP_2) | instskip(SKIP_3) | instid1(VALU_DEP_1)
	v_add_f64_e32 v[40:41], v[6:7], v[44:45]
	ds_load_b128 v[4:7], v99 offset:3840
	s_wait_dscnt 0x0
	v_mul_f64_e32 v[20:21], v[2:3], v[6:7]
	v_fma_f64 v[20:21], v[0:1], v[4:5], -v[20:21]
	v_mul_f64_e32 v[0:1], v[0:1], v[6:7]
	s_delay_alu instid0(VALU_DEP_2) | instskip(NEXT) | instid1(VALU_DEP_2)
	v_add_f64_e32 v[20:21], v[112:113], v[20:21]
	v_fmac_f64_e32 v[0:1], v[2:3], v[4:5]
	s_delay_alu instid0(VALU_DEP_1) | instskip(SKIP_4) | instid1(VALU_DEP_2)
	v_add_f64_e32 v[22:23], v[0:1], v[114:115]
	ds_load_b128 v[0:3], v98 offset:1072
	s_wait_dscnt 0x0
	v_mul_f64_e32 v[44:45], v[2:3], v[18:19]
	v_mul_f64_e32 v[48:49], v[0:1], v[18:19]
	v_fma_f64 v[44:45], v[0:1], v[16:17], -v[44:45]
	s_delay_alu instid0(VALU_DEP_2) | instskip(NEXT) | instid1(VALU_DEP_2)
	v_fmac_f64_e32 v[48:49], v[2:3], v[16:17]
	v_add_f64_e32 v[78:79], v[70:71], v[44:45]
	v_mul_f64_e32 v[44:45], v[2:3], v[14:15]
	s_delay_alu instid0(VALU_DEP_3) | instskip(SKIP_1) | instid1(VALU_DEP_3)
	v_add_f64_e32 v[80:81], v[48:49], v[72:73]
	v_mul_f64_e32 v[48:49], v[0:1], v[14:15]
	v_fma_f64 v[44:45], v[0:1], v[12:13], -v[44:45]
	s_delay_alu instid0(VALU_DEP_2) | instskip(NEXT) | instid1(VALU_DEP_2)
	v_fmac_f64_e32 v[48:49], v[2:3], v[12:13]
	v_add_f64_e32 v[70:71], v[74:75], v[44:45]
	v_mul_f64_e32 v[44:45], v[2:3], v[10:11]
	s_delay_alu instid0(VALU_DEP_3) | instskip(SKIP_1) | instid1(VALU_DEP_3)
	v_add_f64_e32 v[74:75], v[48:49], v[76:77]
	v_mul_f64_e32 v[48:49], v[0:1], v[10:11]
	v_fma_f64 v[44:45], v[0:1], v[8:9], -v[44:45]
	s_delay_alu instid0(VALU_DEP_2) | instskip(NEXT) | instid1(VALU_DEP_2)
	v_fmac_f64_e32 v[48:49], v[2:3], v[8:9]
	v_add_f64_e32 v[62:63], v[116:117], v[44:45]
	v_mul_f64_e32 v[44:45], v[2:3], v[6:7]
	s_delay_alu instid0(VALU_DEP_3) | instskip(NEXT) | instid1(VALU_DEP_2)
	v_add_f64_e32 v[66:67], v[48:49], v[118:119]
	v_fma_f64 v[44:45], v[0:1], v[4:5], -v[44:45]
	v_mul_f64_e32 v[0:1], v[0:1], v[6:7]
	s_delay_alu instid0(VALU_DEP_2) | instskip(NEXT) | instid1(VALU_DEP_2)
	v_add_f64_e32 v[50:51], v[120:121], v[44:45]
	v_fmac_f64_e32 v[0:1], v[2:3], v[4:5]
	s_delay_alu instid0(VALU_DEP_1) | instskip(SKIP_4) | instid1(VALU_DEP_2)
	v_add_f64_e32 v[54:55], v[0:1], v[122:123]
	ds_load_b128 v[0:3], v98 offset:2096
	s_wait_dscnt 0x0
	v_mul_f64_e32 v[44:45], v[2:3], v[18:19]
	v_mul_f64_e32 v[48:49], v[0:1], v[18:19]
	v_fma_f64 v[44:45], v[0:1], v[16:17], -v[44:45]
	s_delay_alu instid0(VALU_DEP_2) | instskip(NEXT) | instid1(VALU_DEP_2)
	v_fmac_f64_e32 v[48:49], v[2:3], v[16:17]
	v_add_f64_e32 v[72:73], v[124:125], v[44:45]
	v_mul_f64_e32 v[44:45], v[2:3], v[14:15]
	s_delay_alu instid0(VALU_DEP_3) | instskip(SKIP_1) | instid1(VALU_DEP_3)
	v_add_f64_e32 v[76:77], v[48:49], v[126:127]
	v_mul_f64_e32 v[48:49], v[0:1], v[14:15]
	v_fma_f64 v[44:45], v[0:1], v[12:13], -v[44:45]
	s_delay_alu instid0(VALU_DEP_2) | instskip(NEXT) | instid1(VALU_DEP_2)
	v_fmac_f64_e32 v[48:49], v[2:3], v[12:13]
	v_add_f64_e32 v[64:65], v[128:129], v[44:45]
	v_mul_f64_e32 v[44:45], v[2:3], v[10:11]
	s_delay_alu instid0(VALU_DEP_3) | instskip(SKIP_1) | instid1(VALU_DEP_3)
	v_add_f64_e32 v[68:69], v[48:49], v[130:131]
	v_mul_f64_e32 v[48:49], v[0:1], v[10:11]
	v_fma_f64 v[44:45], v[0:1], v[8:9], -v[44:45]
	s_delay_alu instid0(VALU_DEP_2) | instskip(NEXT) | instid1(VALU_DEP_2)
	v_fmac_f64_e32 v[48:49], v[2:3], v[8:9]
	v_add_f64_e32 v[52:53], v[102:103], v[44:45]
	v_mul_f64_e32 v[44:45], v[2:3], v[6:7]
	s_delay_alu instid0(VALU_DEP_3) | instskip(NEXT) | instid1(VALU_DEP_2)
	v_add_f64_e32 v[56:57], v[48:49], v[104:105]
	v_fma_f64 v[44:45], v[0:1], v[4:5], -v[44:45]
	v_mul_f64_e32 v[0:1], v[0:1], v[6:7]
	s_delay_alu instid0(VALU_DEP_2) | instskip(NEXT) | instid1(VALU_DEP_2)
	v_add_f64_e32 v[44:45], v[106:107], v[44:45]
	v_fmac_f64_e32 v[0:1], v[2:3], v[4:5]
	s_delay_alu instid0(VALU_DEP_1)
	v_add_f64_e32 v[48:49], v[0:1], v[108:109]
	ds_load_b128 v[0:3], v98 offset:3120
	s_wait_dscnt 0x0
	s_barrier_signal -1
	s_barrier_wait -1
	v_mul_f64_e32 v[102:103], v[2:3], v[18:19]
	v_mul_f64_e32 v[18:19], v[0:1], v[18:19]
	s_delay_alu instid0(VALU_DEP_2) | instskip(NEXT) | instid1(VALU_DEP_2)
	v_fma_f64 v[102:103], v[0:1], v[16:17], -v[102:103]
	v_fmac_f64_e32 v[18:19], v[2:3], v[16:17]
	s_delay_alu instid0(VALU_DEP_2) | instskip(SKIP_2) | instid1(VALU_DEP_4)
	v_add_f64_e32 v[16:17], v[94:95], v[102:103]
	v_mul_f64_e32 v[94:95], v[2:3], v[14:15]
	v_mul_f64_e32 v[14:15], v[0:1], v[14:15]
	v_add_f64_e32 v[18:19], v[18:19], v[96:97]
	s_delay_alu instid0(VALU_DEP_3) | instskip(NEXT) | instid1(VALU_DEP_3)
	v_fma_f64 v[94:95], v[0:1], v[12:13], -v[94:95]
	v_fmac_f64_e32 v[14:15], v[2:3], v[12:13]
	s_delay_alu instid0(VALU_DEP_2) | instskip(SKIP_2) | instid1(VALU_DEP_4)
	v_add_f64_e32 v[12:13], v[90:91], v[94:95]
	v_mul_f64_e32 v[90:91], v[2:3], v[10:11]
	v_mul_f64_e32 v[10:11], v[0:1], v[10:11]
	v_add_f64_e32 v[14:15], v[14:15], v[92:93]
	s_delay_alu instid0(VALU_DEP_3) | instskip(NEXT) | instid1(VALU_DEP_3)
	v_fma_f64 v[90:91], v[0:1], v[8:9], -v[90:91]
	v_fmac_f64_e32 v[10:11], v[2:3], v[8:9]
	s_delay_alu instid0(VALU_DEP_2) | instskip(SKIP_1) | instid1(VALU_DEP_3)
	v_add_f64_e32 v[8:9], v[86:87], v[90:91]
	v_mul_f64_e32 v[86:87], v[2:3], v[6:7]
	v_add_f64_e32 v[10:11], v[10:11], v[88:89]
	s_delay_alu instid0(VALU_DEP_2) | instskip(SKIP_1) | instid1(VALU_DEP_2)
	v_fma_f64 v[86:87], v[0:1], v[4:5], -v[86:87]
	v_mul_f64_e32 v[0:1], v[0:1], v[6:7]
	v_add_f64_e32 v[82:83], v[82:83], v[86:87]
	s_delay_alu instid0(VALU_DEP_2) | instskip(NEXT) | instid1(VALU_DEP_1)
	v_fmac_f64_e32 v[0:1], v[2:3], v[4:5]
	v_add_f64_e32 v[84:85], v[0:1], v[84:85]
	s_cbranch_vccnz .LBB534_5
	s_branch .LBB534_7
.LBB534_6:                              ;   in Loop: Header=BB534_3 Depth=1
	v_mov_b64_e32 v[58:59], 0
	v_mov_b64_e32 v[60:61], 0
	;; [unrolled: 1-line block ×32, first 2 shown]
.LBB534_7:                              ;   in Loop: Header=BB534_3 Depth=1
	s_wait_kmcnt 0x0
	s_mul_u64 s[20:21], s[12:13], s[2:3]
	s_and_not1_b32 vcc_lo, exec_lo, s1
	s_lshl_b64 s[20:21], s[20:21], 4
	s_mov_b32 s23, -1
	s_add_nc_u64 s[20:21], s[48:49], s[20:21]
                                        ; implicit-def: $vgpr0_vgpr1
                                        ; implicit-def: $vgpr2_vgpr3
	s_cbranch_vccz .LBB534_9
; %bb.8:                                ;   in Loop: Header=BB534_3 Depth=1
	s_and_not1_b32 vcc_lo, exec_lo, s23
	s_cbranch_vccnz .LBB534_2
	s_branch .LBB534_10
.LBB534_9:                              ;   in Loop: Header=BB534_3 Depth=1
	s_wait_xcnt 0x0
	v_mul_f64_e32 v[0:1], s[8:9], v[60:61]
	v_mul_f64_e32 v[2:3], s[6:7], v[60:61]
	;; [unrolled: 1-line block ×8, first 2 shown]
	v_lshlrev_b64_e32 v[130:131], 4, v[26:27]
	v_lshl_add_u64 v[122:123], v[24:25], 4, s[20:21]
	v_mul_f64_e32 v[92:93], s[8:9], v[80:81]
	v_mul_f64_e32 v[90:91], s[6:7], v[80:81]
	;; [unrolled: 1-line block ×5, first 2 shown]
	v_add_nc_u64_e32 v[112:113], v[122:123], v[130:131]
	v_mul_f64_e32 v[104:105], s[6:7], v[66:67]
	v_mul_f64_e32 v[106:107], s[8:9], v[54:55]
	;; [unrolled: 1-line block ×13, first 2 shown]
	v_fma_f64 v[0:1], s[6:7], v[58:59], -v[0:1]
	v_fmac_f64_e32 v[2:3], s[8:9], v[58:59]
	v_fma_f64 v[4:5], s[6:7], v[42:43], -v[4:5]
	v_fmac_f64_e32 v[6:7], s[8:9], v[42:43]
	;; [unrolled: 2-line block ×4, first 2 shown]
	v_fmac_f64_e32 v[90:91], s[8:9], v[78:79]
	v_fmac_f64_e32 v[94:95], s[8:9], v[70:71]
	v_fma_f64 v[102:103], s[6:7], v[62:63], -v[102:103]
	v_fmac_f64_e32 v[104:105], s[8:9], v[62:63]
	v_fma_f64 v[106:107], s[6:7], v[50:51], -v[106:107]
	v_fmac_f64_e32 v[108:109], s[8:9], v[50:51]
	v_fmac_f64_e32 v[128:129], s[8:9], v[8:9]
	;; [unrolled: 1-line block ×5, first 2 shown]
	global_store_b128 v[112:113], v[0:3], off
	s_wait_xcnt 0x0
	v_mul_f64_e32 v[0:1], s[6:7], v[84:85]
	global_store_b128 v[112:113], v[4:7], off offset:256
	s_wait_xcnt 0x0
	v_mul_f64_e32 v[4:5], s[6:7], v[76:77]
	global_store_b128 v[112:113], v[34:37], off offset:512
	;; [unrolled: 3-line block ×3, first 2 shown]
	s_wait_xcnt 0x0
	v_mul_f64_e32 v[112:113], s[6:7], v[56:57]
	v_mul_f64_e32 v[6:7], s[8:9], v[10:11]
	;; [unrolled: 1-line block ×3, first 2 shown]
	v_fma_f64 v[88:89], s[6:7], v[78:79], -v[92:93]
	v_fma_f64 v[92:93], s[6:7], v[70:71], -v[96:97]
	;; [unrolled: 1-line block ×3, first 2 shown]
	v_add_nc_u64_e32 v[96:97], s[18:19], v[122:123]
	v_fma_f64 v[34:35], s[6:7], v[64:65], -v[114:115]
	v_fma_f64 v[110:111], s[6:7], v[52:53], -v[118:119]
	;; [unrolled: 1-line block ×5, first 2 shown]
	v_fmac_f64_e32 v[0:1], s[8:9], v[82:83]
	v_fmac_f64_e32 v[4:5], s[8:9], v[72:73]
	;; [unrolled: 1-line block ×4, first 2 shown]
	v_fma_f64 v[126:127], s[6:7], v[8:9], -v[6:7]
	v_fma_f64 v[6:7], s[6:7], v[82:83], -v[86:87]
	v_add_nc_u64_e32 v[86:87], s[18:19], v[96:97]
	v_add_nc_u64_e32 v[96:97], v[96:97], v[130:131]
	s_delay_alu instid0(VALU_DEP_2)
	v_add_nc_u64_e32 v[132:133], s[18:19], v[86:87]
	v_add_nc_u64_e32 v[86:87], v[86:87], v[130:131]
	s_clause 0x5
	global_store_b128 v[96:97], v[88:91], off
	global_store_b128 v[96:97], v[92:95], off offset:256
	global_store_b128 v[96:97], v[102:105], off offset:512
	;; [unrolled: 1-line block ×3, first 2 shown]
	global_store_b128 v[86:87], v[2:5], off
	global_store_b128 v[86:87], v[34:37], off offset:256
	v_add_nc_u64_e32 v[130:131], v[132:133], v[130:131]
	s_clause 0x3
	global_store_b128 v[86:87], v[110:113], off offset:512
	global_store_b128 v[86:87], v[114:117], off offset:768
	global_store_b128 v[130:131], v[118:121], off
	global_store_b128 v[130:131], v[122:125], off offset:256
	s_wait_xcnt 0x5
	v_add_nc_u64_e32 v[2:3], 0x300, v[130:131]
	s_clause 0x1
	global_store_b128 v[130:131], v[126:129], off offset:512
	global_store_b64 v[130:131], v[6:7], off offset:768
	s_cbranch_execnz .LBB534_2
.LBB534_10:                             ;   in Loop: Header=BB534_3 Depth=1
	s_mul_u64 s[24:25], s[46:47], s[2:3]
	s_wait_xcnt 0x1
	v_lshlrev_b64_e32 v[4:5], 4, v[26:27]
	s_wait_xcnt 0x0
	v_lshl_add_u64 v[6:7], s[24:25], 4, v[28:29]
	v_mul_f64_e32 v[36:37], s[8:9], v[60:61]
	v_mul_f64_e32 v[60:61], s[6:7], v[60:61]
	s_delay_alu instid0(VALU_DEP_3)
	v_add_nc_u64_e32 v[34:35], v[6:7], v[4:5]
	v_add_nc_u64_e32 v[6:7], s[16:17], v[6:7]
	global_load_b128 v[0:3], v[34:35], off
	v_fma_f64 v[36:37], s[6:7], v[58:59], -v[36:37]
	v_fmac_f64_e32 v[60:61], s[8:9], v[58:59]
	s_wait_loadcnt 0x0
	v_mul_f64_e32 v[86:87], s[40:41], v[2:3]
	v_mul_f64_e32 v[2:3], s[38:39], v[2:3]
	s_delay_alu instid0(VALU_DEP_2) | instskip(NEXT) | instid1(VALU_DEP_2)
	v_fma_f64 v[58:59], s[38:39], v[0:1], -v[86:87]
	v_fmac_f64_e32 v[2:3], s[40:41], v[0:1]
	s_delay_alu instid0(VALU_DEP_2) | instskip(NEXT) | instid1(VALU_DEP_2)
	v_add_f64_e32 v[0:1], v[36:37], v[58:59]
	v_add_f64_e32 v[2:3], v[60:61], v[2:3]
	v_lshl_add_u64 v[36:37], v[24:25], 4, s[20:21]
	v_mul_f64_e32 v[60:61], s[8:9], v[46:47]
	v_mul_f64_e32 v[46:47], s[6:7], v[46:47]
	s_delay_alu instid0(VALU_DEP_3)
	v_add_nc_u64_e32 v[58:59], v[36:37], v[4:5]
	global_store_b128 v[58:59], v[0:3], off
	global_load_b128 v[0:3], v[34:35], off offset:256
	v_fma_f64 v[60:61], s[6:7], v[42:43], -v[60:61]
	v_fmac_f64_e32 v[46:47], s[8:9], v[42:43]
	s_wait_loadcnt 0x0
	v_mul_f64_e32 v[86:87], s[40:41], v[2:3]
	v_mul_f64_e32 v[2:3], s[38:39], v[2:3]
	s_delay_alu instid0(VALU_DEP_2) | instskip(NEXT) | instid1(VALU_DEP_2)
	v_fma_f64 v[42:43], s[38:39], v[0:1], -v[86:87]
	v_fmac_f64_e32 v[2:3], s[40:41], v[0:1]
	s_delay_alu instid0(VALU_DEP_2) | instskip(NEXT) | instid1(VALU_DEP_2)
	v_add_f64_e32 v[0:1], v[60:61], v[42:43]
	v_add_f64_e32 v[2:3], v[46:47], v[2:3]
	v_mul_f64_e32 v[42:43], s[8:9], v[40:41]
	v_mul_f64_e32 v[40:41], s[6:7], v[40:41]
	global_store_b128 v[58:59], v[0:3], off offset:256
	global_load_b128 v[0:3], v[34:35], off offset:512
	v_fma_f64 v[42:43], s[6:7], v[38:39], -v[42:43]
	v_fmac_f64_e32 v[40:41], s[8:9], v[38:39]
	s_wait_loadcnt 0x0
	v_mul_f64_e32 v[46:47], s[40:41], v[2:3]
	v_mul_f64_e32 v[2:3], s[38:39], v[2:3]
	s_delay_alu instid0(VALU_DEP_2) | instskip(NEXT) | instid1(VALU_DEP_2)
	v_fma_f64 v[38:39], s[38:39], v[0:1], -v[46:47]
	v_fmac_f64_e32 v[2:3], s[40:41], v[0:1]
	s_delay_alu instid0(VALU_DEP_2) | instskip(NEXT) | instid1(VALU_DEP_2)
	v_add_f64_e32 v[0:1], v[42:43], v[38:39]
	v_add_f64_e32 v[2:3], v[40:41], v[2:3]
	global_store_b128 v[58:59], v[0:3], off offset:512
	global_load_b128 v[0:3], v[34:35], off offset:768
	s_wait_xcnt 0x0
	v_mul_f64_e32 v[34:35], s[8:9], v[22:23]
	v_mul_f64_e32 v[22:23], s[6:7], v[22:23]
	s_delay_alu instid0(VALU_DEP_2) | instskip(NEXT) | instid1(VALU_DEP_2)
	v_fma_f64 v[34:35], s[6:7], v[20:21], -v[34:35]
	v_fmac_f64_e32 v[22:23], s[8:9], v[20:21]
	s_wait_loadcnt 0x0
	v_mul_f64_e32 v[38:39], s[40:41], v[2:3]
	v_mul_f64_e32 v[2:3], s[38:39], v[2:3]
	s_delay_alu instid0(VALU_DEP_2) | instskip(NEXT) | instid1(VALU_DEP_2)
	v_fma_f64 v[20:21], s[38:39], v[0:1], -v[38:39]
	v_fmac_f64_e32 v[2:3], s[40:41], v[0:1]
	s_delay_alu instid0(VALU_DEP_2) | instskip(NEXT) | instid1(VALU_DEP_2)
	v_add_f64_e32 v[0:1], v[34:35], v[20:21]
	v_add_f64_e32 v[2:3], v[22:23], v[2:3]
	v_add_nc_u64_e32 v[20:21], v[6:7], v[4:5]
	v_mul_f64_e32 v[22:23], s[8:9], v[80:81]
	v_mul_f64_e32 v[34:35], s[6:7], v[80:81]
	v_add_nc_u64_e32 v[6:7], s[16:17], v[6:7]
	global_store_b128 v[58:59], v[0:3], off offset:768
	global_load_b128 v[0:3], v[20:21], off
	v_fma_f64 v[22:23], s[6:7], v[78:79], -v[22:23]
	v_fmac_f64_e32 v[34:35], s[8:9], v[78:79]
	s_wait_loadcnt 0x0
	v_mul_f64_e32 v[38:39], s[40:41], v[2:3]
	v_mul_f64_e32 v[2:3], s[38:39], v[2:3]
	s_delay_alu instid0(VALU_DEP_2) | instskip(NEXT) | instid1(VALU_DEP_2)
	v_fma_f64 v[38:39], s[38:39], v[0:1], -v[38:39]
	v_fmac_f64_e32 v[2:3], s[40:41], v[0:1]
	s_delay_alu instid0(VALU_DEP_2) | instskip(NEXT) | instid1(VALU_DEP_2)
	v_add_f64_e32 v[0:1], v[22:23], v[38:39]
	v_add_f64_e32 v[2:3], v[34:35], v[2:3]
	v_add_nc_u64_e32 v[22:23], s[18:19], v[36:37]
	v_mul_f64_e32 v[36:37], s[8:9], v[74:75]
	v_mul_f64_e32 v[38:39], s[6:7], v[74:75]
	s_delay_alu instid0(VALU_DEP_3)
	v_add_nc_u64_e32 v[34:35], v[22:23], v[4:5]
	v_add_nc_u64_e32 v[22:23], s[18:19], v[22:23]
	global_store_b128 v[34:35], v[0:3], off
	global_load_b128 v[0:3], v[20:21], off offset:256
	v_fma_f64 v[36:37], s[6:7], v[70:71], -v[36:37]
	v_fmac_f64_e32 v[38:39], s[8:9], v[70:71]
	s_wait_loadcnt 0x0
	v_mul_f64_e32 v[40:41], s[40:41], v[2:3]
	v_mul_f64_e32 v[2:3], s[38:39], v[2:3]
	s_delay_alu instid0(VALU_DEP_2) | instskip(NEXT) | instid1(VALU_DEP_2)
	v_fma_f64 v[40:41], s[38:39], v[0:1], -v[40:41]
	v_fmac_f64_e32 v[2:3], s[40:41], v[0:1]
	s_delay_alu instid0(VALU_DEP_2) | instskip(NEXT) | instid1(VALU_DEP_2)
	v_add_f64_e32 v[0:1], v[36:37], v[40:41]
	v_add_f64_e32 v[2:3], v[38:39], v[2:3]
	v_mul_f64_e32 v[36:37], s[8:9], v[66:67]
	v_mul_f64_e32 v[38:39], s[6:7], v[66:67]
	global_store_b128 v[34:35], v[0:3], off offset:256
	global_load_b128 v[0:3], v[20:21], off offset:512
	v_fma_f64 v[36:37], s[6:7], v[62:63], -v[36:37]
	v_fmac_f64_e32 v[38:39], s[8:9], v[62:63]
	s_wait_loadcnt 0x0
	v_mul_f64_e32 v[40:41], s[40:41], v[2:3]
	v_mul_f64_e32 v[2:3], s[38:39], v[2:3]
	s_delay_alu instid0(VALU_DEP_2) | instskip(NEXT) | instid1(VALU_DEP_2)
	v_fma_f64 v[40:41], s[38:39], v[0:1], -v[40:41]
	v_fmac_f64_e32 v[2:3], s[40:41], v[0:1]
	s_delay_alu instid0(VALU_DEP_2) | instskip(NEXT) | instid1(VALU_DEP_2)
	v_add_f64_e32 v[0:1], v[36:37], v[40:41]
	v_add_f64_e32 v[2:3], v[38:39], v[2:3]
	v_mul_f64_e32 v[36:37], s[6:7], v[54:55]
	global_store_b128 v[34:35], v[0:3], off offset:512
	global_load_b128 v[0:3], v[20:21], off offset:768
	s_wait_xcnt 0x0
	v_mul_f64_e32 v[20:21], s[8:9], v[54:55]
	v_fmac_f64_e32 v[36:37], s[8:9], v[50:51]
	s_delay_alu instid0(VALU_DEP_2) | instskip(SKIP_3) | instid1(VALU_DEP_2)
	v_fma_f64 v[20:21], s[6:7], v[50:51], -v[20:21]
	s_wait_loadcnt 0x0
	v_mul_f64_e32 v[38:39], s[40:41], v[2:3]
	v_mul_f64_e32 v[2:3], s[38:39], v[2:3]
	v_fma_f64 v[38:39], s[38:39], v[0:1], -v[38:39]
	s_delay_alu instid0(VALU_DEP_2) | instskip(NEXT) | instid1(VALU_DEP_2)
	v_fmac_f64_e32 v[2:3], s[40:41], v[0:1]
	v_add_f64_e32 v[0:1], v[20:21], v[38:39]
	s_delay_alu instid0(VALU_DEP_2) | instskip(SKIP_3) | instid1(VALU_DEP_1)
	v_add_f64_e32 v[2:3], v[36:37], v[2:3]
	v_add_nc_u64_e32 v[20:21], v[6:7], v[4:5]
	v_mul_f64_e32 v[36:37], s[6:7], v[76:77]
	v_add_nc_u64_e32 v[6:7], s[16:17], v[6:7]
	v_add_nc_u64_e32 v[6:7], v[6:7], v[4:5]
	global_store_b128 v[34:35], v[0:3], off offset:768
	global_load_b128 v[0:3], v[20:21], off
	v_mul_f64_e32 v[34:35], s[8:9], v[76:77]
	v_fmac_f64_e32 v[36:37], s[8:9], v[72:73]
	s_delay_alu instid0(VALU_DEP_2) | instskip(SKIP_3) | instid1(VALU_DEP_2)
	v_fma_f64 v[34:35], s[6:7], v[72:73], -v[34:35]
	s_wait_loadcnt 0x0
	v_mul_f64_e32 v[38:39], s[40:41], v[2:3]
	v_mul_f64_e32 v[2:3], s[38:39], v[2:3]
	v_fma_f64 v[38:39], s[38:39], v[0:1], -v[38:39]
	s_delay_alu instid0(VALU_DEP_2) | instskip(NEXT) | instid1(VALU_DEP_2)
	v_fmac_f64_e32 v[2:3], s[40:41], v[0:1]
	v_add_f64_e32 v[0:1], v[34:35], v[38:39]
	s_delay_alu instid0(VALU_DEP_2)
	v_add_f64_e32 v[2:3], v[36:37], v[2:3]
	v_add_nc_u64_e32 v[34:35], v[22:23], v[4:5]
	v_mul_f64_e32 v[36:37], s[8:9], v[68:69]
	v_mul_f64_e32 v[38:39], s[6:7], v[68:69]
	global_store_b128 v[34:35], v[0:3], off
	global_load_b128 v[0:3], v[20:21], off offset:256
	v_fma_f64 v[36:37], s[6:7], v[64:65], -v[36:37]
	v_fmac_f64_e32 v[38:39], s[8:9], v[64:65]
	s_wait_loadcnt 0x0
	v_mul_f64_e32 v[40:41], s[40:41], v[2:3]
	v_mul_f64_e32 v[2:3], s[38:39], v[2:3]
	s_delay_alu instid0(VALU_DEP_2) | instskip(NEXT) | instid1(VALU_DEP_2)
	v_fma_f64 v[40:41], s[38:39], v[0:1], -v[40:41]
	v_fmac_f64_e32 v[2:3], s[40:41], v[0:1]
	s_delay_alu instid0(VALU_DEP_2) | instskip(NEXT) | instid1(VALU_DEP_2)
	v_add_f64_e32 v[0:1], v[36:37], v[40:41]
	v_add_f64_e32 v[2:3], v[38:39], v[2:3]
	v_mul_f64_e32 v[36:37], s[8:9], v[56:57]
	v_mul_f64_e32 v[38:39], s[6:7], v[56:57]
	global_store_b128 v[34:35], v[0:3], off offset:256
	global_load_b128 v[0:3], v[20:21], off offset:512
	v_fma_f64 v[36:37], s[6:7], v[52:53], -v[36:37]
	v_fmac_f64_e32 v[38:39], s[8:9], v[52:53]
	s_wait_loadcnt 0x0
	v_mul_f64_e32 v[40:41], s[40:41], v[2:3]
	v_mul_f64_e32 v[2:3], s[38:39], v[2:3]
	s_delay_alu instid0(VALU_DEP_2) | instskip(NEXT) | instid1(VALU_DEP_2)
	v_fma_f64 v[40:41], s[38:39], v[0:1], -v[40:41]
	v_fmac_f64_e32 v[2:3], s[40:41], v[0:1]
	s_delay_alu instid0(VALU_DEP_2) | instskip(NEXT) | instid1(VALU_DEP_2)
	v_add_f64_e32 v[0:1], v[36:37], v[40:41]
	v_add_f64_e32 v[2:3], v[38:39], v[2:3]
	v_mul_f64_e32 v[36:37], s[6:7], v[48:49]
	global_store_b128 v[34:35], v[0:3], off offset:512
	global_load_b128 v[0:3], v[20:21], off offset:768
	s_wait_xcnt 0x0
	v_mul_f64_e32 v[20:21], s[8:9], v[48:49]
	v_fmac_f64_e32 v[36:37], s[8:9], v[44:45]
	s_delay_alu instid0(VALU_DEP_2) | instskip(SKIP_3) | instid1(VALU_DEP_2)
	v_fma_f64 v[20:21], s[6:7], v[44:45], -v[20:21]
	s_wait_loadcnt 0x0
	v_mul_f64_e32 v[38:39], s[40:41], v[2:3]
	v_mul_f64_e32 v[2:3], s[38:39], v[2:3]
	v_fma_f64 v[38:39], s[38:39], v[0:1], -v[38:39]
	s_delay_alu instid0(VALU_DEP_2) | instskip(NEXT) | instid1(VALU_DEP_2)
	v_fmac_f64_e32 v[2:3], s[40:41], v[0:1]
	v_add_f64_e32 v[0:1], v[20:21], v[38:39]
	s_delay_alu instid0(VALU_DEP_2)
	v_add_f64_e32 v[2:3], v[36:37], v[2:3]
	v_mul_f64_e32 v[20:21], s[8:9], v[18:19]
	v_mul_f64_e32 v[18:19], s[6:7], v[18:19]
	global_store_b128 v[34:35], v[0:3], off offset:768
	global_load_b128 v[0:3], v[6:7], off
	v_fma_f64 v[20:21], s[6:7], v[16:17], -v[20:21]
	v_fmac_f64_e32 v[18:19], s[8:9], v[16:17]
	s_wait_loadcnt 0x0
	v_mul_f64_e32 v[34:35], s[40:41], v[2:3]
	v_mul_f64_e32 v[2:3], s[38:39], v[2:3]
	s_delay_alu instid0(VALU_DEP_2) | instskip(NEXT) | instid1(VALU_DEP_2)
	v_fma_f64 v[16:17], s[38:39], v[0:1], -v[34:35]
	v_fmac_f64_e32 v[2:3], s[40:41], v[0:1]
	s_delay_alu instid0(VALU_DEP_2) | instskip(NEXT) | instid1(VALU_DEP_2)
	v_add_f64_e32 v[0:1], v[20:21], v[16:17]
	v_add_f64_e32 v[2:3], v[18:19], v[2:3]
	v_add_nc_u64_e32 v[16:17], s[18:19], v[22:23]
	s_delay_alu instid0(VALU_DEP_1)
	v_add_nc_u64_e32 v[4:5], v[16:17], v[4:5]
	v_mul_f64_e32 v[16:17], s[8:9], v[14:15]
	v_mul_f64_e32 v[14:15], s[6:7], v[14:15]
	global_store_b128 v[4:5], v[0:3], off
	global_load_b128 v[0:3], v[6:7], off offset:256
	v_fma_f64 v[16:17], s[6:7], v[12:13], -v[16:17]
	v_fmac_f64_e32 v[14:15], s[8:9], v[12:13]
	s_wait_loadcnt 0x0
	v_mul_f64_e32 v[18:19], s[40:41], v[2:3]
	v_mul_f64_e32 v[2:3], s[38:39], v[2:3]
	s_delay_alu instid0(VALU_DEP_2) | instskip(NEXT) | instid1(VALU_DEP_2)
	v_fma_f64 v[12:13], s[38:39], v[0:1], -v[18:19]
	v_fmac_f64_e32 v[2:3], s[40:41], v[0:1]
	s_delay_alu instid0(VALU_DEP_2) | instskip(NEXT) | instid1(VALU_DEP_2)
	v_add_f64_e32 v[0:1], v[16:17], v[12:13]
	v_add_f64_e32 v[2:3], v[14:15], v[2:3]
	v_mul_f64_e32 v[12:13], s[8:9], v[10:11]
	v_mul_f64_e32 v[10:11], s[6:7], v[10:11]
	global_store_b128 v[4:5], v[0:3], off offset:256
	global_load_b128 v[0:3], v[6:7], off offset:512
	v_fma_f64 v[12:13], s[6:7], v[8:9], -v[12:13]
	v_fmac_f64_e32 v[10:11], s[8:9], v[8:9]
	s_wait_loadcnt 0x0
	v_mul_f64_e32 v[14:15], s[40:41], v[2:3]
	v_mul_f64_e32 v[2:3], s[38:39], v[2:3]
	s_delay_alu instid0(VALU_DEP_2) | instskip(NEXT) | instid1(VALU_DEP_2)
	v_fma_f64 v[8:9], s[38:39], v[0:1], -v[14:15]
	v_fmac_f64_e32 v[2:3], s[40:41], v[0:1]
	s_delay_alu instid0(VALU_DEP_2) | instskip(NEXT) | instid1(VALU_DEP_2)
	v_add_f64_e32 v[0:1], v[12:13], v[8:9]
	v_add_f64_e32 v[2:3], v[10:11], v[2:3]
	v_mul_f64_e32 v[8:9], s[6:7], v[84:85]
	global_store_b128 v[4:5], v[0:3], off offset:512
	global_load_b128 v[0:3], v[6:7], off offset:768
	s_wait_xcnt 0x0
	v_mul_f64_e32 v[6:7], s[8:9], v[84:85]
	v_fmac_f64_e32 v[8:9], s[8:9], v[82:83]
	s_delay_alu instid0(VALU_DEP_2) | instskip(SKIP_3) | instid1(VALU_DEP_2)
	v_fma_f64 v[6:7], s[6:7], v[82:83], -v[6:7]
	s_wait_loadcnt 0x0
	v_mul_f64_e32 v[10:11], s[40:41], v[2:3]
	v_mul_f64_e32 v[2:3], s[38:39], v[2:3]
	v_fma_f64 v[10:11], s[38:39], v[0:1], -v[10:11]
	s_delay_alu instid0(VALU_DEP_2) | instskip(NEXT) | instid1(VALU_DEP_2)
	v_fmac_f64_e32 v[2:3], s[40:41], v[0:1]
	v_add_f64_e32 v[6:7], v[6:7], v[10:11]
	s_delay_alu instid0(VALU_DEP_2)
	v_add_f64_e32 v[0:1], v[8:9], v[2:3]
	v_add_nc_u64_e32 v[2:3], 0x300, v[4:5]
	global_store_b64 v[4:5], v[6:7], off offset:768
	s_branch .LBB534_2
.LBB534_11:
	s_sendmsg sendmsg(MSG_DEALLOC_VGPRS)
	s_endpgm
	.section	.rodata,"a",@progbits
	.p2align	6, 0x0
	.amdhsa_kernel _ZN12_GLOBAL__N_127rocblas_gemm_batched_kernelI19rocblas_complex_numIdELi16ELi16ELi64ELi64ELi4ELi64ELi4ELi4ELi64ELc67ELc78EKS2_S3_S2_EEvlllT_PT11_llS6_llS4_PT12_llPT13_lli
		.amdhsa_group_segment_fixed_size 8192
		.amdhsa_private_segment_fixed_size 0
		.amdhsa_kernarg_size 156
		.amdhsa_user_sgpr_count 2
		.amdhsa_user_sgpr_dispatch_ptr 0
		.amdhsa_user_sgpr_queue_ptr 0
		.amdhsa_user_sgpr_kernarg_segment_ptr 1
		.amdhsa_user_sgpr_dispatch_id 0
		.amdhsa_user_sgpr_kernarg_preload_length 0
		.amdhsa_user_sgpr_kernarg_preload_offset 0
		.amdhsa_user_sgpr_private_segment_size 0
		.amdhsa_wavefront_size32 1
		.amdhsa_uses_dynamic_stack 0
		.amdhsa_enable_private_segment 0
		.amdhsa_system_sgpr_workgroup_id_x 1
		.amdhsa_system_sgpr_workgroup_id_y 1
		.amdhsa_system_sgpr_workgroup_id_z 1
		.amdhsa_system_sgpr_workgroup_info 0
		.amdhsa_system_vgpr_workitem_id 1
		.amdhsa_next_free_vgpr 144
		.amdhsa_next_free_sgpr 52
		.amdhsa_named_barrier_count 0
		.amdhsa_reserve_vcc 1
		.amdhsa_float_round_mode_32 0
		.amdhsa_float_round_mode_16_64 0
		.amdhsa_float_denorm_mode_32 3
		.amdhsa_float_denorm_mode_16_64 3
		.amdhsa_fp16_overflow 0
		.amdhsa_memory_ordered 1
		.amdhsa_forward_progress 1
		.amdhsa_inst_pref_size 45
		.amdhsa_round_robin_scheduling 0
		.amdhsa_exception_fp_ieee_invalid_op 0
		.amdhsa_exception_fp_denorm_src 0
		.amdhsa_exception_fp_ieee_div_zero 0
		.amdhsa_exception_fp_ieee_overflow 0
		.amdhsa_exception_fp_ieee_underflow 0
		.amdhsa_exception_fp_ieee_inexact 0
		.amdhsa_exception_int_div_zero 0
	.end_amdhsa_kernel
	.section	.text._ZN12_GLOBAL__N_127rocblas_gemm_batched_kernelI19rocblas_complex_numIdELi16ELi16ELi64ELi64ELi4ELi64ELi4ELi4ELi64ELc67ELc78EKS2_S3_S2_EEvlllT_PT11_llS6_llS4_PT12_llPT13_lli,"axG",@progbits,_ZN12_GLOBAL__N_127rocblas_gemm_batched_kernelI19rocblas_complex_numIdELi16ELi16ELi64ELi64ELi4ELi64ELi4ELi4ELi64ELc67ELc78EKS2_S3_S2_EEvlllT_PT11_llS6_llS4_PT12_llPT13_lli,comdat
.Lfunc_end534:
	.size	_ZN12_GLOBAL__N_127rocblas_gemm_batched_kernelI19rocblas_complex_numIdELi16ELi16ELi64ELi64ELi4ELi64ELi4ELi4ELi64ELc67ELc78EKS2_S3_S2_EEvlllT_PT11_llS6_llS4_PT12_llPT13_lli, .Lfunc_end534-_ZN12_GLOBAL__N_127rocblas_gemm_batched_kernelI19rocblas_complex_numIdELi16ELi16ELi64ELi64ELi4ELi64ELi4ELi4ELi64ELc67ELc78EKS2_S3_S2_EEvlllT_PT11_llS6_llS4_PT12_llPT13_lli
                                        ; -- End function
	.set _ZN12_GLOBAL__N_127rocblas_gemm_batched_kernelI19rocblas_complex_numIdELi16ELi16ELi64ELi64ELi4ELi64ELi4ELi4ELi64ELc67ELc78EKS2_S3_S2_EEvlllT_PT11_llS6_llS4_PT12_llPT13_lli.num_vgpr, 144
	.set _ZN12_GLOBAL__N_127rocblas_gemm_batched_kernelI19rocblas_complex_numIdELi16ELi16ELi64ELi64ELi4ELi64ELi4ELi4ELi64ELc67ELc78EKS2_S3_S2_EEvlllT_PT11_llS6_llS4_PT12_llPT13_lli.num_agpr, 0
	.set _ZN12_GLOBAL__N_127rocblas_gemm_batched_kernelI19rocblas_complex_numIdELi16ELi16ELi64ELi64ELi4ELi64ELi4ELi4ELi64ELc67ELc78EKS2_S3_S2_EEvlllT_PT11_llS6_llS4_PT12_llPT13_lli.numbered_sgpr, 52
	.set _ZN12_GLOBAL__N_127rocblas_gemm_batched_kernelI19rocblas_complex_numIdELi16ELi16ELi64ELi64ELi4ELi64ELi4ELi4ELi64ELc67ELc78EKS2_S3_S2_EEvlllT_PT11_llS6_llS4_PT12_llPT13_lli.num_named_barrier, 0
	.set _ZN12_GLOBAL__N_127rocblas_gemm_batched_kernelI19rocblas_complex_numIdELi16ELi16ELi64ELi64ELi4ELi64ELi4ELi4ELi64ELc67ELc78EKS2_S3_S2_EEvlllT_PT11_llS6_llS4_PT12_llPT13_lli.private_seg_size, 0
	.set _ZN12_GLOBAL__N_127rocblas_gemm_batched_kernelI19rocblas_complex_numIdELi16ELi16ELi64ELi64ELi4ELi64ELi4ELi4ELi64ELc67ELc78EKS2_S3_S2_EEvlllT_PT11_llS6_llS4_PT12_llPT13_lli.uses_vcc, 1
	.set _ZN12_GLOBAL__N_127rocblas_gemm_batched_kernelI19rocblas_complex_numIdELi16ELi16ELi64ELi64ELi4ELi64ELi4ELi4ELi64ELc67ELc78EKS2_S3_S2_EEvlllT_PT11_llS6_llS4_PT12_llPT13_lli.uses_flat_scratch, 0
	.set _ZN12_GLOBAL__N_127rocblas_gemm_batched_kernelI19rocblas_complex_numIdELi16ELi16ELi64ELi64ELi4ELi64ELi4ELi4ELi64ELc67ELc78EKS2_S3_S2_EEvlllT_PT11_llS6_llS4_PT12_llPT13_lli.has_dyn_sized_stack, 0
	.set _ZN12_GLOBAL__N_127rocblas_gemm_batched_kernelI19rocblas_complex_numIdELi16ELi16ELi64ELi64ELi4ELi64ELi4ELi4ELi64ELc67ELc78EKS2_S3_S2_EEvlllT_PT11_llS6_llS4_PT12_llPT13_lli.has_recursion, 0
	.set _ZN12_GLOBAL__N_127rocblas_gemm_batched_kernelI19rocblas_complex_numIdELi16ELi16ELi64ELi64ELi4ELi64ELi4ELi4ELi64ELc67ELc78EKS2_S3_S2_EEvlllT_PT11_llS6_llS4_PT12_llPT13_lli.has_indirect_call, 0
	.section	.AMDGPU.csdata,"",@progbits
; Kernel info:
; codeLenInByte = 5652
; TotalNumSgprs: 54
; NumVgprs: 144
; ScratchSize: 0
; MemoryBound: 0
; FloatMode: 240
; IeeeMode: 1
; LDSByteSize: 8192 bytes/workgroup (compile time only)
; SGPRBlocks: 0
; VGPRBlocks: 8
; NumSGPRsForWavesPerEU: 54
; NumVGPRsForWavesPerEU: 144
; NamedBarCnt: 0
; Occupancy: 7
; WaveLimiterHint : 1
; COMPUTE_PGM_RSRC2:SCRATCH_EN: 0
; COMPUTE_PGM_RSRC2:USER_SGPR: 2
; COMPUTE_PGM_RSRC2:TRAP_HANDLER: 0
; COMPUTE_PGM_RSRC2:TGID_X_EN: 1
; COMPUTE_PGM_RSRC2:TGID_Y_EN: 1
; COMPUTE_PGM_RSRC2:TGID_Z_EN: 1
; COMPUTE_PGM_RSRC2:TIDIG_COMP_CNT: 1
	.section	.text._ZN12_GLOBAL__N_127rocblas_gemm_batched_kernelI19rocblas_complex_numIdELi16ELi16ELi64ELi64ELi4ELi64ELi4ELi4ELi64ELc67ELc84EKS2_S3_S2_EEvlllT_PT11_llS6_llS4_PT12_llPT13_lli,"axG",@progbits,_ZN12_GLOBAL__N_127rocblas_gemm_batched_kernelI19rocblas_complex_numIdELi16ELi16ELi64ELi64ELi4ELi64ELi4ELi4ELi64ELc67ELc84EKS2_S3_S2_EEvlllT_PT11_llS6_llS4_PT12_llPT13_lli,comdat
	.globl	_ZN12_GLOBAL__N_127rocblas_gemm_batched_kernelI19rocblas_complex_numIdELi16ELi16ELi64ELi64ELi4ELi64ELi4ELi4ELi64ELc67ELc84EKS2_S3_S2_EEvlllT_PT11_llS6_llS4_PT12_llPT13_lli ; -- Begin function _ZN12_GLOBAL__N_127rocblas_gemm_batched_kernelI19rocblas_complex_numIdELi16ELi16ELi64ELi64ELi4ELi64ELi4ELi4ELi64ELc67ELc84EKS2_S3_S2_EEvlllT_PT11_llS6_llS4_PT12_llPT13_lli
	.p2align	8
	.type	_ZN12_GLOBAL__N_127rocblas_gemm_batched_kernelI19rocblas_complex_numIdELi16ELi16ELi64ELi64ELi4ELi64ELi4ELi4ELi64ELc67ELc84EKS2_S3_S2_EEvlllT_PT11_llS6_llS4_PT12_llPT13_lli,@function
_ZN12_GLOBAL__N_127rocblas_gemm_batched_kernelI19rocblas_complex_numIdELi16ELi16ELi64ELi64ELi4ELi64ELi4ELi4ELi64ELc67ELc84EKS2_S3_S2_EEvlllT_PT11_llS6_llS4_PT12_llPT13_lli: ; @_ZN12_GLOBAL__N_127rocblas_gemm_batched_kernelI19rocblas_complex_numIdELi16ELi16ELi64ELi64ELi4ELi64ELi4ELi4ELi64ELc67ELc84EKS2_S3_S2_EEvlllT_PT11_llS6_llS4_PT12_llPT13_lli
; %bb.0:
	s_load_b32 s24, s[0:1], 0x98
	s_bfe_u32 s2, ttmp6, 0x40014
	s_lshr_b32 s3, ttmp7, 16
	s_add_co_i32 s2, s2, 1
	s_bfe_u32 s4, ttmp6, 0x40008
	s_mul_i32 s2, s3, s2
	s_getreg_b32 s20, hwreg(HW_REG_IB_STS2, 6, 4)
	s_add_co_i32 s4, s4, s2
	s_cmp_eq_u32 s20, 0
	s_cselect_b32 s2, s3, s4
	s_mov_b32 s3, 0
	s_wait_kmcnt 0x0
	s_cmp_ge_i32 s2, s24
	s_cbranch_scc1 .LBB535_11
; %bb.1:
	s_bfe_u32 s21, ttmp6, 0x4000c
	s_bfe_u32 s23, ttmp6, 0x40010
	s_add_co_i32 s21, s21, 1
	s_and_b32 s25, ttmp7, 0xffff
	s_add_co_i32 s23, s23, 1
	v_bfe_u32 v2, v0, 10, 10
	v_and_b32_e32 v4, 0x3ff, v0
	s_clause 0x1
	s_load_b512 s[4:19], s[0:1], 0x10
	s_load_b512 s[36:51], s[0:1], 0x50
	s_and_b32 s22, ttmp6, 15
	s_mul_i32 s21, ttmp9, s21
	s_mul_i32 s23, s25, s23
	s_bfe_u32 s26, ttmp6, 0x40004
	s_add_co_i32 s22, s22, s21
	s_add_co_i32 s26, s26, s23
	s_cmp_eq_u32 s20, 0
	v_lshl_add_u32 v1, v2, 4, v4
	s_cselect_b32 s20, ttmp9, s22
	s_cselect_b32 s22, s25, s26
	s_ashr_i32 s21, s20, 31
	v_mov_b32_e32 v3, 0
	s_lshl_b64 s[20:21], s[20:21], 6
	s_delay_alu instid0(SALU_CYCLE_1) | instskip(NEXT) | instid1(VALU_DEP_2)
	v_dual_mov_b32 v7, s21 :: v_dual_bitop2_b32 v16, 63, v1 bitop3:0x40
	v_dual_mov_b32 v11, v3 :: v_dual_lshrrev_b32 v10, 2, v1
	v_lshl_add_u32 v98, v2, 6, 0x1000
	s_delay_alu instid0(VALU_DEP_3)
	v_or_b32_e32 v6, s20, v16
	s_wait_kmcnt 0x0
	v_cmp_eq_f64_e64 s25, s[38:39], 0
	v_cmp_eq_f64_e64 s26, s[40:41], 0
	v_lshlrev_b32_e32 v99, 4, v4
	v_mul_u64_e32 v[6:7], s[12:13], v[6:7]
	s_lshl_b32 s12, s22, 6
	s_mov_b32 s13, s3
	s_lshl_b64 s[22:23], s[44:45], 4
	v_add_nc_u64_e32 v[8:9], s[12:13], v[2:3]
	v_add_nc_u64_e32 v[14:15], s[12:13], v[10:11]
	v_and_b32_e32 v11, 3, v0
	s_load_b64 s[12:13], s[0:1], 0x90
	s_wait_xcnt 0x0
	v_cmp_gt_i64_e64 s0, s[4:5], 0
	s_delay_alu instid0(VALU_DEP_4)
	v_mul_u64_e32 v[12:13], s[44:45], v[8:9]
	v_mul_u64_e32 v[24:25], s[50:51], v[8:9]
	v_lshrrev_b32_e32 v8, 6, v1
	v_mad_nc_u64_u32 v[0:1], s18, v11, v[14:15]
	v_dual_mov_b32 v5, v3 :: v_dual_lshlrev_b32 v9, 4, v11
	v_lshlrev_b32_e32 v14, 4, v16
	s_delay_alu instid0(VALU_DEP_4) | instskip(NEXT) | instid1(VALU_DEP_3)
	v_lshlrev_b32_e32 v2, 4, v8
	v_add_nc_u64_e32 v[26:27], s[20:21], v[4:5]
	s_delay_alu instid0(VALU_DEP_4)
	v_lshl_or_b32 v9, v10, 6, v9
	v_cndmask_b32_e64 v4, 0, 1, s0
	v_lshl_or_b32 v100, v8, 10, v14
	s_lshl_b64 s[20:21], s[50:51], 4
	v_mad_u32 v1, s19, v11, v1
	v_add_nc_u32_e32 v101, 0x1000, v9
	v_cmp_ne_u32_e64 s0, 1, v4
	s_lshl_b64 s[20:21], s[20:21], 4
	s_and_b32 s1, s25, s26
	v_lshl_add_u64 v[2:3], v[6:7], 4, v[2:3]
	v_lshl_add_u64 v[32:33], v[0:1], 4, s[16:17]
	s_delay_alu instid0(VALU_DEP_2)
	v_add_nc_u64_e32 v[2:3], s[10:11], v[2:3]
	s_lshl_b64 s[10:11], s[14:15], 4
	s_lshl_b64 s[14:15], s[36:37], 4
	;; [unrolled: 1-line block ×4, first 2 shown]
	v_lshl_add_u64 v[28:29], v[12:13], 4, s[42:43]
	s_delay_alu instid0(VALU_DEP_2)
	v_add_nc_u64_e32 v[30:31], 8, v[2:3]
	s_branch .LBB535_3
.LBB535_2:                              ;   in Loop: Header=BB535_3 Depth=1
	s_add_co_i32 s2, s2, 0x10000
	global_store_b64 v[2:3], v[0:1], off offset:8
	s_cmp_lt_i32 s2, s24
	s_cbranch_scc0 .LBB535_11
.LBB535_3:                              ; =>This Loop Header: Depth=1
                                        ;     Child Loop BB535_5 Depth 2
	s_and_b32 vcc_lo, exec_lo, s0
	s_cbranch_vccnz .LBB535_6
; %bb.4:                                ;   in Loop: Header=BB535_3 Depth=1
	s_wait_xcnt 0x7
	s_delay_alu instid0(VALU_DEP_1)
	v_mad_nc_u64_u32 v[34:35], s10, s2, v[30:31]
	v_mad_nc_u64_u32 v[36:37], s14, s2, v[32:33]
	v_mov_b64_e32 v[84:85], 0
	v_mov_b64_e32 v[82:83], 0
	;; [unrolled: 1-line block ×9, first 2 shown]
	v_mad_u32 v35, s11, s2, v35
	v_mad_u32 v37, s15, s2, v37
	v_mov_b64_e32 v[44:45], 0
	v_mov_b64_e32 v[56:57], 0
	;; [unrolled: 1-line block ×23, first 2 shown]
	s_mov_b64 s[22:23], 0
.LBB535_5:                              ;   Parent Loop BB535_3 Depth=1
                                        ; =>  This Inner Loop Header: Depth=2
	global_load_b128 v[0:3], v[34:35], off offset:-8
	s_add_nc_u64 s[22:23], s[22:23], 4
	s_wait_xcnt 0x0
	v_add_nc_u64_e32 v[34:35], 64, v[34:35]
	v_cmp_lt_i64_e64 s25, s[22:23], s[4:5]
	s_and_b32 vcc_lo, exec_lo, s25
	s_wait_loadcnt 0x0
	v_xor_b32_e32 v3, 0x80000000, v3
	ds_store_b128 v100, v[0:3]
	global_load_b128 v[0:3], v[36:37], off
	s_wait_xcnt 0x0
	v_add_nc_u64_e32 v[36:37], s[16:17], v[36:37]
	s_wait_loadcnt 0x0
	ds_store_2addr_b64 v101, v[0:1], v[2:3] offset1:1
	s_wait_dscnt 0x0
	s_barrier_signal -1
	s_barrier_wait -1
	ds_load_b128 v[86:89], v98
	ds_load_b128 v[90:93], v98 offset:16
	ds_load_b128 v[4:7], v98 offset:32
	;; [unrolled: 1-line block ×3, first 2 shown]
	ds_load_b128 v[94:97], v99
	s_wait_dscnt 0x0
	v_mul_f64_e32 v[102:103], v[88:89], v[96:97]
	v_mul_f64_e32 v[104:105], v[86:87], v[96:97]
	s_delay_alu instid0(VALU_DEP_2) | instskip(NEXT) | instid1(VALU_DEP_2)
	v_fma_f64 v[102:103], v[86:87], v[94:95], -v[102:103]
	v_fmac_f64_e32 v[104:105], v[88:89], v[94:95]
	s_delay_alu instid0(VALU_DEP_2) | instskip(NEXT) | instid1(VALU_DEP_2)
	v_add_f64_e32 v[106:107], v[58:59], v[102:103]
	v_add_f64_e32 v[108:109], v[104:105], v[60:61]
	ds_load_b128 v[58:61], v99 offset:256
	s_wait_dscnt 0x0
	v_mul_f64_e32 v[102:103], v[88:89], v[60:61]
	v_mul_f64_e32 v[104:105], v[86:87], v[60:61]
	s_delay_alu instid0(VALU_DEP_2) | instskip(NEXT) | instid1(VALU_DEP_2)
	v_fma_f64 v[102:103], v[86:87], v[58:59], -v[102:103]
	v_fmac_f64_e32 v[104:105], v[88:89], v[58:59]
	s_delay_alu instid0(VALU_DEP_2) | instskip(NEXT) | instid1(VALU_DEP_2)
	v_add_f64_e32 v[42:43], v[42:43], v[102:103]
	v_add_f64_e32 v[110:111], v[104:105], v[46:47]
	ds_load_b128 v[102:105], v99 offset:512
	;; [unrolled: 10-line block ×3, first 2 shown]
	s_wait_dscnt 0x0
	v_mul_f64_e32 v[46:47], v[88:89], v[40:41]
	s_delay_alu instid0(VALU_DEP_1) | instskip(SKIP_1) | instid1(VALU_DEP_1)
	v_fma_f64 v[46:47], v[86:87], v[38:39], -v[46:47]
	v_mul_f64_e32 v[86:87], v[86:87], v[40:41]
	v_fmac_f64_e32 v[86:87], v[88:89], v[38:39]
	s_delay_alu instid0(VALU_DEP_3) | instskip(NEXT) | instid1(VALU_DEP_2)
	v_add_f64_e32 v[88:89], v[20:21], v[46:47]
	v_add_f64_e32 v[86:87], v[86:87], v[22:23]
	ds_load_b128 v[20:23], v98 offset:1024
	s_wait_dscnt 0x0
	v_mul_f64_e32 v[46:47], v[22:23], v[96:97]
	v_mul_f64_e32 v[116:117], v[20:21], v[96:97]
	s_delay_alu instid0(VALU_DEP_2) | instskip(NEXT) | instid1(VALU_DEP_2)
	v_fma_f64 v[46:47], v[20:21], v[94:95], -v[46:47]
	v_fmac_f64_e32 v[116:117], v[22:23], v[94:95]
	s_delay_alu instid0(VALU_DEP_2) | instskip(SKIP_1) | instid1(VALU_DEP_3)
	v_add_f64_e32 v[78:79], v[78:79], v[46:47]
	v_mul_f64_e32 v[46:47], v[22:23], v[60:61]
	v_add_f64_e32 v[80:81], v[116:117], v[80:81]
	v_mul_f64_e32 v[116:117], v[20:21], v[60:61]
	s_delay_alu instid0(VALU_DEP_3) | instskip(NEXT) | instid1(VALU_DEP_2)
	v_fma_f64 v[46:47], v[20:21], v[58:59], -v[46:47]
	v_fmac_f64_e32 v[116:117], v[22:23], v[58:59]
	s_delay_alu instid0(VALU_DEP_2) | instskip(SKIP_2) | instid1(VALU_DEP_4)
	v_add_f64_e32 v[118:119], v[70:71], v[46:47]
	v_mul_f64_e32 v[46:47], v[22:23], v[104:105]
	v_mul_f64_e32 v[70:71], v[20:21], v[104:105]
	v_add_f64_e32 v[116:117], v[116:117], v[74:75]
	s_delay_alu instid0(VALU_DEP_3) | instskip(NEXT) | instid1(VALU_DEP_3)
	v_fma_f64 v[46:47], v[20:21], v[102:103], -v[46:47]
	v_fmac_f64_e32 v[70:71], v[22:23], v[102:103]
	s_delay_alu instid0(VALU_DEP_2) | instskip(SKIP_1) | instid1(VALU_DEP_3)
	v_add_f64_e32 v[120:121], v[62:63], v[46:47]
	v_mul_f64_e32 v[46:47], v[22:23], v[40:41]
	v_add_f64_e32 v[122:123], v[70:71], v[66:67]
	s_delay_alu instid0(VALU_DEP_2) | instskip(SKIP_1) | instid1(VALU_DEP_2)
	v_fma_f64 v[46:47], v[20:21], v[38:39], -v[46:47]
	v_mul_f64_e32 v[20:21], v[20:21], v[40:41]
	v_add_f64_e32 v[124:125], v[50:51], v[46:47]
	s_delay_alu instid0(VALU_DEP_2) | instskip(NEXT) | instid1(VALU_DEP_1)
	v_fmac_f64_e32 v[20:21], v[22:23], v[38:39]
	v_add_f64_e32 v[126:127], v[20:21], v[54:55]
	ds_load_b128 v[20:23], v98 offset:2048
	s_wait_dscnt 0x0
	v_mul_f64_e32 v[46:47], v[22:23], v[96:97]
	v_mul_f64_e32 v[50:51], v[20:21], v[96:97]
	s_delay_alu instid0(VALU_DEP_2) | instskip(NEXT) | instid1(VALU_DEP_2)
	v_fma_f64 v[46:47], v[20:21], v[94:95], -v[46:47]
	v_fmac_f64_e32 v[50:51], v[22:23], v[94:95]
	s_delay_alu instid0(VALU_DEP_2) | instskip(SKIP_1) | instid1(VALU_DEP_3)
	v_add_f64_e32 v[128:129], v[72:73], v[46:47]
	v_mul_f64_e32 v[46:47], v[22:23], v[60:61]
	v_add_f64_e32 v[130:131], v[50:51], v[76:77]
	v_mul_f64_e32 v[50:51], v[20:21], v[60:61]
	s_delay_alu instid0(VALU_DEP_3) | instskip(NEXT) | instid1(VALU_DEP_2)
	v_fma_f64 v[46:47], v[20:21], v[58:59], -v[46:47]
	v_fmac_f64_e32 v[50:51], v[22:23], v[58:59]
	s_delay_alu instid0(VALU_DEP_2) | instskip(SKIP_1) | instid1(VALU_DEP_3)
	v_add_f64_e32 v[132:133], v[64:65], v[46:47]
	v_mul_f64_e32 v[46:47], v[22:23], v[104:105]
	v_add_f64_e32 v[134:135], v[50:51], v[68:69]
	v_mul_f64_e32 v[50:51], v[20:21], v[104:105]
	s_delay_alu instid0(VALU_DEP_3) | instskip(NEXT) | instid1(VALU_DEP_2)
	v_fma_f64 v[46:47], v[20:21], v[102:103], -v[46:47]
	v_fmac_f64_e32 v[50:51], v[22:23], v[102:103]
	s_delay_alu instid0(VALU_DEP_2) | instskip(SKIP_1) | instid1(VALU_DEP_3)
	v_add_f64_e32 v[136:137], v[52:53], v[46:47]
	v_mul_f64_e32 v[46:47], v[22:23], v[40:41]
	v_add_f64_e32 v[138:139], v[50:51], v[56:57]
	s_delay_alu instid0(VALU_DEP_2) | instskip(SKIP_1) | instid1(VALU_DEP_2)
	v_fma_f64 v[46:47], v[20:21], v[38:39], -v[46:47]
	v_mul_f64_e32 v[20:21], v[20:21], v[40:41]
	v_add_f64_e32 v[140:141], v[44:45], v[46:47]
	s_delay_alu instid0(VALU_DEP_2) | instskip(NEXT) | instid1(VALU_DEP_1)
	v_fmac_f64_e32 v[20:21], v[22:23], v[38:39]
	v_add_f64_e32 v[142:143], v[20:21], v[48:49]
	ds_load_b128 v[20:23], v98 offset:3072
	s_wait_dscnt 0x0
	v_mul_f64_e32 v[44:45], v[22:23], v[96:97]
	v_mul_f64_e32 v[46:47], v[20:21], v[96:97]
	s_delay_alu instid0(VALU_DEP_2) | instskip(NEXT) | instid1(VALU_DEP_2)
	v_fma_f64 v[44:45], v[20:21], v[94:95], -v[44:45]
	v_fmac_f64_e32 v[46:47], v[22:23], v[94:95]
	s_delay_alu instid0(VALU_DEP_2) | instskip(NEXT) | instid1(VALU_DEP_2)
	v_add_f64_e32 v[66:67], v[16:17], v[44:45]
	v_add_f64_e32 v[68:69], v[46:47], v[18:19]
	v_mul_f64_e32 v[16:17], v[22:23], v[60:61]
	v_mul_f64_e32 v[18:19], v[20:21], v[60:61]
	s_delay_alu instid0(VALU_DEP_2) | instskip(NEXT) | instid1(VALU_DEP_2)
	v_fma_f64 v[16:17], v[20:21], v[58:59], -v[16:17]
	v_fmac_f64_e32 v[18:19], v[22:23], v[58:59]
	s_delay_alu instid0(VALU_DEP_2) | instskip(NEXT) | instid1(VALU_DEP_2)
	v_add_f64_e32 v[62:63], v[12:13], v[16:17]
	v_add_f64_e32 v[64:65], v[18:19], v[14:15]
	v_mul_f64_e32 v[12:13], v[22:23], v[104:105]
	v_mul_f64_e32 v[14:15], v[20:21], v[104:105]
	ds_load_b128 v[16:19], v99 offset:1280
	v_fma_f64 v[12:13], v[20:21], v[102:103], -v[12:13]
	v_fmac_f64_e32 v[14:15], v[22:23], v[102:103]
	s_delay_alu instid0(VALU_DEP_2) | instskip(NEXT) | instid1(VALU_DEP_2)
	v_add_f64_e32 v[58:59], v[8:9], v[12:13]
	v_add_f64_e32 v[60:61], v[14:15], v[10:11]
	v_mul_f64_e32 v[8:9], v[22:23], v[40:41]
	v_mul_f64_e32 v[10:11], v[20:21], v[40:41]
	ds_load_b128 v[12:15], v99 offset:1536
	v_fma_f64 v[8:9], v[20:21], v[38:39], -v[8:9]
	v_fmac_f64_e32 v[10:11], v[22:23], v[38:39]
	ds_load_b128 v[20:23], v99 offset:1024
	v_add_f64_e32 v[54:55], v[82:83], v[8:9]
	v_add_f64_e32 v[56:57], v[10:11], v[84:85]
	ds_load_b128 v[82:85], v98 offset:1040
	s_wait_dscnt 0x1
	v_mul_f64_e32 v[8:9], v[92:93], v[22:23]
	v_mul_f64_e32 v[10:11], v[90:91], v[22:23]
	s_wait_dscnt 0x0
	v_mul_f64_e32 v[70:71], v[84:85], v[22:23]
	v_mul_f64_e32 v[72:73], v[82:83], v[22:23]
	;; [unrolled: 1-line block ×4, first 2 shown]
	v_fma_f64 v[8:9], v[90:91], v[20:21], -v[8:9]
	v_fmac_f64_e32 v[10:11], v[92:93], v[20:21]
	v_fma_f64 v[70:71], v[82:83], v[20:21], -v[70:71]
	v_fmac_f64_e32 v[72:73], v[84:85], v[20:21]
	;; [unrolled: 2-line block ×3, first 2 shown]
	v_add_f64_e32 v[50:51], v[106:107], v[8:9]
	v_add_f64_e32 v[52:53], v[10:11], v[108:109]
	v_mul_f64_e32 v[8:9], v[92:93], v[18:19]
	v_mul_f64_e32 v[10:11], v[90:91], v[18:19]
	v_add_f64_e32 v[70:71], v[78:79], v[70:71]
	v_add_f64_e32 v[72:73], v[72:73], v[80:81]
	v_mul_f64_e32 v[78:79], v[84:85], v[14:15]
	v_mul_f64_e32 v[80:81], v[82:83], v[14:15]
	v_add_f64_e32 v[74:75], v[118:119], v[74:75]
	v_add_f64_e32 v[76:77], v[76:77], v[116:117]
	v_fma_f64 v[8:9], v[90:91], v[16:17], -v[8:9]
	v_fmac_f64_e32 v[10:11], v[92:93], v[16:17]
	v_fma_f64 v[78:79], v[82:83], v[12:13], -v[78:79]
	v_fmac_f64_e32 v[80:81], v[84:85], v[12:13]
	s_delay_alu instid0(VALU_DEP_4) | instskip(NEXT) | instid1(VALU_DEP_4)
	v_add_f64_e32 v[46:47], v[42:43], v[8:9]
	v_add_f64_e32 v[48:49], v[10:11], v[110:111]
	v_mul_f64_e32 v[8:9], v[92:93], v[14:15]
	v_mul_f64_e32 v[10:11], v[90:91], v[14:15]
	v_add_f64_e32 v[78:79], v[120:121], v[78:79]
	v_add_f64_e32 v[80:81], v[80:81], v[122:123]
	s_delay_alu instid0(VALU_DEP_4) | instskip(NEXT) | instid1(VALU_DEP_4)
	v_fma_f64 v[8:9], v[90:91], v[12:13], -v[8:9]
	v_fmac_f64_e32 v[10:11], v[92:93], v[12:13]
	s_delay_alu instid0(VALU_DEP_2) | instskip(NEXT) | instid1(VALU_DEP_2)
	v_add_f64_e32 v[42:43], v[114:115], v[8:9]
	v_add_f64_e32 v[44:45], v[10:11], v[112:113]
	ds_load_b128 v[8:11], v99 offset:1792
	s_wait_dscnt 0x0
	v_mul_f64_e32 v[38:39], v[92:93], v[10:11]
	v_mul_f64_e32 v[40:41], v[90:91], v[10:11]
	s_delay_alu instid0(VALU_DEP_2) | instskip(NEXT) | instid1(VALU_DEP_2)
	v_fma_f64 v[38:39], v[90:91], v[8:9], -v[38:39]
	v_fmac_f64_e32 v[40:41], v[92:93], v[8:9]
	s_delay_alu instid0(VALU_DEP_2) | instskip(NEXT) | instid1(VALU_DEP_2)
	v_add_f64_e32 v[38:39], v[88:89], v[38:39]
	v_add_f64_e32 v[40:41], v[40:41], v[86:87]
	v_mul_f64_e32 v[86:87], v[84:85], v[10:11]
	v_mul_f64_e32 v[88:89], v[82:83], v[10:11]
	s_delay_alu instid0(VALU_DEP_2) | instskip(NEXT) | instid1(VALU_DEP_2)
	v_fma_f64 v[86:87], v[82:83], v[8:9], -v[86:87]
	v_fmac_f64_e32 v[88:89], v[84:85], v[8:9]
	s_delay_alu instid0(VALU_DEP_2) | instskip(NEXT) | instid1(VALU_DEP_2)
	v_add_f64_e32 v[82:83], v[124:125], v[86:87]
	v_add_f64_e32 v[84:85], v[88:89], v[126:127]
	ds_load_b128 v[86:89], v98 offset:2064
	s_wait_dscnt 0x0
	v_mul_f64_e32 v[90:91], v[88:89], v[22:23]
	v_mul_f64_e32 v[94:95], v[88:89], v[18:19]
	;; [unrolled: 1-line block ×7, first 2 shown]
	v_fma_f64 v[90:91], v[86:87], v[20:21], -v[90:91]
	v_fma_f64 v[94:95], v[86:87], v[16:17], -v[94:95]
	;; [unrolled: 1-line block ×4, first 2 shown]
	v_mul_f64_e32 v[86:87], v[86:87], v[10:11]
	v_fmac_f64_e32 v[92:93], v[88:89], v[20:21]
	v_fmac_f64_e32 v[96:97], v[88:89], v[16:17]
	;; [unrolled: 1-line block ×3, first 2 shown]
	v_add_f64_e32 v[90:91], v[128:129], v[90:91]
	v_add_f64_e32 v[94:95], v[132:133], v[94:95]
	;; [unrolled: 1-line block ×4, first 2 shown]
	v_fmac_f64_e32 v[86:87], v[88:89], v[8:9]
	v_add_f64_e32 v[92:93], v[92:93], v[130:131]
	v_add_f64_e32 v[96:97], v[96:97], v[134:135]
	;; [unrolled: 1-line block ×3, first 2 shown]
	s_delay_alu instid0(VALU_DEP_4) | instskip(SKIP_4) | instid1(VALU_DEP_2)
	v_add_f64_e32 v[108:109], v[86:87], v[142:143]
	ds_load_b128 v[86:89], v98 offset:3088
	s_wait_dscnt 0x0
	v_mul_f64_e32 v[110:111], v[88:89], v[22:23]
	v_mul_f64_e32 v[22:23], v[86:87], v[22:23]
	v_fma_f64 v[110:111], v[86:87], v[20:21], -v[110:111]
	s_delay_alu instid0(VALU_DEP_2) | instskip(SKIP_2) | instid1(VALU_DEP_4)
	v_fmac_f64_e32 v[22:23], v[88:89], v[20:21]
	v_mul_f64_e32 v[20:21], v[88:89], v[18:19]
	v_mul_f64_e32 v[18:19], v[86:87], v[18:19]
	v_add_f64_e32 v[66:67], v[66:67], v[110:111]
	s_delay_alu instid0(VALU_DEP_4) | instskip(NEXT) | instid1(VALU_DEP_4)
	v_add_f64_e32 v[68:69], v[22:23], v[68:69]
	v_fma_f64 v[20:21], v[86:87], v[16:17], -v[20:21]
	s_delay_alu instid0(VALU_DEP_4) | instskip(SKIP_2) | instid1(VALU_DEP_4)
	v_fmac_f64_e32 v[18:19], v[88:89], v[16:17]
	v_mul_f64_e32 v[16:17], v[88:89], v[14:15]
	v_mul_f64_e32 v[14:15], v[86:87], v[14:15]
	v_add_f64_e32 v[62:63], v[62:63], v[20:21]
	s_delay_alu instid0(VALU_DEP_4) | instskip(NEXT) | instid1(VALU_DEP_4)
	v_add_f64_e32 v[64:65], v[18:19], v[64:65]
	v_fma_f64 v[16:17], v[86:87], v[12:13], -v[16:17]
	s_delay_alu instid0(VALU_DEP_4) | instskip(SKIP_2) | instid1(VALU_DEP_4)
	v_fmac_f64_e32 v[14:15], v[88:89], v[12:13]
	v_mul_f64_e32 v[12:13], v[88:89], v[10:11]
	v_mul_f64_e32 v[10:11], v[86:87], v[10:11]
	v_add_f64_e32 v[58:59], v[58:59], v[16:17]
	s_delay_alu instid0(VALU_DEP_4) | instskip(NEXT) | instid1(VALU_DEP_4)
	v_add_f64_e32 v[60:61], v[14:15], v[60:61]
	v_fma_f64 v[12:13], v[86:87], v[8:9], -v[12:13]
	s_delay_alu instid0(VALU_DEP_4) | instskip(NEXT) | instid1(VALU_DEP_2)
	v_fmac_f64_e32 v[10:11], v[88:89], v[8:9]
	v_add_f64_e32 v[54:55], v[54:55], v[12:13]
	s_delay_alu instid0(VALU_DEP_2) | instskip(SKIP_4) | instid1(VALU_DEP_2)
	v_add_f64_e32 v[56:57], v[10:11], v[56:57]
	ds_load_b128 v[8:11], v99 offset:2048
	s_wait_dscnt 0x0
	v_mul_f64_e32 v[12:13], v[6:7], v[10:11]
	v_mul_f64_e32 v[14:15], v[4:5], v[10:11]
	v_fma_f64 v[12:13], v[4:5], v[8:9], -v[12:13]
	s_delay_alu instid0(VALU_DEP_2) | instskip(NEXT) | instid1(VALU_DEP_2)
	v_fmac_f64_e32 v[14:15], v[6:7], v[8:9]
	v_add_f64_e32 v[50:51], v[50:51], v[12:13]
	s_delay_alu instid0(VALU_DEP_2) | instskip(SKIP_4) | instid1(VALU_DEP_2)
	v_add_f64_e32 v[52:53], v[14:15], v[52:53]
	ds_load_b128 v[12:15], v99 offset:2304
	s_wait_dscnt 0x0
	v_mul_f64_e32 v[16:17], v[6:7], v[14:15]
	v_mul_f64_e32 v[18:19], v[4:5], v[14:15]
	v_fma_f64 v[16:17], v[4:5], v[12:13], -v[16:17]
	s_delay_alu instid0(VALU_DEP_2) | instskip(NEXT) | instid1(VALU_DEP_2)
	;; [unrolled: 10-line block ×3, first 2 shown]
	v_fmac_f64_e32 v[22:23], v[6:7], v[16:17]
	v_add_f64_e32 v[110:111], v[42:43], v[20:21]
	s_delay_alu instid0(VALU_DEP_2) | instskip(SKIP_3) | instid1(VALU_DEP_1)
	v_add_f64_e32 v[44:45], v[22:23], v[44:45]
	ds_load_b128 v[20:23], v99 offset:2816
	s_wait_dscnt 0x0
	v_mul_f64_e32 v[42:43], v[6:7], v[22:23]
	v_fma_f64 v[42:43], v[4:5], v[20:21], -v[42:43]
	v_mul_f64_e32 v[4:5], v[4:5], v[22:23]
	s_delay_alu instid0(VALU_DEP_2) | instskip(NEXT) | instid1(VALU_DEP_2)
	v_add_f64_e32 v[112:113], v[38:39], v[42:43]
	v_fmac_f64_e32 v[4:5], v[6:7], v[20:21]
	s_delay_alu instid0(VALU_DEP_1) | instskip(SKIP_4) | instid1(VALU_DEP_2)
	v_add_f64_e32 v[114:115], v[4:5], v[40:41]
	ds_load_b128 v[4:7], v98 offset:1056
	s_wait_dscnt 0x0
	v_mul_f64_e32 v[38:39], v[6:7], v[10:11]
	v_mul_f64_e32 v[40:41], v[4:5], v[10:11]
	v_fma_f64 v[38:39], v[4:5], v[8:9], -v[38:39]
	s_delay_alu instid0(VALU_DEP_2) | instskip(NEXT) | instid1(VALU_DEP_2)
	v_fmac_f64_e32 v[40:41], v[6:7], v[8:9]
	v_add_f64_e32 v[70:71], v[70:71], v[38:39]
	v_mul_f64_e32 v[38:39], v[6:7], v[14:15]
	s_delay_alu instid0(VALU_DEP_3) | instskip(SKIP_1) | instid1(VALU_DEP_3)
	v_add_f64_e32 v[72:73], v[40:41], v[72:73]
	v_mul_f64_e32 v[40:41], v[4:5], v[14:15]
	v_fma_f64 v[38:39], v[4:5], v[12:13], -v[38:39]
	s_delay_alu instid0(VALU_DEP_2) | instskip(NEXT) | instid1(VALU_DEP_2)
	v_fmac_f64_e32 v[40:41], v[6:7], v[12:13]
	v_add_f64_e32 v[74:75], v[74:75], v[38:39]
	v_mul_f64_e32 v[38:39], v[6:7], v[18:19]
	s_delay_alu instid0(VALU_DEP_3) | instskip(SKIP_1) | instid1(VALU_DEP_3)
	v_add_f64_e32 v[76:77], v[40:41], v[76:77]
	v_mul_f64_e32 v[40:41], v[4:5], v[18:19]
	v_fma_f64 v[38:39], v[4:5], v[16:17], -v[38:39]
	s_delay_alu instid0(VALU_DEP_2) | instskip(NEXT) | instid1(VALU_DEP_2)
	v_fmac_f64_e32 v[40:41], v[6:7], v[16:17]
	v_add_f64_e32 v[116:117], v[78:79], v[38:39]
	v_mul_f64_e32 v[38:39], v[6:7], v[22:23]
	s_delay_alu instid0(VALU_DEP_3) | instskip(NEXT) | instid1(VALU_DEP_2)
	v_add_f64_e32 v[118:119], v[40:41], v[80:81]
	v_fma_f64 v[38:39], v[4:5], v[20:21], -v[38:39]
	v_mul_f64_e32 v[4:5], v[4:5], v[22:23]
	s_delay_alu instid0(VALU_DEP_2) | instskip(NEXT) | instid1(VALU_DEP_2)
	v_add_f64_e32 v[120:121], v[82:83], v[38:39]
	v_fmac_f64_e32 v[4:5], v[6:7], v[20:21]
	s_delay_alu instid0(VALU_DEP_1) | instskip(SKIP_4) | instid1(VALU_DEP_2)
	v_add_f64_e32 v[122:123], v[4:5], v[84:85]
	ds_load_b128 v[4:7], v98 offset:2080
	s_wait_dscnt 0x0
	v_mul_f64_e32 v[38:39], v[6:7], v[10:11]
	v_mul_f64_e32 v[40:41], v[4:5], v[10:11]
	v_fma_f64 v[38:39], v[4:5], v[8:9], -v[38:39]
	s_delay_alu instid0(VALU_DEP_2) | instskip(NEXT) | instid1(VALU_DEP_2)
	v_fmac_f64_e32 v[40:41], v[6:7], v[8:9]
	v_add_f64_e32 v[124:125], v[90:91], v[38:39]
	v_mul_f64_e32 v[38:39], v[6:7], v[14:15]
	s_delay_alu instid0(VALU_DEP_3) | instskip(SKIP_1) | instid1(VALU_DEP_3)
	v_add_f64_e32 v[126:127], v[40:41], v[92:93]
	v_mul_f64_e32 v[40:41], v[4:5], v[14:15]
	v_fma_f64 v[38:39], v[4:5], v[12:13], -v[38:39]
	s_delay_alu instid0(VALU_DEP_2) | instskip(NEXT) | instid1(VALU_DEP_2)
	v_fmac_f64_e32 v[40:41], v[6:7], v[12:13]
	v_add_f64_e32 v[128:129], v[94:95], v[38:39]
	v_mul_f64_e32 v[38:39], v[6:7], v[18:19]
	s_delay_alu instid0(VALU_DEP_3) | instskip(SKIP_1) | instid1(VALU_DEP_3)
	v_add_f64_e32 v[130:131], v[40:41], v[96:97]
	v_mul_f64_e32 v[40:41], v[4:5], v[18:19]
	v_fma_f64 v[38:39], v[4:5], v[16:17], -v[38:39]
	s_delay_alu instid0(VALU_DEP_2) | instskip(NEXT) | instid1(VALU_DEP_2)
	v_fmac_f64_e32 v[40:41], v[6:7], v[16:17]
	v_add_f64_e32 v[102:103], v[102:103], v[38:39]
	v_mul_f64_e32 v[38:39], v[6:7], v[22:23]
	s_delay_alu instid0(VALU_DEP_3) | instskip(NEXT) | instid1(VALU_DEP_2)
	v_add_f64_e32 v[104:105], v[40:41], v[104:105]
	v_fma_f64 v[38:39], v[4:5], v[20:21], -v[38:39]
	v_mul_f64_e32 v[4:5], v[4:5], v[22:23]
	s_delay_alu instid0(VALU_DEP_2) | instskip(NEXT) | instid1(VALU_DEP_2)
	v_add_f64_e32 v[106:107], v[106:107], v[38:39]
	v_fmac_f64_e32 v[4:5], v[6:7], v[20:21]
	s_delay_alu instid0(VALU_DEP_1) | instskip(SKIP_4) | instid1(VALU_DEP_2)
	v_add_f64_e32 v[108:109], v[4:5], v[108:109]
	ds_load_b128 v[4:7], v98 offset:3104
	s_wait_dscnt 0x0
	v_mul_f64_e32 v[38:39], v[6:7], v[10:11]
	v_mul_f64_e32 v[10:11], v[4:5], v[10:11]
	v_fma_f64 v[38:39], v[4:5], v[8:9], -v[38:39]
	s_delay_alu instid0(VALU_DEP_2) | instskip(SKIP_1) | instid1(VALU_DEP_3)
	v_fmac_f64_e32 v[10:11], v[6:7], v[8:9]
	v_mul_f64_e32 v[8:9], v[6:7], v[14:15]
	v_add_f64_e32 v[94:95], v[66:67], v[38:39]
	s_delay_alu instid0(VALU_DEP_3) | instskip(NEXT) | instid1(VALU_DEP_3)
	v_add_f64_e32 v[96:97], v[10:11], v[68:69]
	v_fma_f64 v[8:9], v[4:5], v[12:13], -v[8:9]
	v_mul_f64_e32 v[10:11], v[4:5], v[14:15]
	s_delay_alu instid0(VALU_DEP_2) | instskip(SKIP_1) | instid1(VALU_DEP_3)
	v_add_f64_e32 v[90:91], v[62:63], v[8:9]
	v_mul_f64_e32 v[8:9], v[6:7], v[18:19]
	v_fmac_f64_e32 v[10:11], v[6:7], v[12:13]
	ds_load_b128 v[12:15], v99 offset:3328
	v_fma_f64 v[8:9], v[4:5], v[16:17], -v[8:9]
	v_add_f64_e32 v[92:93], v[10:11], v[64:65]
	v_mul_f64_e32 v[10:11], v[4:5], v[18:19]
	s_delay_alu instid0(VALU_DEP_3) | instskip(SKIP_1) | instid1(VALU_DEP_3)
	v_add_f64_e32 v[86:87], v[58:59], v[8:9]
	v_mul_f64_e32 v[8:9], v[6:7], v[22:23]
	v_fmac_f64_e32 v[10:11], v[6:7], v[16:17]
	ds_load_b128 v[16:19], v99 offset:3072
	v_fma_f64 v[8:9], v[4:5], v[20:21], -v[8:9]
	v_mul_f64_e32 v[4:5], v[4:5], v[22:23]
	v_add_f64_e32 v[88:89], v[10:11], v[60:61]
	s_delay_alu instid0(VALU_DEP_3) | instskip(NEXT) | instid1(VALU_DEP_3)
	v_add_f64_e32 v[82:83], v[54:55], v[8:9]
	v_fmac_f64_e32 v[4:5], v[6:7], v[20:21]
	s_wait_dscnt 0x0
	v_mul_f64_e32 v[6:7], v[0:1], v[18:19]
	ds_load_b128 v[8:11], v99 offset:3584
	v_add_f64_e32 v[84:85], v[4:5], v[56:57]
	v_mul_f64_e32 v[4:5], v[2:3], v[18:19]
	v_fmac_f64_e32 v[6:7], v[2:3], v[16:17]
	s_delay_alu instid0(VALU_DEP_2) | instskip(NEXT) | instid1(VALU_DEP_2)
	v_fma_f64 v[4:5], v[0:1], v[16:17], -v[4:5]
	v_add_f64_e32 v[60:61], v[6:7], v[52:53]
	v_mul_f64_e32 v[6:7], v[0:1], v[14:15]
	s_delay_alu instid0(VALU_DEP_3) | instskip(SKIP_1) | instid1(VALU_DEP_3)
	v_add_f64_e32 v[58:59], v[50:51], v[4:5]
	v_mul_f64_e32 v[4:5], v[2:3], v[14:15]
	v_fmac_f64_e32 v[6:7], v[2:3], v[12:13]
	s_delay_alu instid0(VALU_DEP_2) | instskip(NEXT) | instid1(VALU_DEP_1)
	v_fma_f64 v[4:5], v[0:1], v[12:13], -v[4:5]
	v_add_f64_e32 v[42:43], v[46:47], v[4:5]
	s_delay_alu instid0(VALU_DEP_3) | instskip(SKIP_3) | instid1(VALU_DEP_2)
	v_add_f64_e32 v[46:47], v[6:7], v[48:49]
	s_wait_dscnt 0x0
	v_mul_f64_e32 v[4:5], v[2:3], v[10:11]
	v_mul_f64_e32 v[6:7], v[0:1], v[10:11]
	v_fma_f64 v[4:5], v[0:1], v[8:9], -v[4:5]
	s_delay_alu instid0(VALU_DEP_2) | instskip(NEXT) | instid1(VALU_DEP_2)
	v_fmac_f64_e32 v[6:7], v[2:3], v[8:9]
	v_add_f64_e32 v[38:39], v[110:111], v[4:5]
	s_delay_alu instid0(VALU_DEP_2) | instskip(SKIP_3) | instid1(VALU_DEP_1)
	v_add_f64_e32 v[40:41], v[6:7], v[44:45]
	ds_load_b128 v[4:7], v99 offset:3840
	s_wait_dscnt 0x0
	v_mul_f64_e32 v[20:21], v[2:3], v[6:7]
	v_fma_f64 v[20:21], v[0:1], v[4:5], -v[20:21]
	v_mul_f64_e32 v[0:1], v[0:1], v[6:7]
	s_delay_alu instid0(VALU_DEP_2) | instskip(NEXT) | instid1(VALU_DEP_2)
	v_add_f64_e32 v[20:21], v[112:113], v[20:21]
	v_fmac_f64_e32 v[0:1], v[2:3], v[4:5]
	s_delay_alu instid0(VALU_DEP_1) | instskip(SKIP_4) | instid1(VALU_DEP_2)
	v_add_f64_e32 v[22:23], v[0:1], v[114:115]
	ds_load_b128 v[0:3], v98 offset:1072
	s_wait_dscnt 0x0
	v_mul_f64_e32 v[44:45], v[2:3], v[18:19]
	v_mul_f64_e32 v[48:49], v[0:1], v[18:19]
	v_fma_f64 v[44:45], v[0:1], v[16:17], -v[44:45]
	s_delay_alu instid0(VALU_DEP_2) | instskip(NEXT) | instid1(VALU_DEP_2)
	v_fmac_f64_e32 v[48:49], v[2:3], v[16:17]
	v_add_f64_e32 v[78:79], v[70:71], v[44:45]
	v_mul_f64_e32 v[44:45], v[2:3], v[14:15]
	s_delay_alu instid0(VALU_DEP_3) | instskip(SKIP_1) | instid1(VALU_DEP_3)
	v_add_f64_e32 v[80:81], v[48:49], v[72:73]
	v_mul_f64_e32 v[48:49], v[0:1], v[14:15]
	v_fma_f64 v[44:45], v[0:1], v[12:13], -v[44:45]
	s_delay_alu instid0(VALU_DEP_2) | instskip(NEXT) | instid1(VALU_DEP_2)
	v_fmac_f64_e32 v[48:49], v[2:3], v[12:13]
	v_add_f64_e32 v[70:71], v[74:75], v[44:45]
	v_mul_f64_e32 v[44:45], v[2:3], v[10:11]
	s_delay_alu instid0(VALU_DEP_3) | instskip(SKIP_1) | instid1(VALU_DEP_3)
	v_add_f64_e32 v[74:75], v[48:49], v[76:77]
	v_mul_f64_e32 v[48:49], v[0:1], v[10:11]
	v_fma_f64 v[44:45], v[0:1], v[8:9], -v[44:45]
	s_delay_alu instid0(VALU_DEP_2) | instskip(NEXT) | instid1(VALU_DEP_2)
	v_fmac_f64_e32 v[48:49], v[2:3], v[8:9]
	v_add_f64_e32 v[62:63], v[116:117], v[44:45]
	v_mul_f64_e32 v[44:45], v[2:3], v[6:7]
	s_delay_alu instid0(VALU_DEP_3) | instskip(NEXT) | instid1(VALU_DEP_2)
	v_add_f64_e32 v[66:67], v[48:49], v[118:119]
	v_fma_f64 v[44:45], v[0:1], v[4:5], -v[44:45]
	v_mul_f64_e32 v[0:1], v[0:1], v[6:7]
	s_delay_alu instid0(VALU_DEP_2) | instskip(NEXT) | instid1(VALU_DEP_2)
	v_add_f64_e32 v[50:51], v[120:121], v[44:45]
	v_fmac_f64_e32 v[0:1], v[2:3], v[4:5]
	s_delay_alu instid0(VALU_DEP_1) | instskip(SKIP_4) | instid1(VALU_DEP_2)
	v_add_f64_e32 v[54:55], v[0:1], v[122:123]
	ds_load_b128 v[0:3], v98 offset:2096
	s_wait_dscnt 0x0
	v_mul_f64_e32 v[44:45], v[2:3], v[18:19]
	v_mul_f64_e32 v[48:49], v[0:1], v[18:19]
	v_fma_f64 v[44:45], v[0:1], v[16:17], -v[44:45]
	s_delay_alu instid0(VALU_DEP_2) | instskip(NEXT) | instid1(VALU_DEP_2)
	v_fmac_f64_e32 v[48:49], v[2:3], v[16:17]
	v_add_f64_e32 v[72:73], v[124:125], v[44:45]
	v_mul_f64_e32 v[44:45], v[2:3], v[14:15]
	s_delay_alu instid0(VALU_DEP_3) | instskip(SKIP_1) | instid1(VALU_DEP_3)
	v_add_f64_e32 v[76:77], v[48:49], v[126:127]
	v_mul_f64_e32 v[48:49], v[0:1], v[14:15]
	v_fma_f64 v[44:45], v[0:1], v[12:13], -v[44:45]
	s_delay_alu instid0(VALU_DEP_2) | instskip(NEXT) | instid1(VALU_DEP_2)
	v_fmac_f64_e32 v[48:49], v[2:3], v[12:13]
	v_add_f64_e32 v[64:65], v[128:129], v[44:45]
	v_mul_f64_e32 v[44:45], v[2:3], v[10:11]
	s_delay_alu instid0(VALU_DEP_3) | instskip(SKIP_1) | instid1(VALU_DEP_3)
	v_add_f64_e32 v[68:69], v[48:49], v[130:131]
	v_mul_f64_e32 v[48:49], v[0:1], v[10:11]
	v_fma_f64 v[44:45], v[0:1], v[8:9], -v[44:45]
	s_delay_alu instid0(VALU_DEP_2) | instskip(NEXT) | instid1(VALU_DEP_2)
	v_fmac_f64_e32 v[48:49], v[2:3], v[8:9]
	v_add_f64_e32 v[52:53], v[102:103], v[44:45]
	v_mul_f64_e32 v[44:45], v[2:3], v[6:7]
	s_delay_alu instid0(VALU_DEP_3) | instskip(NEXT) | instid1(VALU_DEP_2)
	v_add_f64_e32 v[56:57], v[48:49], v[104:105]
	v_fma_f64 v[44:45], v[0:1], v[4:5], -v[44:45]
	v_mul_f64_e32 v[0:1], v[0:1], v[6:7]
	s_delay_alu instid0(VALU_DEP_2) | instskip(NEXT) | instid1(VALU_DEP_2)
	v_add_f64_e32 v[44:45], v[106:107], v[44:45]
	v_fmac_f64_e32 v[0:1], v[2:3], v[4:5]
	s_delay_alu instid0(VALU_DEP_1)
	v_add_f64_e32 v[48:49], v[0:1], v[108:109]
	ds_load_b128 v[0:3], v98 offset:3120
	s_wait_dscnt 0x0
	s_barrier_signal -1
	s_barrier_wait -1
	v_mul_f64_e32 v[102:103], v[2:3], v[18:19]
	v_mul_f64_e32 v[18:19], v[0:1], v[18:19]
	s_delay_alu instid0(VALU_DEP_2) | instskip(NEXT) | instid1(VALU_DEP_2)
	v_fma_f64 v[102:103], v[0:1], v[16:17], -v[102:103]
	v_fmac_f64_e32 v[18:19], v[2:3], v[16:17]
	s_delay_alu instid0(VALU_DEP_2) | instskip(SKIP_2) | instid1(VALU_DEP_4)
	v_add_f64_e32 v[16:17], v[94:95], v[102:103]
	v_mul_f64_e32 v[94:95], v[2:3], v[14:15]
	v_mul_f64_e32 v[14:15], v[0:1], v[14:15]
	v_add_f64_e32 v[18:19], v[18:19], v[96:97]
	s_delay_alu instid0(VALU_DEP_3) | instskip(NEXT) | instid1(VALU_DEP_3)
	v_fma_f64 v[94:95], v[0:1], v[12:13], -v[94:95]
	v_fmac_f64_e32 v[14:15], v[2:3], v[12:13]
	s_delay_alu instid0(VALU_DEP_2) | instskip(SKIP_2) | instid1(VALU_DEP_4)
	v_add_f64_e32 v[12:13], v[90:91], v[94:95]
	v_mul_f64_e32 v[90:91], v[2:3], v[10:11]
	v_mul_f64_e32 v[10:11], v[0:1], v[10:11]
	v_add_f64_e32 v[14:15], v[14:15], v[92:93]
	s_delay_alu instid0(VALU_DEP_3) | instskip(NEXT) | instid1(VALU_DEP_3)
	v_fma_f64 v[90:91], v[0:1], v[8:9], -v[90:91]
	v_fmac_f64_e32 v[10:11], v[2:3], v[8:9]
	s_delay_alu instid0(VALU_DEP_2) | instskip(SKIP_1) | instid1(VALU_DEP_3)
	v_add_f64_e32 v[8:9], v[86:87], v[90:91]
	v_mul_f64_e32 v[86:87], v[2:3], v[6:7]
	v_add_f64_e32 v[10:11], v[10:11], v[88:89]
	s_delay_alu instid0(VALU_DEP_2) | instskip(SKIP_1) | instid1(VALU_DEP_2)
	v_fma_f64 v[86:87], v[0:1], v[4:5], -v[86:87]
	v_mul_f64_e32 v[0:1], v[0:1], v[6:7]
	v_add_f64_e32 v[82:83], v[82:83], v[86:87]
	s_delay_alu instid0(VALU_DEP_2) | instskip(NEXT) | instid1(VALU_DEP_1)
	v_fmac_f64_e32 v[0:1], v[2:3], v[4:5]
	v_add_f64_e32 v[84:85], v[0:1], v[84:85]
	s_cbranch_vccnz .LBB535_5
	s_branch .LBB535_7
.LBB535_6:                              ;   in Loop: Header=BB535_3 Depth=1
	v_mov_b64_e32 v[58:59], 0
	v_mov_b64_e32 v[60:61], 0
	;; [unrolled: 1-line block ×32, first 2 shown]
.LBB535_7:                              ;   in Loop: Header=BB535_3 Depth=1
	s_wait_kmcnt 0x0
	s_mul_u64 s[22:23], s[12:13], s[2:3]
	s_and_not1_b32 vcc_lo, exec_lo, s1
	s_lshl_b64 s[22:23], s[22:23], 4
	s_mov_b32 s25, -1
	s_add_nc_u64 s[22:23], s[48:49], s[22:23]
                                        ; implicit-def: $vgpr0_vgpr1
                                        ; implicit-def: $vgpr2_vgpr3
	s_cbranch_vccz .LBB535_9
; %bb.8:                                ;   in Loop: Header=BB535_3 Depth=1
	s_and_not1_b32 vcc_lo, exec_lo, s25
	s_cbranch_vccnz .LBB535_2
	s_branch .LBB535_10
.LBB535_9:                              ;   in Loop: Header=BB535_3 Depth=1
	s_wait_xcnt 0x0
	v_mul_f64_e32 v[0:1], s[8:9], v[60:61]
	v_mul_f64_e32 v[2:3], s[6:7], v[60:61]
	;; [unrolled: 1-line block ×8, first 2 shown]
	v_lshlrev_b64_e32 v[130:131], 4, v[26:27]
	v_lshl_add_u64 v[122:123], v[24:25], 4, s[22:23]
	v_mul_f64_e32 v[92:93], s[8:9], v[80:81]
	v_mul_f64_e32 v[90:91], s[6:7], v[80:81]
	;; [unrolled: 1-line block ×5, first 2 shown]
	v_add_nc_u64_e32 v[112:113], v[122:123], v[130:131]
	v_mul_f64_e32 v[104:105], s[6:7], v[66:67]
	v_mul_f64_e32 v[106:107], s[8:9], v[54:55]
	;; [unrolled: 1-line block ×13, first 2 shown]
	v_fma_f64 v[0:1], s[6:7], v[58:59], -v[0:1]
	v_fmac_f64_e32 v[2:3], s[8:9], v[58:59]
	v_fma_f64 v[4:5], s[6:7], v[42:43], -v[4:5]
	v_fmac_f64_e32 v[6:7], s[8:9], v[42:43]
	;; [unrolled: 2-line block ×4, first 2 shown]
	v_fmac_f64_e32 v[90:91], s[8:9], v[78:79]
	v_fmac_f64_e32 v[94:95], s[8:9], v[70:71]
	v_fma_f64 v[102:103], s[6:7], v[62:63], -v[102:103]
	v_fmac_f64_e32 v[104:105], s[8:9], v[62:63]
	v_fma_f64 v[106:107], s[6:7], v[50:51], -v[106:107]
	v_fmac_f64_e32 v[108:109], s[8:9], v[50:51]
	v_fmac_f64_e32 v[128:129], s[8:9], v[8:9]
	v_fmac_f64_e32 v[116:117], s[8:9], v[44:45]
	v_fmac_f64_e32 v[120:121], s[8:9], v[16:17]
	v_fmac_f64_e32 v[124:125], s[8:9], v[12:13]
	global_store_b128 v[112:113], v[0:3], off
	s_wait_xcnt 0x0
	v_mul_f64_e32 v[0:1], s[6:7], v[84:85]
	global_store_b128 v[112:113], v[4:7], off offset:256
	s_wait_xcnt 0x0
	v_mul_f64_e32 v[4:5], s[6:7], v[76:77]
	global_store_b128 v[112:113], v[34:37], off offset:512
	;; [unrolled: 3-line block ×3, first 2 shown]
	s_wait_xcnt 0x0
	v_mul_f64_e32 v[112:113], s[6:7], v[56:57]
	v_mul_f64_e32 v[6:7], s[8:9], v[10:11]
	;; [unrolled: 1-line block ×3, first 2 shown]
	v_fma_f64 v[88:89], s[6:7], v[78:79], -v[92:93]
	v_fma_f64 v[92:93], s[6:7], v[70:71], -v[96:97]
	;; [unrolled: 1-line block ×3, first 2 shown]
	v_add_nc_u64_e32 v[96:97], s[20:21], v[122:123]
	v_fma_f64 v[34:35], s[6:7], v[64:65], -v[114:115]
	v_fma_f64 v[110:111], s[6:7], v[52:53], -v[118:119]
	;; [unrolled: 1-line block ×5, first 2 shown]
	v_fmac_f64_e32 v[0:1], s[8:9], v[82:83]
	v_fmac_f64_e32 v[4:5], s[8:9], v[72:73]
	;; [unrolled: 1-line block ×4, first 2 shown]
	v_fma_f64 v[126:127], s[6:7], v[8:9], -v[6:7]
	v_fma_f64 v[6:7], s[6:7], v[82:83], -v[86:87]
	v_add_nc_u64_e32 v[86:87], s[20:21], v[96:97]
	v_add_nc_u64_e32 v[96:97], v[96:97], v[130:131]
	s_delay_alu instid0(VALU_DEP_2)
	v_add_nc_u64_e32 v[132:133], s[20:21], v[86:87]
	v_add_nc_u64_e32 v[86:87], v[86:87], v[130:131]
	s_clause 0x5
	global_store_b128 v[96:97], v[88:91], off
	global_store_b128 v[96:97], v[92:95], off offset:256
	global_store_b128 v[96:97], v[102:105], off offset:512
	;; [unrolled: 1-line block ×3, first 2 shown]
	global_store_b128 v[86:87], v[2:5], off
	global_store_b128 v[86:87], v[34:37], off offset:256
	v_add_nc_u64_e32 v[130:131], v[132:133], v[130:131]
	s_clause 0x3
	global_store_b128 v[86:87], v[110:113], off offset:512
	global_store_b128 v[86:87], v[114:117], off offset:768
	global_store_b128 v[130:131], v[118:121], off
	global_store_b128 v[130:131], v[122:125], off offset:256
	s_wait_xcnt 0x5
	v_add_nc_u64_e32 v[2:3], 0x300, v[130:131]
	s_clause 0x1
	global_store_b128 v[130:131], v[126:129], off offset:512
	global_store_b64 v[130:131], v[6:7], off offset:768
	s_cbranch_execnz .LBB535_2
.LBB535_10:                             ;   in Loop: Header=BB535_3 Depth=1
	s_mul_u64 s[26:27], s[46:47], s[2:3]
	s_wait_xcnt 0x1
	v_lshlrev_b64_e32 v[4:5], 4, v[26:27]
	s_wait_xcnt 0x0
	v_lshl_add_u64 v[6:7], s[26:27], 4, v[28:29]
	v_mul_f64_e32 v[36:37], s[8:9], v[60:61]
	v_mul_f64_e32 v[60:61], s[6:7], v[60:61]
	s_delay_alu instid0(VALU_DEP_3)
	v_add_nc_u64_e32 v[34:35], v[6:7], v[4:5]
	v_add_nc_u64_e32 v[6:7], s[18:19], v[6:7]
	global_load_b128 v[0:3], v[34:35], off
	v_fma_f64 v[36:37], s[6:7], v[58:59], -v[36:37]
	v_fmac_f64_e32 v[60:61], s[8:9], v[58:59]
	s_wait_loadcnt 0x0
	v_mul_f64_e32 v[86:87], s[40:41], v[2:3]
	v_mul_f64_e32 v[2:3], s[38:39], v[2:3]
	s_delay_alu instid0(VALU_DEP_2) | instskip(NEXT) | instid1(VALU_DEP_2)
	v_fma_f64 v[58:59], s[38:39], v[0:1], -v[86:87]
	v_fmac_f64_e32 v[2:3], s[40:41], v[0:1]
	s_delay_alu instid0(VALU_DEP_2) | instskip(NEXT) | instid1(VALU_DEP_2)
	v_add_f64_e32 v[0:1], v[36:37], v[58:59]
	v_add_f64_e32 v[2:3], v[60:61], v[2:3]
	v_lshl_add_u64 v[36:37], v[24:25], 4, s[22:23]
	v_mul_f64_e32 v[60:61], s[8:9], v[46:47]
	v_mul_f64_e32 v[46:47], s[6:7], v[46:47]
	s_delay_alu instid0(VALU_DEP_3)
	v_add_nc_u64_e32 v[58:59], v[36:37], v[4:5]
	global_store_b128 v[58:59], v[0:3], off
	global_load_b128 v[0:3], v[34:35], off offset:256
	v_fma_f64 v[60:61], s[6:7], v[42:43], -v[60:61]
	v_fmac_f64_e32 v[46:47], s[8:9], v[42:43]
	s_wait_loadcnt 0x0
	v_mul_f64_e32 v[86:87], s[40:41], v[2:3]
	v_mul_f64_e32 v[2:3], s[38:39], v[2:3]
	s_delay_alu instid0(VALU_DEP_2) | instskip(NEXT) | instid1(VALU_DEP_2)
	v_fma_f64 v[42:43], s[38:39], v[0:1], -v[86:87]
	v_fmac_f64_e32 v[2:3], s[40:41], v[0:1]
	s_delay_alu instid0(VALU_DEP_2) | instskip(NEXT) | instid1(VALU_DEP_2)
	v_add_f64_e32 v[0:1], v[60:61], v[42:43]
	v_add_f64_e32 v[2:3], v[46:47], v[2:3]
	v_mul_f64_e32 v[42:43], s[8:9], v[40:41]
	v_mul_f64_e32 v[40:41], s[6:7], v[40:41]
	global_store_b128 v[58:59], v[0:3], off offset:256
	global_load_b128 v[0:3], v[34:35], off offset:512
	v_fma_f64 v[42:43], s[6:7], v[38:39], -v[42:43]
	v_fmac_f64_e32 v[40:41], s[8:9], v[38:39]
	s_wait_loadcnt 0x0
	v_mul_f64_e32 v[46:47], s[40:41], v[2:3]
	v_mul_f64_e32 v[2:3], s[38:39], v[2:3]
	s_delay_alu instid0(VALU_DEP_2) | instskip(NEXT) | instid1(VALU_DEP_2)
	v_fma_f64 v[38:39], s[38:39], v[0:1], -v[46:47]
	v_fmac_f64_e32 v[2:3], s[40:41], v[0:1]
	s_delay_alu instid0(VALU_DEP_2) | instskip(NEXT) | instid1(VALU_DEP_2)
	v_add_f64_e32 v[0:1], v[42:43], v[38:39]
	v_add_f64_e32 v[2:3], v[40:41], v[2:3]
	global_store_b128 v[58:59], v[0:3], off offset:512
	global_load_b128 v[0:3], v[34:35], off offset:768
	s_wait_xcnt 0x0
	v_mul_f64_e32 v[34:35], s[8:9], v[22:23]
	v_mul_f64_e32 v[22:23], s[6:7], v[22:23]
	s_delay_alu instid0(VALU_DEP_2) | instskip(NEXT) | instid1(VALU_DEP_2)
	v_fma_f64 v[34:35], s[6:7], v[20:21], -v[34:35]
	v_fmac_f64_e32 v[22:23], s[8:9], v[20:21]
	s_wait_loadcnt 0x0
	v_mul_f64_e32 v[38:39], s[40:41], v[2:3]
	v_mul_f64_e32 v[2:3], s[38:39], v[2:3]
	s_delay_alu instid0(VALU_DEP_2) | instskip(NEXT) | instid1(VALU_DEP_2)
	v_fma_f64 v[20:21], s[38:39], v[0:1], -v[38:39]
	v_fmac_f64_e32 v[2:3], s[40:41], v[0:1]
	s_delay_alu instid0(VALU_DEP_2) | instskip(NEXT) | instid1(VALU_DEP_2)
	v_add_f64_e32 v[0:1], v[34:35], v[20:21]
	v_add_f64_e32 v[2:3], v[22:23], v[2:3]
	v_add_nc_u64_e32 v[20:21], v[6:7], v[4:5]
	v_mul_f64_e32 v[22:23], s[8:9], v[80:81]
	v_mul_f64_e32 v[34:35], s[6:7], v[80:81]
	v_add_nc_u64_e32 v[6:7], s[18:19], v[6:7]
	global_store_b128 v[58:59], v[0:3], off offset:768
	global_load_b128 v[0:3], v[20:21], off
	v_fma_f64 v[22:23], s[6:7], v[78:79], -v[22:23]
	v_fmac_f64_e32 v[34:35], s[8:9], v[78:79]
	s_wait_loadcnt 0x0
	v_mul_f64_e32 v[38:39], s[40:41], v[2:3]
	v_mul_f64_e32 v[2:3], s[38:39], v[2:3]
	s_delay_alu instid0(VALU_DEP_2) | instskip(NEXT) | instid1(VALU_DEP_2)
	v_fma_f64 v[38:39], s[38:39], v[0:1], -v[38:39]
	v_fmac_f64_e32 v[2:3], s[40:41], v[0:1]
	s_delay_alu instid0(VALU_DEP_2) | instskip(NEXT) | instid1(VALU_DEP_2)
	v_add_f64_e32 v[0:1], v[22:23], v[38:39]
	v_add_f64_e32 v[2:3], v[34:35], v[2:3]
	v_add_nc_u64_e32 v[22:23], s[20:21], v[36:37]
	v_mul_f64_e32 v[36:37], s[8:9], v[74:75]
	v_mul_f64_e32 v[38:39], s[6:7], v[74:75]
	s_delay_alu instid0(VALU_DEP_3)
	v_add_nc_u64_e32 v[34:35], v[22:23], v[4:5]
	v_add_nc_u64_e32 v[22:23], s[20:21], v[22:23]
	global_store_b128 v[34:35], v[0:3], off
	global_load_b128 v[0:3], v[20:21], off offset:256
	v_fma_f64 v[36:37], s[6:7], v[70:71], -v[36:37]
	v_fmac_f64_e32 v[38:39], s[8:9], v[70:71]
	s_wait_loadcnt 0x0
	v_mul_f64_e32 v[40:41], s[40:41], v[2:3]
	v_mul_f64_e32 v[2:3], s[38:39], v[2:3]
	s_delay_alu instid0(VALU_DEP_2) | instskip(NEXT) | instid1(VALU_DEP_2)
	v_fma_f64 v[40:41], s[38:39], v[0:1], -v[40:41]
	v_fmac_f64_e32 v[2:3], s[40:41], v[0:1]
	s_delay_alu instid0(VALU_DEP_2) | instskip(NEXT) | instid1(VALU_DEP_2)
	v_add_f64_e32 v[0:1], v[36:37], v[40:41]
	v_add_f64_e32 v[2:3], v[38:39], v[2:3]
	v_mul_f64_e32 v[36:37], s[8:9], v[66:67]
	v_mul_f64_e32 v[38:39], s[6:7], v[66:67]
	global_store_b128 v[34:35], v[0:3], off offset:256
	global_load_b128 v[0:3], v[20:21], off offset:512
	v_fma_f64 v[36:37], s[6:7], v[62:63], -v[36:37]
	v_fmac_f64_e32 v[38:39], s[8:9], v[62:63]
	s_wait_loadcnt 0x0
	v_mul_f64_e32 v[40:41], s[40:41], v[2:3]
	v_mul_f64_e32 v[2:3], s[38:39], v[2:3]
	s_delay_alu instid0(VALU_DEP_2) | instskip(NEXT) | instid1(VALU_DEP_2)
	v_fma_f64 v[40:41], s[38:39], v[0:1], -v[40:41]
	v_fmac_f64_e32 v[2:3], s[40:41], v[0:1]
	s_delay_alu instid0(VALU_DEP_2) | instskip(NEXT) | instid1(VALU_DEP_2)
	v_add_f64_e32 v[0:1], v[36:37], v[40:41]
	v_add_f64_e32 v[2:3], v[38:39], v[2:3]
	v_mul_f64_e32 v[36:37], s[6:7], v[54:55]
	global_store_b128 v[34:35], v[0:3], off offset:512
	global_load_b128 v[0:3], v[20:21], off offset:768
	s_wait_xcnt 0x0
	v_mul_f64_e32 v[20:21], s[8:9], v[54:55]
	v_fmac_f64_e32 v[36:37], s[8:9], v[50:51]
	s_delay_alu instid0(VALU_DEP_2) | instskip(SKIP_3) | instid1(VALU_DEP_2)
	v_fma_f64 v[20:21], s[6:7], v[50:51], -v[20:21]
	s_wait_loadcnt 0x0
	v_mul_f64_e32 v[38:39], s[40:41], v[2:3]
	v_mul_f64_e32 v[2:3], s[38:39], v[2:3]
	v_fma_f64 v[38:39], s[38:39], v[0:1], -v[38:39]
	s_delay_alu instid0(VALU_DEP_2) | instskip(NEXT) | instid1(VALU_DEP_2)
	v_fmac_f64_e32 v[2:3], s[40:41], v[0:1]
	v_add_f64_e32 v[0:1], v[20:21], v[38:39]
	s_delay_alu instid0(VALU_DEP_2) | instskip(SKIP_3) | instid1(VALU_DEP_1)
	v_add_f64_e32 v[2:3], v[36:37], v[2:3]
	v_add_nc_u64_e32 v[20:21], v[6:7], v[4:5]
	v_mul_f64_e32 v[36:37], s[6:7], v[76:77]
	v_add_nc_u64_e32 v[6:7], s[18:19], v[6:7]
	v_add_nc_u64_e32 v[6:7], v[6:7], v[4:5]
	global_store_b128 v[34:35], v[0:3], off offset:768
	global_load_b128 v[0:3], v[20:21], off
	v_mul_f64_e32 v[34:35], s[8:9], v[76:77]
	v_fmac_f64_e32 v[36:37], s[8:9], v[72:73]
	s_delay_alu instid0(VALU_DEP_2) | instskip(SKIP_3) | instid1(VALU_DEP_2)
	v_fma_f64 v[34:35], s[6:7], v[72:73], -v[34:35]
	s_wait_loadcnt 0x0
	v_mul_f64_e32 v[38:39], s[40:41], v[2:3]
	v_mul_f64_e32 v[2:3], s[38:39], v[2:3]
	v_fma_f64 v[38:39], s[38:39], v[0:1], -v[38:39]
	s_delay_alu instid0(VALU_DEP_2) | instskip(NEXT) | instid1(VALU_DEP_2)
	v_fmac_f64_e32 v[2:3], s[40:41], v[0:1]
	v_add_f64_e32 v[0:1], v[34:35], v[38:39]
	s_delay_alu instid0(VALU_DEP_2)
	v_add_f64_e32 v[2:3], v[36:37], v[2:3]
	v_add_nc_u64_e32 v[34:35], v[22:23], v[4:5]
	v_mul_f64_e32 v[36:37], s[8:9], v[68:69]
	v_mul_f64_e32 v[38:39], s[6:7], v[68:69]
	global_store_b128 v[34:35], v[0:3], off
	global_load_b128 v[0:3], v[20:21], off offset:256
	v_fma_f64 v[36:37], s[6:7], v[64:65], -v[36:37]
	v_fmac_f64_e32 v[38:39], s[8:9], v[64:65]
	s_wait_loadcnt 0x0
	v_mul_f64_e32 v[40:41], s[40:41], v[2:3]
	v_mul_f64_e32 v[2:3], s[38:39], v[2:3]
	s_delay_alu instid0(VALU_DEP_2) | instskip(NEXT) | instid1(VALU_DEP_2)
	v_fma_f64 v[40:41], s[38:39], v[0:1], -v[40:41]
	v_fmac_f64_e32 v[2:3], s[40:41], v[0:1]
	s_delay_alu instid0(VALU_DEP_2) | instskip(NEXT) | instid1(VALU_DEP_2)
	v_add_f64_e32 v[0:1], v[36:37], v[40:41]
	v_add_f64_e32 v[2:3], v[38:39], v[2:3]
	v_mul_f64_e32 v[36:37], s[8:9], v[56:57]
	v_mul_f64_e32 v[38:39], s[6:7], v[56:57]
	global_store_b128 v[34:35], v[0:3], off offset:256
	global_load_b128 v[0:3], v[20:21], off offset:512
	v_fma_f64 v[36:37], s[6:7], v[52:53], -v[36:37]
	v_fmac_f64_e32 v[38:39], s[8:9], v[52:53]
	s_wait_loadcnt 0x0
	v_mul_f64_e32 v[40:41], s[40:41], v[2:3]
	v_mul_f64_e32 v[2:3], s[38:39], v[2:3]
	s_delay_alu instid0(VALU_DEP_2) | instskip(NEXT) | instid1(VALU_DEP_2)
	v_fma_f64 v[40:41], s[38:39], v[0:1], -v[40:41]
	v_fmac_f64_e32 v[2:3], s[40:41], v[0:1]
	s_delay_alu instid0(VALU_DEP_2) | instskip(NEXT) | instid1(VALU_DEP_2)
	v_add_f64_e32 v[0:1], v[36:37], v[40:41]
	v_add_f64_e32 v[2:3], v[38:39], v[2:3]
	v_mul_f64_e32 v[36:37], s[6:7], v[48:49]
	global_store_b128 v[34:35], v[0:3], off offset:512
	global_load_b128 v[0:3], v[20:21], off offset:768
	s_wait_xcnt 0x0
	v_mul_f64_e32 v[20:21], s[8:9], v[48:49]
	v_fmac_f64_e32 v[36:37], s[8:9], v[44:45]
	s_delay_alu instid0(VALU_DEP_2) | instskip(SKIP_3) | instid1(VALU_DEP_2)
	v_fma_f64 v[20:21], s[6:7], v[44:45], -v[20:21]
	s_wait_loadcnt 0x0
	v_mul_f64_e32 v[38:39], s[40:41], v[2:3]
	v_mul_f64_e32 v[2:3], s[38:39], v[2:3]
	v_fma_f64 v[38:39], s[38:39], v[0:1], -v[38:39]
	s_delay_alu instid0(VALU_DEP_2) | instskip(NEXT) | instid1(VALU_DEP_2)
	v_fmac_f64_e32 v[2:3], s[40:41], v[0:1]
	v_add_f64_e32 v[0:1], v[20:21], v[38:39]
	s_delay_alu instid0(VALU_DEP_2)
	v_add_f64_e32 v[2:3], v[36:37], v[2:3]
	v_mul_f64_e32 v[20:21], s[8:9], v[18:19]
	v_mul_f64_e32 v[18:19], s[6:7], v[18:19]
	global_store_b128 v[34:35], v[0:3], off offset:768
	global_load_b128 v[0:3], v[6:7], off
	v_fma_f64 v[20:21], s[6:7], v[16:17], -v[20:21]
	v_fmac_f64_e32 v[18:19], s[8:9], v[16:17]
	s_wait_loadcnt 0x0
	v_mul_f64_e32 v[34:35], s[40:41], v[2:3]
	v_mul_f64_e32 v[2:3], s[38:39], v[2:3]
	s_delay_alu instid0(VALU_DEP_2) | instskip(NEXT) | instid1(VALU_DEP_2)
	v_fma_f64 v[16:17], s[38:39], v[0:1], -v[34:35]
	v_fmac_f64_e32 v[2:3], s[40:41], v[0:1]
	s_delay_alu instid0(VALU_DEP_2) | instskip(NEXT) | instid1(VALU_DEP_2)
	v_add_f64_e32 v[0:1], v[20:21], v[16:17]
	v_add_f64_e32 v[2:3], v[18:19], v[2:3]
	v_add_nc_u64_e32 v[16:17], s[20:21], v[22:23]
	s_delay_alu instid0(VALU_DEP_1)
	v_add_nc_u64_e32 v[4:5], v[16:17], v[4:5]
	v_mul_f64_e32 v[16:17], s[8:9], v[14:15]
	v_mul_f64_e32 v[14:15], s[6:7], v[14:15]
	global_store_b128 v[4:5], v[0:3], off
	global_load_b128 v[0:3], v[6:7], off offset:256
	v_fma_f64 v[16:17], s[6:7], v[12:13], -v[16:17]
	v_fmac_f64_e32 v[14:15], s[8:9], v[12:13]
	s_wait_loadcnt 0x0
	v_mul_f64_e32 v[18:19], s[40:41], v[2:3]
	v_mul_f64_e32 v[2:3], s[38:39], v[2:3]
	s_delay_alu instid0(VALU_DEP_2) | instskip(NEXT) | instid1(VALU_DEP_2)
	v_fma_f64 v[12:13], s[38:39], v[0:1], -v[18:19]
	v_fmac_f64_e32 v[2:3], s[40:41], v[0:1]
	s_delay_alu instid0(VALU_DEP_2) | instskip(NEXT) | instid1(VALU_DEP_2)
	v_add_f64_e32 v[0:1], v[16:17], v[12:13]
	v_add_f64_e32 v[2:3], v[14:15], v[2:3]
	v_mul_f64_e32 v[12:13], s[8:9], v[10:11]
	v_mul_f64_e32 v[10:11], s[6:7], v[10:11]
	global_store_b128 v[4:5], v[0:3], off offset:256
	global_load_b128 v[0:3], v[6:7], off offset:512
	v_fma_f64 v[12:13], s[6:7], v[8:9], -v[12:13]
	v_fmac_f64_e32 v[10:11], s[8:9], v[8:9]
	s_wait_loadcnt 0x0
	v_mul_f64_e32 v[14:15], s[40:41], v[2:3]
	v_mul_f64_e32 v[2:3], s[38:39], v[2:3]
	s_delay_alu instid0(VALU_DEP_2) | instskip(NEXT) | instid1(VALU_DEP_2)
	v_fma_f64 v[8:9], s[38:39], v[0:1], -v[14:15]
	v_fmac_f64_e32 v[2:3], s[40:41], v[0:1]
	s_delay_alu instid0(VALU_DEP_2) | instskip(NEXT) | instid1(VALU_DEP_2)
	v_add_f64_e32 v[0:1], v[12:13], v[8:9]
	v_add_f64_e32 v[2:3], v[10:11], v[2:3]
	v_mul_f64_e32 v[8:9], s[6:7], v[84:85]
	global_store_b128 v[4:5], v[0:3], off offset:512
	global_load_b128 v[0:3], v[6:7], off offset:768
	s_wait_xcnt 0x0
	v_mul_f64_e32 v[6:7], s[8:9], v[84:85]
	v_fmac_f64_e32 v[8:9], s[8:9], v[82:83]
	s_delay_alu instid0(VALU_DEP_2) | instskip(SKIP_3) | instid1(VALU_DEP_2)
	v_fma_f64 v[6:7], s[6:7], v[82:83], -v[6:7]
	s_wait_loadcnt 0x0
	v_mul_f64_e32 v[10:11], s[40:41], v[2:3]
	v_mul_f64_e32 v[2:3], s[38:39], v[2:3]
	v_fma_f64 v[10:11], s[38:39], v[0:1], -v[10:11]
	s_delay_alu instid0(VALU_DEP_2) | instskip(NEXT) | instid1(VALU_DEP_2)
	v_fmac_f64_e32 v[2:3], s[40:41], v[0:1]
	v_add_f64_e32 v[6:7], v[6:7], v[10:11]
	s_delay_alu instid0(VALU_DEP_2)
	v_add_f64_e32 v[0:1], v[8:9], v[2:3]
	v_add_nc_u64_e32 v[2:3], 0x300, v[4:5]
	global_store_b64 v[4:5], v[6:7], off offset:768
	s_branch .LBB535_2
.LBB535_11:
	s_sendmsg sendmsg(MSG_DEALLOC_VGPRS)
	s_endpgm
	.section	.rodata,"a",@progbits
	.p2align	6, 0x0
	.amdhsa_kernel _ZN12_GLOBAL__N_127rocblas_gemm_batched_kernelI19rocblas_complex_numIdELi16ELi16ELi64ELi64ELi4ELi64ELi4ELi4ELi64ELc67ELc84EKS2_S3_S2_EEvlllT_PT11_llS6_llS4_PT12_llPT13_lli
		.amdhsa_group_segment_fixed_size 8192
		.amdhsa_private_segment_fixed_size 0
		.amdhsa_kernarg_size 156
		.amdhsa_user_sgpr_count 2
		.amdhsa_user_sgpr_dispatch_ptr 0
		.amdhsa_user_sgpr_queue_ptr 0
		.amdhsa_user_sgpr_kernarg_segment_ptr 1
		.amdhsa_user_sgpr_dispatch_id 0
		.amdhsa_user_sgpr_kernarg_preload_length 0
		.amdhsa_user_sgpr_kernarg_preload_offset 0
		.amdhsa_user_sgpr_private_segment_size 0
		.amdhsa_wavefront_size32 1
		.amdhsa_uses_dynamic_stack 0
		.amdhsa_enable_private_segment 0
		.amdhsa_system_sgpr_workgroup_id_x 1
		.amdhsa_system_sgpr_workgroup_id_y 1
		.amdhsa_system_sgpr_workgroup_id_z 1
		.amdhsa_system_sgpr_workgroup_info 0
		.amdhsa_system_vgpr_workitem_id 1
		.amdhsa_next_free_vgpr 144
		.amdhsa_next_free_sgpr 52
		.amdhsa_named_barrier_count 0
		.amdhsa_reserve_vcc 1
		.amdhsa_float_round_mode_32 0
		.amdhsa_float_round_mode_16_64 0
		.amdhsa_float_denorm_mode_32 3
		.amdhsa_float_denorm_mode_16_64 3
		.amdhsa_fp16_overflow 0
		.amdhsa_memory_ordered 1
		.amdhsa_forward_progress 1
		.amdhsa_inst_pref_size 45
		.amdhsa_round_robin_scheduling 0
		.amdhsa_exception_fp_ieee_invalid_op 0
		.amdhsa_exception_fp_denorm_src 0
		.amdhsa_exception_fp_ieee_div_zero 0
		.amdhsa_exception_fp_ieee_overflow 0
		.amdhsa_exception_fp_ieee_underflow 0
		.amdhsa_exception_fp_ieee_inexact 0
		.amdhsa_exception_int_div_zero 0
	.end_amdhsa_kernel
	.section	.text._ZN12_GLOBAL__N_127rocblas_gemm_batched_kernelI19rocblas_complex_numIdELi16ELi16ELi64ELi64ELi4ELi64ELi4ELi4ELi64ELc67ELc84EKS2_S3_S2_EEvlllT_PT11_llS6_llS4_PT12_llPT13_lli,"axG",@progbits,_ZN12_GLOBAL__N_127rocblas_gemm_batched_kernelI19rocblas_complex_numIdELi16ELi16ELi64ELi64ELi4ELi64ELi4ELi4ELi64ELc67ELc84EKS2_S3_S2_EEvlllT_PT11_llS6_llS4_PT12_llPT13_lli,comdat
.Lfunc_end535:
	.size	_ZN12_GLOBAL__N_127rocblas_gemm_batched_kernelI19rocblas_complex_numIdELi16ELi16ELi64ELi64ELi4ELi64ELi4ELi4ELi64ELc67ELc84EKS2_S3_S2_EEvlllT_PT11_llS6_llS4_PT12_llPT13_lli, .Lfunc_end535-_ZN12_GLOBAL__N_127rocblas_gemm_batched_kernelI19rocblas_complex_numIdELi16ELi16ELi64ELi64ELi4ELi64ELi4ELi4ELi64ELc67ELc84EKS2_S3_S2_EEvlllT_PT11_llS6_llS4_PT12_llPT13_lli
                                        ; -- End function
	.set _ZN12_GLOBAL__N_127rocblas_gemm_batched_kernelI19rocblas_complex_numIdELi16ELi16ELi64ELi64ELi4ELi64ELi4ELi4ELi64ELc67ELc84EKS2_S3_S2_EEvlllT_PT11_llS6_llS4_PT12_llPT13_lli.num_vgpr, 144
	.set _ZN12_GLOBAL__N_127rocblas_gemm_batched_kernelI19rocblas_complex_numIdELi16ELi16ELi64ELi64ELi4ELi64ELi4ELi4ELi64ELc67ELc84EKS2_S3_S2_EEvlllT_PT11_llS6_llS4_PT12_llPT13_lli.num_agpr, 0
	.set _ZN12_GLOBAL__N_127rocblas_gemm_batched_kernelI19rocblas_complex_numIdELi16ELi16ELi64ELi64ELi4ELi64ELi4ELi4ELi64ELc67ELc84EKS2_S3_S2_EEvlllT_PT11_llS6_llS4_PT12_llPT13_lli.numbered_sgpr, 52
	.set _ZN12_GLOBAL__N_127rocblas_gemm_batched_kernelI19rocblas_complex_numIdELi16ELi16ELi64ELi64ELi4ELi64ELi4ELi4ELi64ELc67ELc84EKS2_S3_S2_EEvlllT_PT11_llS6_llS4_PT12_llPT13_lli.num_named_barrier, 0
	.set _ZN12_GLOBAL__N_127rocblas_gemm_batched_kernelI19rocblas_complex_numIdELi16ELi16ELi64ELi64ELi4ELi64ELi4ELi4ELi64ELc67ELc84EKS2_S3_S2_EEvlllT_PT11_llS6_llS4_PT12_llPT13_lli.private_seg_size, 0
	.set _ZN12_GLOBAL__N_127rocblas_gemm_batched_kernelI19rocblas_complex_numIdELi16ELi16ELi64ELi64ELi4ELi64ELi4ELi4ELi64ELc67ELc84EKS2_S3_S2_EEvlllT_PT11_llS6_llS4_PT12_llPT13_lli.uses_vcc, 1
	.set _ZN12_GLOBAL__N_127rocblas_gemm_batched_kernelI19rocblas_complex_numIdELi16ELi16ELi64ELi64ELi4ELi64ELi4ELi4ELi64ELc67ELc84EKS2_S3_S2_EEvlllT_PT11_llS6_llS4_PT12_llPT13_lli.uses_flat_scratch, 0
	.set _ZN12_GLOBAL__N_127rocblas_gemm_batched_kernelI19rocblas_complex_numIdELi16ELi16ELi64ELi64ELi4ELi64ELi4ELi4ELi64ELc67ELc84EKS2_S3_S2_EEvlllT_PT11_llS6_llS4_PT12_llPT13_lli.has_dyn_sized_stack, 0
	.set _ZN12_GLOBAL__N_127rocblas_gemm_batched_kernelI19rocblas_complex_numIdELi16ELi16ELi64ELi64ELi4ELi64ELi4ELi4ELi64ELc67ELc84EKS2_S3_S2_EEvlllT_PT11_llS6_llS4_PT12_llPT13_lli.has_recursion, 0
	.set _ZN12_GLOBAL__N_127rocblas_gemm_batched_kernelI19rocblas_complex_numIdELi16ELi16ELi64ELi64ELi4ELi64ELi4ELi4ELi64ELc67ELc84EKS2_S3_S2_EEvlllT_PT11_llS6_llS4_PT12_llPT13_lli.has_indirect_call, 0
	.section	.AMDGPU.csdata,"",@progbits
; Kernel info:
; codeLenInByte = 5660
; TotalNumSgprs: 54
; NumVgprs: 144
; ScratchSize: 0
; MemoryBound: 0
; FloatMode: 240
; IeeeMode: 1
; LDSByteSize: 8192 bytes/workgroup (compile time only)
; SGPRBlocks: 0
; VGPRBlocks: 8
; NumSGPRsForWavesPerEU: 54
; NumVGPRsForWavesPerEU: 144
; NamedBarCnt: 0
; Occupancy: 7
; WaveLimiterHint : 1
; COMPUTE_PGM_RSRC2:SCRATCH_EN: 0
; COMPUTE_PGM_RSRC2:USER_SGPR: 2
; COMPUTE_PGM_RSRC2:TRAP_HANDLER: 0
; COMPUTE_PGM_RSRC2:TGID_X_EN: 1
; COMPUTE_PGM_RSRC2:TGID_Y_EN: 1
; COMPUTE_PGM_RSRC2:TGID_Z_EN: 1
; COMPUTE_PGM_RSRC2:TIDIG_COMP_CNT: 1
	.section	.text._ZN12_GLOBAL__N_127rocblas_gemm_batched_kernelI19rocblas_complex_numIdELi16ELi16ELi64ELi64ELi4ELi64ELi4ELi4ELi64ELc78ELc67EKS2_S3_S2_EEvlllT_PT11_llS6_llS4_PT12_llPT13_lli,"axG",@progbits,_ZN12_GLOBAL__N_127rocblas_gemm_batched_kernelI19rocblas_complex_numIdELi16ELi16ELi64ELi64ELi4ELi64ELi4ELi4ELi64ELc78ELc67EKS2_S3_S2_EEvlllT_PT11_llS6_llS4_PT12_llPT13_lli,comdat
	.globl	_ZN12_GLOBAL__N_127rocblas_gemm_batched_kernelI19rocblas_complex_numIdELi16ELi16ELi64ELi64ELi4ELi64ELi4ELi4ELi64ELc78ELc67EKS2_S3_S2_EEvlllT_PT11_llS6_llS4_PT12_llPT13_lli ; -- Begin function _ZN12_GLOBAL__N_127rocblas_gemm_batched_kernelI19rocblas_complex_numIdELi16ELi16ELi64ELi64ELi4ELi64ELi4ELi4ELi64ELc78ELc67EKS2_S3_S2_EEvlllT_PT11_llS6_llS4_PT12_llPT13_lli
	.p2align	8
	.type	_ZN12_GLOBAL__N_127rocblas_gemm_batched_kernelI19rocblas_complex_numIdELi16ELi16ELi64ELi64ELi4ELi64ELi4ELi4ELi64ELc78ELc67EKS2_S3_S2_EEvlllT_PT11_llS6_llS4_PT12_llPT13_lli,@function
_ZN12_GLOBAL__N_127rocblas_gemm_batched_kernelI19rocblas_complex_numIdELi16ELi16ELi64ELi64ELi4ELi64ELi4ELi4ELi64ELc78ELc67EKS2_S3_S2_EEvlllT_PT11_llS6_llS4_PT12_llPT13_lli: ; @_ZN12_GLOBAL__N_127rocblas_gemm_batched_kernelI19rocblas_complex_numIdELi16ELi16ELi64ELi64ELi4ELi64ELi4ELi4ELi64ELc78ELc67EKS2_S3_S2_EEvlllT_PT11_llS6_llS4_PT12_llPT13_lli
; %bb.0:
	s_load_b32 s26, s[0:1], 0x98
	s_bfe_u32 s2, ttmp6, 0x40014
	s_lshr_b32 s3, ttmp7, 16
	s_add_co_i32 s2, s2, 1
	s_bfe_u32 s4, ttmp6, 0x40008
	s_mul_i32 s2, s3, s2
	s_getreg_b32 s20, hwreg(HW_REG_IB_STS2, 6, 4)
	s_add_co_i32 s4, s4, s2
	s_cmp_eq_u32 s20, 0
	s_cselect_b32 s2, s3, s4
	s_mov_b32 s3, 0
	s_wait_kmcnt 0x0
	s_cmp_ge_i32 s2, s26
	s_cbranch_scc1 .LBB536_11
; %bb.1:
	s_clause 0x1
	s_load_b512 s[4:19], s[0:1], 0x10
	s_load_b512 s[36:51], s[0:1], 0x50
	s_bfe_u32 s21, ttmp6, 0x4000c
	s_bfe_u32 s23, ttmp6, 0x40010
	v_bfe_u32 v2, v0, 10, 10
	v_and_b32_e32 v4, 0x3ff, v0
	s_add_co_i32 s21, s21, 1
	s_and_b32 s24, ttmp7, 0xffff
	s_add_co_i32 s23, s23, 1
	s_and_b32 s22, ttmp6, 15
	s_mul_i32 s21, ttmp9, s21
	s_mul_i32 s23, s24, s23
	s_bfe_u32 s25, ttmp6, 0x40004
	s_add_co_i32 s22, s22, s21
	s_add_co_i32 s25, s25, s23
	v_lshl_add_u32 v5, v2, 4, v4
	v_mov_b32_e32 v3, 0
	s_cmp_eq_u32 s20, 0
	s_mov_b32 s23, s3
	s_cselect_b32 s21, s24, s25
	s_cselect_b32 s20, ttmp9, s22
	s_lshl_b32 s22, s21, 6
	v_dual_lshrrev_b32 v16, 6, v5 :: v_dual_lshrrev_b32 v8, 2, v5
	v_mov_b32_e32 v9, v3
	v_add_nc_u64_e32 v[6:7], s[22:23], v[2:3]
	s_ashr_i32 s21, s20, 31
	s_wait_kmcnt 0x0
	v_cmp_eq_f64_e64 s27, s[38:39], 0
	s_lshl_b64 s[24:25], s[20:21], 6
	v_add_nc_u64_e32 v[14:15], s[22:23], v[8:9]
	v_mad_nc_u64_u32 v[12:13], s12, v16, s[24:25]
	v_and_b32_e32 v9, 3, v0
	v_mul_u64_e32 v[10:11], s[44:45], v[6:7]
	v_cmp_eq_f64_e64 s28, s[40:41], 0
	v_mul_u64_e32 v[24:25], s[50:51], v[6:7]
	v_dual_mov_b32 v7, v3 :: v_dual_bitop2_b32 v6, 63, v5 bitop3:0x40
	v_mov_b32_e32 v5, v3
	v_mad_nc_u64_u32 v[0:1], s18, v9, v[14:15]
	s_load_b64 s[20:21], s[0:1], 0x90
	v_lshl_add_u32 v99, v2, 6, 0x1000
	v_mad_u32 v13, s13, v16, v13
	s_wait_xcnt 0x0
	v_cmp_gt_i64_e64 s0, s[4:5], 0
	v_dual_lshlrev_b32 v14, 4, v9 :: v_dual_lshlrev_b32 v98, 4, v4
	v_lshlrev_b32_e32 v15, 4, v6
	v_add_nc_u64_e32 v[26:27], s[24:25], v[4:5]
	s_lshl_b64 s[22:23], s[50:51], 4
	s_delay_alu instid0(VALU_DEP_3)
	v_lshl_or_b32 v8, v8, 6, v14
	v_mad_u32 v1, s19, v9, v1
	v_lshl_or_b32 v100, v16, 10, v15
	s_lshl_b64 s[24:25], s[44:45], 4
	v_add_nc_u64_e32 v[2:3], v[12:13], v[6:7]
	v_add_nc_u32_e32 v101, 0x1000, v8
	s_lshl_b64 s[12:13], s[12:13], 6
	s_lshl_b64 s[22:23], s[22:23], 4
	s_delay_alu instid0(VALU_DEP_2)
	v_lshl_add_u64 v[30:31], v[2:3], 4, s[10:11]
	v_lshl_add_u64 v[0:1], v[0:1], 4, s[16:17]
	v_cndmask_b32_e64 v2, 0, 1, s0
	s_lshl_b64 s[10:11], s[14:15], 4
	s_lshl_b64 s[14:15], s[36:37], 4
	v_lshl_add_u64 v[28:29], v[10:11], 4, s[42:43]
	v_add_nc_u64_e32 v[32:33], 8, v[0:1]
	v_cmp_ne_u32_e64 s0, 1, v2
	s_and_b32 s1, s27, s28
	s_lshl_b64 s[16:17], s[18:19], 6
	s_lshl_b64 s[18:19], s[24:25], 4
	s_branch .LBB536_3
.LBB536_2:                              ;   in Loop: Header=BB536_3 Depth=1
	s_add_co_i32 s2, s2, 0x10000
	global_store_b64 v[2:3], v[0:1], off offset:8
	s_cmp_lt_i32 s2, s26
	s_cbranch_scc0 .LBB536_11
.LBB536_3:                              ; =>This Loop Header: Depth=1
                                        ;     Child Loop BB536_5 Depth 2
	s_and_b32 vcc_lo, exec_lo, s0
	s_cbranch_vccnz .LBB536_6
; %bb.4:                                ;   in Loop: Header=BB536_3 Depth=1
	s_wait_xcnt 0x7
	v_mad_nc_u64_u32 v[34:35], s10, s2, v[30:31]
	v_mad_nc_u64_u32 v[36:37], s14, s2, v[32:33]
	v_mov_b64_e32 v[84:85], 0
	v_mov_b64_e32 v[82:83], 0
	;; [unrolled: 1-line block ×9, first 2 shown]
	v_mad_u32 v35, s11, s2, v35
	v_mad_u32 v37, s15, s2, v37
	v_mov_b64_e32 v[44:45], 0
	v_mov_b64_e32 v[56:57], 0
	;; [unrolled: 1-line block ×23, first 2 shown]
	s_mov_b64 s[24:25], 0
.LBB536_5:                              ;   Parent Loop BB536_3 Depth=1
                                        ; =>  This Inner Loop Header: Depth=2
	global_load_b128 v[0:3], v[34:35], off
	s_add_nc_u64 s[24:25], s[24:25], 4
	s_wait_xcnt 0x0
	v_add_nc_u64_e32 v[34:35], s[12:13], v[34:35]
	v_cmp_lt_i64_e64 s27, s[24:25], s[4:5]
	s_and_b32 vcc_lo, exec_lo, s27
	s_wait_loadcnt 0x0
	ds_store_2addr_b64 v100, v[0:1], v[2:3] offset1:1
	global_load_b128 v[0:3], v[36:37], off offset:-8
	s_wait_xcnt 0x0
	v_add_nc_u64_e32 v[36:37], s[16:17], v[36:37]
	s_wait_loadcnt 0x0
	v_xor_b32_e32 v3, 0x80000000, v3
	ds_store_b128 v101, v[0:3]
	s_wait_dscnt 0x0
	s_barrier_signal -1
	s_barrier_wait -1
	ds_load_b128 v[86:89], v99
	ds_load_b128 v[90:93], v99 offset:16
	ds_load_b128 v[4:7], v99 offset:32
	;; [unrolled: 1-line block ×3, first 2 shown]
	ds_load_b128 v[94:97], v98
	s_wait_dscnt 0x0
	v_mul_f64_e32 v[102:103], v[88:89], v[96:97]
	v_mul_f64_e32 v[104:105], v[86:87], v[96:97]
	s_delay_alu instid0(VALU_DEP_2) | instskip(NEXT) | instid1(VALU_DEP_2)
	v_fma_f64 v[102:103], v[86:87], v[94:95], -v[102:103]
	v_fmac_f64_e32 v[104:105], v[88:89], v[94:95]
	s_delay_alu instid0(VALU_DEP_2) | instskip(NEXT) | instid1(VALU_DEP_2)
	v_add_f64_e32 v[106:107], v[58:59], v[102:103]
	v_add_f64_e32 v[108:109], v[104:105], v[60:61]
	ds_load_b128 v[58:61], v98 offset:256
	s_wait_dscnt 0x0
	v_mul_f64_e32 v[102:103], v[88:89], v[60:61]
	v_mul_f64_e32 v[104:105], v[86:87], v[60:61]
	s_delay_alu instid0(VALU_DEP_2) | instskip(NEXT) | instid1(VALU_DEP_2)
	v_fma_f64 v[102:103], v[86:87], v[58:59], -v[102:103]
	v_fmac_f64_e32 v[104:105], v[88:89], v[58:59]
	s_delay_alu instid0(VALU_DEP_2) | instskip(NEXT) | instid1(VALU_DEP_2)
	v_add_f64_e32 v[42:43], v[42:43], v[102:103]
	v_add_f64_e32 v[110:111], v[104:105], v[46:47]
	ds_load_b128 v[102:105], v98 offset:512
	;; [unrolled: 10-line block ×3, first 2 shown]
	s_wait_dscnt 0x0
	v_mul_f64_e32 v[46:47], v[88:89], v[40:41]
	s_delay_alu instid0(VALU_DEP_1) | instskip(SKIP_1) | instid1(VALU_DEP_1)
	v_fma_f64 v[46:47], v[86:87], v[38:39], -v[46:47]
	v_mul_f64_e32 v[86:87], v[86:87], v[40:41]
	v_fmac_f64_e32 v[86:87], v[88:89], v[38:39]
	s_delay_alu instid0(VALU_DEP_3) | instskip(NEXT) | instid1(VALU_DEP_2)
	v_add_f64_e32 v[88:89], v[20:21], v[46:47]
	v_add_f64_e32 v[86:87], v[86:87], v[22:23]
	ds_load_b128 v[20:23], v99 offset:1024
	s_wait_dscnt 0x0
	v_mul_f64_e32 v[46:47], v[22:23], v[96:97]
	v_mul_f64_e32 v[116:117], v[20:21], v[96:97]
	s_delay_alu instid0(VALU_DEP_2) | instskip(NEXT) | instid1(VALU_DEP_2)
	v_fma_f64 v[46:47], v[20:21], v[94:95], -v[46:47]
	v_fmac_f64_e32 v[116:117], v[22:23], v[94:95]
	s_delay_alu instid0(VALU_DEP_2) | instskip(SKIP_1) | instid1(VALU_DEP_3)
	v_add_f64_e32 v[78:79], v[78:79], v[46:47]
	v_mul_f64_e32 v[46:47], v[22:23], v[60:61]
	v_add_f64_e32 v[80:81], v[116:117], v[80:81]
	v_mul_f64_e32 v[116:117], v[20:21], v[60:61]
	s_delay_alu instid0(VALU_DEP_3) | instskip(NEXT) | instid1(VALU_DEP_2)
	v_fma_f64 v[46:47], v[20:21], v[58:59], -v[46:47]
	v_fmac_f64_e32 v[116:117], v[22:23], v[58:59]
	s_delay_alu instid0(VALU_DEP_2) | instskip(SKIP_2) | instid1(VALU_DEP_4)
	v_add_f64_e32 v[118:119], v[70:71], v[46:47]
	v_mul_f64_e32 v[46:47], v[22:23], v[104:105]
	v_mul_f64_e32 v[70:71], v[20:21], v[104:105]
	v_add_f64_e32 v[116:117], v[116:117], v[74:75]
	s_delay_alu instid0(VALU_DEP_3) | instskip(NEXT) | instid1(VALU_DEP_3)
	v_fma_f64 v[46:47], v[20:21], v[102:103], -v[46:47]
	v_fmac_f64_e32 v[70:71], v[22:23], v[102:103]
	s_delay_alu instid0(VALU_DEP_2) | instskip(SKIP_1) | instid1(VALU_DEP_3)
	v_add_f64_e32 v[120:121], v[62:63], v[46:47]
	v_mul_f64_e32 v[46:47], v[22:23], v[40:41]
	v_add_f64_e32 v[122:123], v[70:71], v[66:67]
	s_delay_alu instid0(VALU_DEP_2) | instskip(SKIP_1) | instid1(VALU_DEP_2)
	v_fma_f64 v[46:47], v[20:21], v[38:39], -v[46:47]
	v_mul_f64_e32 v[20:21], v[20:21], v[40:41]
	v_add_f64_e32 v[124:125], v[50:51], v[46:47]
	s_delay_alu instid0(VALU_DEP_2) | instskip(NEXT) | instid1(VALU_DEP_1)
	v_fmac_f64_e32 v[20:21], v[22:23], v[38:39]
	v_add_f64_e32 v[126:127], v[20:21], v[54:55]
	ds_load_b128 v[20:23], v99 offset:2048
	s_wait_dscnt 0x0
	v_mul_f64_e32 v[46:47], v[22:23], v[96:97]
	v_mul_f64_e32 v[50:51], v[20:21], v[96:97]
	s_delay_alu instid0(VALU_DEP_2) | instskip(NEXT) | instid1(VALU_DEP_2)
	v_fma_f64 v[46:47], v[20:21], v[94:95], -v[46:47]
	v_fmac_f64_e32 v[50:51], v[22:23], v[94:95]
	s_delay_alu instid0(VALU_DEP_2) | instskip(SKIP_1) | instid1(VALU_DEP_3)
	v_add_f64_e32 v[128:129], v[72:73], v[46:47]
	v_mul_f64_e32 v[46:47], v[22:23], v[60:61]
	v_add_f64_e32 v[130:131], v[50:51], v[76:77]
	v_mul_f64_e32 v[50:51], v[20:21], v[60:61]
	s_delay_alu instid0(VALU_DEP_3) | instskip(NEXT) | instid1(VALU_DEP_2)
	v_fma_f64 v[46:47], v[20:21], v[58:59], -v[46:47]
	v_fmac_f64_e32 v[50:51], v[22:23], v[58:59]
	s_delay_alu instid0(VALU_DEP_2) | instskip(SKIP_1) | instid1(VALU_DEP_3)
	v_add_f64_e32 v[132:133], v[64:65], v[46:47]
	v_mul_f64_e32 v[46:47], v[22:23], v[104:105]
	v_add_f64_e32 v[134:135], v[50:51], v[68:69]
	v_mul_f64_e32 v[50:51], v[20:21], v[104:105]
	s_delay_alu instid0(VALU_DEP_3) | instskip(NEXT) | instid1(VALU_DEP_2)
	v_fma_f64 v[46:47], v[20:21], v[102:103], -v[46:47]
	v_fmac_f64_e32 v[50:51], v[22:23], v[102:103]
	s_delay_alu instid0(VALU_DEP_2) | instskip(SKIP_1) | instid1(VALU_DEP_3)
	v_add_f64_e32 v[136:137], v[52:53], v[46:47]
	v_mul_f64_e32 v[46:47], v[22:23], v[40:41]
	v_add_f64_e32 v[138:139], v[50:51], v[56:57]
	s_delay_alu instid0(VALU_DEP_2) | instskip(SKIP_1) | instid1(VALU_DEP_2)
	v_fma_f64 v[46:47], v[20:21], v[38:39], -v[46:47]
	v_mul_f64_e32 v[20:21], v[20:21], v[40:41]
	v_add_f64_e32 v[140:141], v[44:45], v[46:47]
	s_delay_alu instid0(VALU_DEP_2) | instskip(NEXT) | instid1(VALU_DEP_1)
	v_fmac_f64_e32 v[20:21], v[22:23], v[38:39]
	v_add_f64_e32 v[142:143], v[20:21], v[48:49]
	ds_load_b128 v[20:23], v99 offset:3072
	s_wait_dscnt 0x0
	v_mul_f64_e32 v[44:45], v[22:23], v[96:97]
	v_mul_f64_e32 v[46:47], v[20:21], v[96:97]
	s_delay_alu instid0(VALU_DEP_2) | instskip(NEXT) | instid1(VALU_DEP_2)
	v_fma_f64 v[44:45], v[20:21], v[94:95], -v[44:45]
	v_fmac_f64_e32 v[46:47], v[22:23], v[94:95]
	s_delay_alu instid0(VALU_DEP_2) | instskip(NEXT) | instid1(VALU_DEP_2)
	v_add_f64_e32 v[66:67], v[16:17], v[44:45]
	v_add_f64_e32 v[68:69], v[46:47], v[18:19]
	v_mul_f64_e32 v[16:17], v[22:23], v[60:61]
	v_mul_f64_e32 v[18:19], v[20:21], v[60:61]
	s_delay_alu instid0(VALU_DEP_2) | instskip(NEXT) | instid1(VALU_DEP_2)
	v_fma_f64 v[16:17], v[20:21], v[58:59], -v[16:17]
	v_fmac_f64_e32 v[18:19], v[22:23], v[58:59]
	s_delay_alu instid0(VALU_DEP_2) | instskip(NEXT) | instid1(VALU_DEP_2)
	v_add_f64_e32 v[62:63], v[12:13], v[16:17]
	v_add_f64_e32 v[64:65], v[18:19], v[14:15]
	v_mul_f64_e32 v[12:13], v[22:23], v[104:105]
	v_mul_f64_e32 v[14:15], v[20:21], v[104:105]
	ds_load_b128 v[16:19], v98 offset:1280
	v_fma_f64 v[12:13], v[20:21], v[102:103], -v[12:13]
	v_fmac_f64_e32 v[14:15], v[22:23], v[102:103]
	s_delay_alu instid0(VALU_DEP_2) | instskip(NEXT) | instid1(VALU_DEP_2)
	v_add_f64_e32 v[58:59], v[8:9], v[12:13]
	v_add_f64_e32 v[60:61], v[14:15], v[10:11]
	v_mul_f64_e32 v[8:9], v[22:23], v[40:41]
	v_mul_f64_e32 v[10:11], v[20:21], v[40:41]
	ds_load_b128 v[12:15], v98 offset:1536
	v_fma_f64 v[8:9], v[20:21], v[38:39], -v[8:9]
	v_fmac_f64_e32 v[10:11], v[22:23], v[38:39]
	ds_load_b128 v[20:23], v98 offset:1024
	v_add_f64_e32 v[54:55], v[82:83], v[8:9]
	v_add_f64_e32 v[56:57], v[10:11], v[84:85]
	s_wait_dscnt 0x0
	v_mul_f64_e32 v[8:9], v[92:93], v[22:23]
	v_mul_f64_e32 v[10:11], v[90:91], v[22:23]
	ds_load_b128 v[82:85], v99 offset:1040
	s_wait_dscnt 0x0
	v_mul_f64_e32 v[70:71], v[84:85], v[22:23]
	v_mul_f64_e32 v[72:73], v[82:83], v[22:23]
	;; [unrolled: 1-line block ×4, first 2 shown]
	v_fma_f64 v[8:9], v[90:91], v[20:21], -v[8:9]
	v_fmac_f64_e32 v[10:11], v[92:93], v[20:21]
	v_fma_f64 v[70:71], v[82:83], v[20:21], -v[70:71]
	v_fmac_f64_e32 v[72:73], v[84:85], v[20:21]
	;; [unrolled: 2-line block ×3, first 2 shown]
	v_add_f64_e32 v[50:51], v[106:107], v[8:9]
	v_add_f64_e32 v[52:53], v[10:11], v[108:109]
	v_mul_f64_e32 v[8:9], v[92:93], v[18:19]
	v_mul_f64_e32 v[10:11], v[90:91], v[18:19]
	v_add_f64_e32 v[70:71], v[78:79], v[70:71]
	v_add_f64_e32 v[72:73], v[72:73], v[80:81]
	v_mul_f64_e32 v[78:79], v[84:85], v[14:15]
	v_mul_f64_e32 v[80:81], v[82:83], v[14:15]
	v_add_f64_e32 v[74:75], v[118:119], v[74:75]
	v_add_f64_e32 v[76:77], v[76:77], v[116:117]
	v_fma_f64 v[8:9], v[90:91], v[16:17], -v[8:9]
	v_fmac_f64_e32 v[10:11], v[92:93], v[16:17]
	v_fma_f64 v[78:79], v[82:83], v[12:13], -v[78:79]
	v_fmac_f64_e32 v[80:81], v[84:85], v[12:13]
	s_delay_alu instid0(VALU_DEP_4) | instskip(NEXT) | instid1(VALU_DEP_4)
	v_add_f64_e32 v[46:47], v[42:43], v[8:9]
	v_add_f64_e32 v[48:49], v[10:11], v[110:111]
	v_mul_f64_e32 v[8:9], v[92:93], v[14:15]
	v_mul_f64_e32 v[10:11], v[90:91], v[14:15]
	v_add_f64_e32 v[78:79], v[120:121], v[78:79]
	v_add_f64_e32 v[80:81], v[80:81], v[122:123]
	s_delay_alu instid0(VALU_DEP_4) | instskip(NEXT) | instid1(VALU_DEP_4)
	v_fma_f64 v[8:9], v[90:91], v[12:13], -v[8:9]
	v_fmac_f64_e32 v[10:11], v[92:93], v[12:13]
	s_delay_alu instid0(VALU_DEP_2) | instskip(NEXT) | instid1(VALU_DEP_2)
	v_add_f64_e32 v[42:43], v[114:115], v[8:9]
	v_add_f64_e32 v[44:45], v[10:11], v[112:113]
	ds_load_b128 v[8:11], v98 offset:1792
	s_wait_dscnt 0x0
	v_mul_f64_e32 v[38:39], v[92:93], v[10:11]
	v_mul_f64_e32 v[40:41], v[90:91], v[10:11]
	s_delay_alu instid0(VALU_DEP_2) | instskip(NEXT) | instid1(VALU_DEP_2)
	v_fma_f64 v[38:39], v[90:91], v[8:9], -v[38:39]
	v_fmac_f64_e32 v[40:41], v[92:93], v[8:9]
	s_delay_alu instid0(VALU_DEP_2) | instskip(NEXT) | instid1(VALU_DEP_2)
	v_add_f64_e32 v[38:39], v[88:89], v[38:39]
	v_add_f64_e32 v[40:41], v[40:41], v[86:87]
	v_mul_f64_e32 v[86:87], v[84:85], v[10:11]
	v_mul_f64_e32 v[88:89], v[82:83], v[10:11]
	s_delay_alu instid0(VALU_DEP_2) | instskip(NEXT) | instid1(VALU_DEP_2)
	v_fma_f64 v[86:87], v[82:83], v[8:9], -v[86:87]
	v_fmac_f64_e32 v[88:89], v[84:85], v[8:9]
	s_delay_alu instid0(VALU_DEP_2) | instskip(NEXT) | instid1(VALU_DEP_2)
	v_add_f64_e32 v[82:83], v[124:125], v[86:87]
	v_add_f64_e32 v[84:85], v[88:89], v[126:127]
	ds_load_b128 v[86:89], v99 offset:2064
	s_wait_dscnt 0x0
	v_mul_f64_e32 v[90:91], v[88:89], v[22:23]
	v_mul_f64_e32 v[94:95], v[88:89], v[18:19]
	;; [unrolled: 1-line block ×7, first 2 shown]
	v_fma_f64 v[90:91], v[86:87], v[20:21], -v[90:91]
	v_fma_f64 v[94:95], v[86:87], v[16:17], -v[94:95]
	;; [unrolled: 1-line block ×4, first 2 shown]
	v_mul_f64_e32 v[86:87], v[86:87], v[10:11]
	v_fmac_f64_e32 v[92:93], v[88:89], v[20:21]
	v_fmac_f64_e32 v[96:97], v[88:89], v[16:17]
	;; [unrolled: 1-line block ×3, first 2 shown]
	v_add_f64_e32 v[90:91], v[128:129], v[90:91]
	v_add_f64_e32 v[94:95], v[132:133], v[94:95]
	;; [unrolled: 1-line block ×4, first 2 shown]
	v_fmac_f64_e32 v[86:87], v[88:89], v[8:9]
	v_add_f64_e32 v[92:93], v[92:93], v[130:131]
	v_add_f64_e32 v[96:97], v[96:97], v[134:135]
	;; [unrolled: 1-line block ×3, first 2 shown]
	s_delay_alu instid0(VALU_DEP_4) | instskip(SKIP_4) | instid1(VALU_DEP_2)
	v_add_f64_e32 v[108:109], v[86:87], v[142:143]
	ds_load_b128 v[86:89], v99 offset:3088
	s_wait_dscnt 0x0
	v_mul_f64_e32 v[110:111], v[88:89], v[22:23]
	v_mul_f64_e32 v[22:23], v[86:87], v[22:23]
	v_fma_f64 v[110:111], v[86:87], v[20:21], -v[110:111]
	s_delay_alu instid0(VALU_DEP_2) | instskip(SKIP_2) | instid1(VALU_DEP_4)
	v_fmac_f64_e32 v[22:23], v[88:89], v[20:21]
	v_mul_f64_e32 v[20:21], v[88:89], v[18:19]
	v_mul_f64_e32 v[18:19], v[86:87], v[18:19]
	v_add_f64_e32 v[66:67], v[66:67], v[110:111]
	s_delay_alu instid0(VALU_DEP_4) | instskip(NEXT) | instid1(VALU_DEP_4)
	v_add_f64_e32 v[68:69], v[22:23], v[68:69]
	v_fma_f64 v[20:21], v[86:87], v[16:17], -v[20:21]
	s_delay_alu instid0(VALU_DEP_4) | instskip(SKIP_2) | instid1(VALU_DEP_4)
	v_fmac_f64_e32 v[18:19], v[88:89], v[16:17]
	v_mul_f64_e32 v[16:17], v[88:89], v[14:15]
	v_mul_f64_e32 v[14:15], v[86:87], v[14:15]
	v_add_f64_e32 v[62:63], v[62:63], v[20:21]
	s_delay_alu instid0(VALU_DEP_4) | instskip(NEXT) | instid1(VALU_DEP_4)
	v_add_f64_e32 v[64:65], v[18:19], v[64:65]
	v_fma_f64 v[16:17], v[86:87], v[12:13], -v[16:17]
	s_delay_alu instid0(VALU_DEP_4) | instskip(SKIP_2) | instid1(VALU_DEP_4)
	v_fmac_f64_e32 v[14:15], v[88:89], v[12:13]
	v_mul_f64_e32 v[12:13], v[88:89], v[10:11]
	v_mul_f64_e32 v[10:11], v[86:87], v[10:11]
	v_add_f64_e32 v[58:59], v[58:59], v[16:17]
	s_delay_alu instid0(VALU_DEP_4) | instskip(NEXT) | instid1(VALU_DEP_4)
	v_add_f64_e32 v[60:61], v[14:15], v[60:61]
	v_fma_f64 v[12:13], v[86:87], v[8:9], -v[12:13]
	s_delay_alu instid0(VALU_DEP_4) | instskip(NEXT) | instid1(VALU_DEP_2)
	v_fmac_f64_e32 v[10:11], v[88:89], v[8:9]
	v_add_f64_e32 v[54:55], v[54:55], v[12:13]
	s_delay_alu instid0(VALU_DEP_2) | instskip(SKIP_4) | instid1(VALU_DEP_2)
	v_add_f64_e32 v[56:57], v[10:11], v[56:57]
	ds_load_b128 v[8:11], v98 offset:2048
	s_wait_dscnt 0x0
	v_mul_f64_e32 v[12:13], v[6:7], v[10:11]
	v_mul_f64_e32 v[14:15], v[4:5], v[10:11]
	v_fma_f64 v[12:13], v[4:5], v[8:9], -v[12:13]
	s_delay_alu instid0(VALU_DEP_2) | instskip(NEXT) | instid1(VALU_DEP_2)
	v_fmac_f64_e32 v[14:15], v[6:7], v[8:9]
	v_add_f64_e32 v[50:51], v[50:51], v[12:13]
	s_delay_alu instid0(VALU_DEP_2) | instskip(SKIP_4) | instid1(VALU_DEP_2)
	v_add_f64_e32 v[52:53], v[14:15], v[52:53]
	ds_load_b128 v[12:15], v98 offset:2304
	s_wait_dscnt 0x0
	v_mul_f64_e32 v[16:17], v[6:7], v[14:15]
	v_mul_f64_e32 v[18:19], v[4:5], v[14:15]
	v_fma_f64 v[16:17], v[4:5], v[12:13], -v[16:17]
	s_delay_alu instid0(VALU_DEP_2) | instskip(NEXT) | instid1(VALU_DEP_2)
	v_fmac_f64_e32 v[18:19], v[6:7], v[12:13]
	v_add_f64_e32 v[46:47], v[46:47], v[16:17]
	s_delay_alu instid0(VALU_DEP_2) | instskip(SKIP_4) | instid1(VALU_DEP_2)
	v_add_f64_e32 v[48:49], v[18:19], v[48:49]
	ds_load_b128 v[16:19], v98 offset:2560
	s_wait_dscnt 0x0
	v_mul_f64_e32 v[20:21], v[6:7], v[18:19]
	v_mul_f64_e32 v[22:23], v[4:5], v[18:19]
	v_fma_f64 v[20:21], v[4:5], v[16:17], -v[20:21]
	s_delay_alu instid0(VALU_DEP_2) | instskip(NEXT) | instid1(VALU_DEP_2)
	v_fmac_f64_e32 v[22:23], v[6:7], v[16:17]
	v_add_f64_e32 v[110:111], v[42:43], v[20:21]
	s_delay_alu instid0(VALU_DEP_2) | instskip(SKIP_3) | instid1(VALU_DEP_1)
	v_add_f64_e32 v[44:45], v[22:23], v[44:45]
	ds_load_b128 v[20:23], v98 offset:2816
	s_wait_dscnt 0x0
	v_mul_f64_e32 v[42:43], v[6:7], v[22:23]
	v_fma_f64 v[42:43], v[4:5], v[20:21], -v[42:43]
	v_mul_f64_e32 v[4:5], v[4:5], v[22:23]
	s_delay_alu instid0(VALU_DEP_2) | instskip(NEXT) | instid1(VALU_DEP_2)
	v_add_f64_e32 v[112:113], v[38:39], v[42:43]
	v_fmac_f64_e32 v[4:5], v[6:7], v[20:21]
	s_delay_alu instid0(VALU_DEP_1) | instskip(SKIP_4) | instid1(VALU_DEP_2)
	v_add_f64_e32 v[114:115], v[4:5], v[40:41]
	ds_load_b128 v[4:7], v99 offset:1056
	s_wait_dscnt 0x0
	v_mul_f64_e32 v[38:39], v[6:7], v[10:11]
	v_mul_f64_e32 v[40:41], v[4:5], v[10:11]
	v_fma_f64 v[38:39], v[4:5], v[8:9], -v[38:39]
	s_delay_alu instid0(VALU_DEP_2) | instskip(NEXT) | instid1(VALU_DEP_2)
	v_fmac_f64_e32 v[40:41], v[6:7], v[8:9]
	v_add_f64_e32 v[70:71], v[70:71], v[38:39]
	v_mul_f64_e32 v[38:39], v[6:7], v[14:15]
	s_delay_alu instid0(VALU_DEP_3) | instskip(SKIP_1) | instid1(VALU_DEP_3)
	v_add_f64_e32 v[72:73], v[40:41], v[72:73]
	v_mul_f64_e32 v[40:41], v[4:5], v[14:15]
	v_fma_f64 v[38:39], v[4:5], v[12:13], -v[38:39]
	s_delay_alu instid0(VALU_DEP_2) | instskip(NEXT) | instid1(VALU_DEP_2)
	v_fmac_f64_e32 v[40:41], v[6:7], v[12:13]
	v_add_f64_e32 v[74:75], v[74:75], v[38:39]
	v_mul_f64_e32 v[38:39], v[6:7], v[18:19]
	s_delay_alu instid0(VALU_DEP_3) | instskip(SKIP_1) | instid1(VALU_DEP_3)
	v_add_f64_e32 v[76:77], v[40:41], v[76:77]
	v_mul_f64_e32 v[40:41], v[4:5], v[18:19]
	v_fma_f64 v[38:39], v[4:5], v[16:17], -v[38:39]
	s_delay_alu instid0(VALU_DEP_2) | instskip(NEXT) | instid1(VALU_DEP_2)
	v_fmac_f64_e32 v[40:41], v[6:7], v[16:17]
	v_add_f64_e32 v[116:117], v[78:79], v[38:39]
	v_mul_f64_e32 v[38:39], v[6:7], v[22:23]
	s_delay_alu instid0(VALU_DEP_3) | instskip(NEXT) | instid1(VALU_DEP_2)
	v_add_f64_e32 v[118:119], v[40:41], v[80:81]
	v_fma_f64 v[38:39], v[4:5], v[20:21], -v[38:39]
	v_mul_f64_e32 v[4:5], v[4:5], v[22:23]
	s_delay_alu instid0(VALU_DEP_2) | instskip(NEXT) | instid1(VALU_DEP_2)
	v_add_f64_e32 v[120:121], v[82:83], v[38:39]
	v_fmac_f64_e32 v[4:5], v[6:7], v[20:21]
	s_delay_alu instid0(VALU_DEP_1) | instskip(SKIP_4) | instid1(VALU_DEP_2)
	v_add_f64_e32 v[122:123], v[4:5], v[84:85]
	ds_load_b128 v[4:7], v99 offset:2080
	s_wait_dscnt 0x0
	v_mul_f64_e32 v[38:39], v[6:7], v[10:11]
	v_mul_f64_e32 v[40:41], v[4:5], v[10:11]
	v_fma_f64 v[38:39], v[4:5], v[8:9], -v[38:39]
	s_delay_alu instid0(VALU_DEP_2) | instskip(NEXT) | instid1(VALU_DEP_2)
	v_fmac_f64_e32 v[40:41], v[6:7], v[8:9]
	v_add_f64_e32 v[124:125], v[90:91], v[38:39]
	v_mul_f64_e32 v[38:39], v[6:7], v[14:15]
	s_delay_alu instid0(VALU_DEP_3) | instskip(SKIP_1) | instid1(VALU_DEP_3)
	v_add_f64_e32 v[126:127], v[40:41], v[92:93]
	v_mul_f64_e32 v[40:41], v[4:5], v[14:15]
	v_fma_f64 v[38:39], v[4:5], v[12:13], -v[38:39]
	s_delay_alu instid0(VALU_DEP_2) | instskip(NEXT) | instid1(VALU_DEP_2)
	v_fmac_f64_e32 v[40:41], v[6:7], v[12:13]
	v_add_f64_e32 v[128:129], v[94:95], v[38:39]
	v_mul_f64_e32 v[38:39], v[6:7], v[18:19]
	s_delay_alu instid0(VALU_DEP_3) | instskip(SKIP_1) | instid1(VALU_DEP_3)
	v_add_f64_e32 v[130:131], v[40:41], v[96:97]
	v_mul_f64_e32 v[40:41], v[4:5], v[18:19]
	v_fma_f64 v[38:39], v[4:5], v[16:17], -v[38:39]
	s_delay_alu instid0(VALU_DEP_2) | instskip(NEXT) | instid1(VALU_DEP_2)
	v_fmac_f64_e32 v[40:41], v[6:7], v[16:17]
	v_add_f64_e32 v[102:103], v[102:103], v[38:39]
	v_mul_f64_e32 v[38:39], v[6:7], v[22:23]
	s_delay_alu instid0(VALU_DEP_3) | instskip(NEXT) | instid1(VALU_DEP_2)
	v_add_f64_e32 v[104:105], v[40:41], v[104:105]
	v_fma_f64 v[38:39], v[4:5], v[20:21], -v[38:39]
	v_mul_f64_e32 v[4:5], v[4:5], v[22:23]
	s_delay_alu instid0(VALU_DEP_2) | instskip(NEXT) | instid1(VALU_DEP_2)
	v_add_f64_e32 v[106:107], v[106:107], v[38:39]
	v_fmac_f64_e32 v[4:5], v[6:7], v[20:21]
	s_delay_alu instid0(VALU_DEP_1) | instskip(SKIP_4) | instid1(VALU_DEP_2)
	v_add_f64_e32 v[108:109], v[4:5], v[108:109]
	ds_load_b128 v[4:7], v99 offset:3104
	s_wait_dscnt 0x0
	v_mul_f64_e32 v[38:39], v[6:7], v[10:11]
	v_mul_f64_e32 v[10:11], v[4:5], v[10:11]
	v_fma_f64 v[38:39], v[4:5], v[8:9], -v[38:39]
	s_delay_alu instid0(VALU_DEP_2) | instskip(SKIP_1) | instid1(VALU_DEP_3)
	v_fmac_f64_e32 v[10:11], v[6:7], v[8:9]
	v_mul_f64_e32 v[8:9], v[6:7], v[14:15]
	v_add_f64_e32 v[94:95], v[66:67], v[38:39]
	s_delay_alu instid0(VALU_DEP_3) | instskip(NEXT) | instid1(VALU_DEP_3)
	v_add_f64_e32 v[96:97], v[10:11], v[68:69]
	v_fma_f64 v[8:9], v[4:5], v[12:13], -v[8:9]
	v_mul_f64_e32 v[10:11], v[4:5], v[14:15]
	s_delay_alu instid0(VALU_DEP_2) | instskip(SKIP_1) | instid1(VALU_DEP_3)
	v_add_f64_e32 v[90:91], v[62:63], v[8:9]
	v_mul_f64_e32 v[8:9], v[6:7], v[18:19]
	v_fmac_f64_e32 v[10:11], v[6:7], v[12:13]
	ds_load_b128 v[12:15], v98 offset:3328
	v_fma_f64 v[8:9], v[4:5], v[16:17], -v[8:9]
	v_add_f64_e32 v[92:93], v[10:11], v[64:65]
	v_mul_f64_e32 v[10:11], v[4:5], v[18:19]
	s_delay_alu instid0(VALU_DEP_3) | instskip(SKIP_1) | instid1(VALU_DEP_3)
	v_add_f64_e32 v[86:87], v[58:59], v[8:9]
	v_mul_f64_e32 v[8:9], v[6:7], v[22:23]
	v_fmac_f64_e32 v[10:11], v[6:7], v[16:17]
	ds_load_b128 v[16:19], v98 offset:3072
	v_fma_f64 v[8:9], v[4:5], v[20:21], -v[8:9]
	v_mul_f64_e32 v[4:5], v[4:5], v[22:23]
	v_add_f64_e32 v[88:89], v[10:11], v[60:61]
	s_delay_alu instid0(VALU_DEP_3) | instskip(NEXT) | instid1(VALU_DEP_3)
	v_add_f64_e32 v[82:83], v[54:55], v[8:9]
	v_fmac_f64_e32 v[4:5], v[6:7], v[20:21]
	s_wait_dscnt 0x0
	v_mul_f64_e32 v[6:7], v[0:1], v[18:19]
	ds_load_b128 v[8:11], v98 offset:3584
	v_add_f64_e32 v[84:85], v[4:5], v[56:57]
	v_mul_f64_e32 v[4:5], v[2:3], v[18:19]
	v_fmac_f64_e32 v[6:7], v[2:3], v[16:17]
	s_delay_alu instid0(VALU_DEP_2) | instskip(NEXT) | instid1(VALU_DEP_2)
	v_fma_f64 v[4:5], v[0:1], v[16:17], -v[4:5]
	v_add_f64_e32 v[60:61], v[6:7], v[52:53]
	v_mul_f64_e32 v[6:7], v[0:1], v[14:15]
	s_delay_alu instid0(VALU_DEP_3) | instskip(SKIP_1) | instid1(VALU_DEP_3)
	v_add_f64_e32 v[58:59], v[50:51], v[4:5]
	v_mul_f64_e32 v[4:5], v[2:3], v[14:15]
	v_fmac_f64_e32 v[6:7], v[2:3], v[12:13]
	s_delay_alu instid0(VALU_DEP_2) | instskip(NEXT) | instid1(VALU_DEP_1)
	v_fma_f64 v[4:5], v[0:1], v[12:13], -v[4:5]
	v_add_f64_e32 v[42:43], v[46:47], v[4:5]
	s_delay_alu instid0(VALU_DEP_3) | instskip(SKIP_3) | instid1(VALU_DEP_2)
	v_add_f64_e32 v[46:47], v[6:7], v[48:49]
	s_wait_dscnt 0x0
	v_mul_f64_e32 v[4:5], v[2:3], v[10:11]
	v_mul_f64_e32 v[6:7], v[0:1], v[10:11]
	v_fma_f64 v[4:5], v[0:1], v[8:9], -v[4:5]
	s_delay_alu instid0(VALU_DEP_2) | instskip(NEXT) | instid1(VALU_DEP_2)
	v_fmac_f64_e32 v[6:7], v[2:3], v[8:9]
	v_add_f64_e32 v[38:39], v[110:111], v[4:5]
	s_delay_alu instid0(VALU_DEP_2) | instskip(SKIP_3) | instid1(VALU_DEP_1)
	v_add_f64_e32 v[40:41], v[6:7], v[44:45]
	ds_load_b128 v[4:7], v98 offset:3840
	s_wait_dscnt 0x0
	v_mul_f64_e32 v[20:21], v[2:3], v[6:7]
	v_fma_f64 v[20:21], v[0:1], v[4:5], -v[20:21]
	v_mul_f64_e32 v[0:1], v[0:1], v[6:7]
	s_delay_alu instid0(VALU_DEP_2) | instskip(NEXT) | instid1(VALU_DEP_2)
	v_add_f64_e32 v[20:21], v[112:113], v[20:21]
	v_fmac_f64_e32 v[0:1], v[2:3], v[4:5]
	s_delay_alu instid0(VALU_DEP_1) | instskip(SKIP_4) | instid1(VALU_DEP_2)
	v_add_f64_e32 v[22:23], v[0:1], v[114:115]
	ds_load_b128 v[0:3], v99 offset:1072
	s_wait_dscnt 0x0
	v_mul_f64_e32 v[44:45], v[2:3], v[18:19]
	v_mul_f64_e32 v[48:49], v[0:1], v[18:19]
	v_fma_f64 v[44:45], v[0:1], v[16:17], -v[44:45]
	s_delay_alu instid0(VALU_DEP_2) | instskip(NEXT) | instid1(VALU_DEP_2)
	v_fmac_f64_e32 v[48:49], v[2:3], v[16:17]
	v_add_f64_e32 v[78:79], v[70:71], v[44:45]
	v_mul_f64_e32 v[44:45], v[2:3], v[14:15]
	s_delay_alu instid0(VALU_DEP_3) | instskip(SKIP_1) | instid1(VALU_DEP_3)
	v_add_f64_e32 v[80:81], v[48:49], v[72:73]
	v_mul_f64_e32 v[48:49], v[0:1], v[14:15]
	v_fma_f64 v[44:45], v[0:1], v[12:13], -v[44:45]
	s_delay_alu instid0(VALU_DEP_2) | instskip(NEXT) | instid1(VALU_DEP_2)
	v_fmac_f64_e32 v[48:49], v[2:3], v[12:13]
	v_add_f64_e32 v[70:71], v[74:75], v[44:45]
	v_mul_f64_e32 v[44:45], v[2:3], v[10:11]
	s_delay_alu instid0(VALU_DEP_3) | instskip(SKIP_1) | instid1(VALU_DEP_3)
	v_add_f64_e32 v[74:75], v[48:49], v[76:77]
	v_mul_f64_e32 v[48:49], v[0:1], v[10:11]
	v_fma_f64 v[44:45], v[0:1], v[8:9], -v[44:45]
	s_delay_alu instid0(VALU_DEP_2) | instskip(NEXT) | instid1(VALU_DEP_2)
	v_fmac_f64_e32 v[48:49], v[2:3], v[8:9]
	v_add_f64_e32 v[62:63], v[116:117], v[44:45]
	v_mul_f64_e32 v[44:45], v[2:3], v[6:7]
	s_delay_alu instid0(VALU_DEP_3) | instskip(NEXT) | instid1(VALU_DEP_2)
	v_add_f64_e32 v[66:67], v[48:49], v[118:119]
	v_fma_f64 v[44:45], v[0:1], v[4:5], -v[44:45]
	v_mul_f64_e32 v[0:1], v[0:1], v[6:7]
	s_delay_alu instid0(VALU_DEP_2) | instskip(NEXT) | instid1(VALU_DEP_2)
	v_add_f64_e32 v[50:51], v[120:121], v[44:45]
	v_fmac_f64_e32 v[0:1], v[2:3], v[4:5]
	s_delay_alu instid0(VALU_DEP_1) | instskip(SKIP_4) | instid1(VALU_DEP_2)
	v_add_f64_e32 v[54:55], v[0:1], v[122:123]
	ds_load_b128 v[0:3], v99 offset:2096
	s_wait_dscnt 0x0
	v_mul_f64_e32 v[44:45], v[2:3], v[18:19]
	v_mul_f64_e32 v[48:49], v[0:1], v[18:19]
	v_fma_f64 v[44:45], v[0:1], v[16:17], -v[44:45]
	s_delay_alu instid0(VALU_DEP_2) | instskip(NEXT) | instid1(VALU_DEP_2)
	v_fmac_f64_e32 v[48:49], v[2:3], v[16:17]
	v_add_f64_e32 v[72:73], v[124:125], v[44:45]
	v_mul_f64_e32 v[44:45], v[2:3], v[14:15]
	s_delay_alu instid0(VALU_DEP_3) | instskip(SKIP_1) | instid1(VALU_DEP_3)
	v_add_f64_e32 v[76:77], v[48:49], v[126:127]
	v_mul_f64_e32 v[48:49], v[0:1], v[14:15]
	v_fma_f64 v[44:45], v[0:1], v[12:13], -v[44:45]
	s_delay_alu instid0(VALU_DEP_2) | instskip(NEXT) | instid1(VALU_DEP_2)
	v_fmac_f64_e32 v[48:49], v[2:3], v[12:13]
	v_add_f64_e32 v[64:65], v[128:129], v[44:45]
	v_mul_f64_e32 v[44:45], v[2:3], v[10:11]
	s_delay_alu instid0(VALU_DEP_3) | instskip(SKIP_1) | instid1(VALU_DEP_3)
	v_add_f64_e32 v[68:69], v[48:49], v[130:131]
	v_mul_f64_e32 v[48:49], v[0:1], v[10:11]
	v_fma_f64 v[44:45], v[0:1], v[8:9], -v[44:45]
	s_delay_alu instid0(VALU_DEP_2) | instskip(NEXT) | instid1(VALU_DEP_2)
	v_fmac_f64_e32 v[48:49], v[2:3], v[8:9]
	v_add_f64_e32 v[52:53], v[102:103], v[44:45]
	v_mul_f64_e32 v[44:45], v[2:3], v[6:7]
	s_delay_alu instid0(VALU_DEP_3) | instskip(NEXT) | instid1(VALU_DEP_2)
	v_add_f64_e32 v[56:57], v[48:49], v[104:105]
	v_fma_f64 v[44:45], v[0:1], v[4:5], -v[44:45]
	v_mul_f64_e32 v[0:1], v[0:1], v[6:7]
	s_delay_alu instid0(VALU_DEP_2) | instskip(NEXT) | instid1(VALU_DEP_2)
	v_add_f64_e32 v[44:45], v[106:107], v[44:45]
	v_fmac_f64_e32 v[0:1], v[2:3], v[4:5]
	s_delay_alu instid0(VALU_DEP_1)
	v_add_f64_e32 v[48:49], v[0:1], v[108:109]
	ds_load_b128 v[0:3], v99 offset:3120
	s_wait_dscnt 0x0
	s_barrier_signal -1
	s_barrier_wait -1
	v_mul_f64_e32 v[102:103], v[2:3], v[18:19]
	v_mul_f64_e32 v[18:19], v[0:1], v[18:19]
	s_delay_alu instid0(VALU_DEP_2) | instskip(NEXT) | instid1(VALU_DEP_2)
	v_fma_f64 v[102:103], v[0:1], v[16:17], -v[102:103]
	v_fmac_f64_e32 v[18:19], v[2:3], v[16:17]
	s_delay_alu instid0(VALU_DEP_2) | instskip(SKIP_2) | instid1(VALU_DEP_4)
	v_add_f64_e32 v[16:17], v[94:95], v[102:103]
	v_mul_f64_e32 v[94:95], v[2:3], v[14:15]
	v_mul_f64_e32 v[14:15], v[0:1], v[14:15]
	v_add_f64_e32 v[18:19], v[18:19], v[96:97]
	s_delay_alu instid0(VALU_DEP_3) | instskip(NEXT) | instid1(VALU_DEP_3)
	v_fma_f64 v[94:95], v[0:1], v[12:13], -v[94:95]
	v_fmac_f64_e32 v[14:15], v[2:3], v[12:13]
	s_delay_alu instid0(VALU_DEP_2) | instskip(SKIP_2) | instid1(VALU_DEP_4)
	v_add_f64_e32 v[12:13], v[90:91], v[94:95]
	v_mul_f64_e32 v[90:91], v[2:3], v[10:11]
	v_mul_f64_e32 v[10:11], v[0:1], v[10:11]
	v_add_f64_e32 v[14:15], v[14:15], v[92:93]
	s_delay_alu instid0(VALU_DEP_3) | instskip(NEXT) | instid1(VALU_DEP_3)
	v_fma_f64 v[90:91], v[0:1], v[8:9], -v[90:91]
	v_fmac_f64_e32 v[10:11], v[2:3], v[8:9]
	s_delay_alu instid0(VALU_DEP_2) | instskip(SKIP_1) | instid1(VALU_DEP_3)
	v_add_f64_e32 v[8:9], v[86:87], v[90:91]
	v_mul_f64_e32 v[86:87], v[2:3], v[6:7]
	v_add_f64_e32 v[10:11], v[10:11], v[88:89]
	s_delay_alu instid0(VALU_DEP_2) | instskip(SKIP_1) | instid1(VALU_DEP_2)
	v_fma_f64 v[86:87], v[0:1], v[4:5], -v[86:87]
	v_mul_f64_e32 v[0:1], v[0:1], v[6:7]
	v_add_f64_e32 v[82:83], v[82:83], v[86:87]
	s_delay_alu instid0(VALU_DEP_2) | instskip(NEXT) | instid1(VALU_DEP_1)
	v_fmac_f64_e32 v[0:1], v[2:3], v[4:5]
	v_add_f64_e32 v[84:85], v[0:1], v[84:85]
	s_cbranch_vccnz .LBB536_5
	s_branch .LBB536_7
.LBB536_6:                              ;   in Loop: Header=BB536_3 Depth=1
	v_mov_b64_e32 v[58:59], 0
	v_mov_b64_e32 v[60:61], 0
	;; [unrolled: 1-line block ×32, first 2 shown]
.LBB536_7:                              ;   in Loop: Header=BB536_3 Depth=1
	s_wait_kmcnt 0x0
	s_mul_u64 s[24:25], s[20:21], s[2:3]
	s_and_not1_b32 vcc_lo, exec_lo, s1
	s_lshl_b64 s[24:25], s[24:25], 4
	s_mov_b32 s27, -1
	s_add_nc_u64 s[24:25], s[48:49], s[24:25]
                                        ; implicit-def: $vgpr0_vgpr1
                                        ; implicit-def: $vgpr2_vgpr3
	s_cbranch_vccz .LBB536_9
; %bb.8:                                ;   in Loop: Header=BB536_3 Depth=1
	s_and_not1_b32 vcc_lo, exec_lo, s27
	s_cbranch_vccnz .LBB536_2
	s_branch .LBB536_10
.LBB536_9:                              ;   in Loop: Header=BB536_3 Depth=1
	s_wait_xcnt 0x0
	v_mul_f64_e32 v[0:1], s[8:9], v[60:61]
	v_mul_f64_e32 v[2:3], s[6:7], v[60:61]
	;; [unrolled: 1-line block ×8, first 2 shown]
	v_lshlrev_b64_e32 v[130:131], 4, v[26:27]
	v_lshl_add_u64 v[122:123], v[24:25], 4, s[24:25]
	v_mul_f64_e32 v[92:93], s[8:9], v[80:81]
	v_mul_f64_e32 v[90:91], s[6:7], v[80:81]
	;; [unrolled: 1-line block ×5, first 2 shown]
	v_add_nc_u64_e32 v[112:113], v[122:123], v[130:131]
	v_mul_f64_e32 v[104:105], s[6:7], v[66:67]
	v_mul_f64_e32 v[106:107], s[8:9], v[54:55]
	;; [unrolled: 1-line block ×13, first 2 shown]
	v_fma_f64 v[0:1], s[6:7], v[58:59], -v[0:1]
	v_fmac_f64_e32 v[2:3], s[8:9], v[58:59]
	v_fma_f64 v[4:5], s[6:7], v[42:43], -v[4:5]
	v_fmac_f64_e32 v[6:7], s[8:9], v[42:43]
	v_fma_f64 v[34:35], s[6:7], v[38:39], -v[34:35]
	v_fmac_f64_e32 v[36:37], s[8:9], v[38:39]
	v_fma_f64 v[86:87], s[6:7], v[20:21], -v[86:87]
	v_fmac_f64_e32 v[88:89], s[8:9], v[20:21]
	v_fmac_f64_e32 v[90:91], s[8:9], v[78:79]
	v_fmac_f64_e32 v[94:95], s[8:9], v[70:71]
	v_fma_f64 v[102:103], s[6:7], v[62:63], -v[102:103]
	v_fmac_f64_e32 v[104:105], s[8:9], v[62:63]
	v_fma_f64 v[106:107], s[6:7], v[50:51], -v[106:107]
	v_fmac_f64_e32 v[108:109], s[8:9], v[50:51]
	v_fmac_f64_e32 v[128:129], s[8:9], v[8:9]
	;; [unrolled: 1-line block ×5, first 2 shown]
	global_store_b128 v[112:113], v[0:3], off
	s_wait_xcnt 0x0
	v_mul_f64_e32 v[0:1], s[6:7], v[84:85]
	global_store_b128 v[112:113], v[4:7], off offset:256
	s_wait_xcnt 0x0
	v_mul_f64_e32 v[4:5], s[6:7], v[76:77]
	global_store_b128 v[112:113], v[34:37], off offset:512
	;; [unrolled: 3-line block ×3, first 2 shown]
	s_wait_xcnt 0x0
	v_mul_f64_e32 v[112:113], s[6:7], v[56:57]
	v_mul_f64_e32 v[6:7], s[8:9], v[10:11]
	;; [unrolled: 1-line block ×3, first 2 shown]
	v_fma_f64 v[88:89], s[6:7], v[78:79], -v[92:93]
	v_fma_f64 v[92:93], s[6:7], v[70:71], -v[96:97]
	;; [unrolled: 1-line block ×3, first 2 shown]
	v_add_nc_u64_e32 v[96:97], s[22:23], v[122:123]
	v_fma_f64 v[34:35], s[6:7], v[64:65], -v[114:115]
	v_fma_f64 v[110:111], s[6:7], v[52:53], -v[118:119]
	;; [unrolled: 1-line block ×5, first 2 shown]
	v_fmac_f64_e32 v[0:1], s[8:9], v[82:83]
	v_fmac_f64_e32 v[4:5], s[8:9], v[72:73]
	;; [unrolled: 1-line block ×4, first 2 shown]
	v_fma_f64 v[126:127], s[6:7], v[8:9], -v[6:7]
	v_fma_f64 v[6:7], s[6:7], v[82:83], -v[86:87]
	v_add_nc_u64_e32 v[86:87], s[22:23], v[96:97]
	v_add_nc_u64_e32 v[96:97], v[96:97], v[130:131]
	s_delay_alu instid0(VALU_DEP_2)
	v_add_nc_u64_e32 v[132:133], s[22:23], v[86:87]
	v_add_nc_u64_e32 v[86:87], v[86:87], v[130:131]
	s_clause 0x5
	global_store_b128 v[96:97], v[88:91], off
	global_store_b128 v[96:97], v[92:95], off offset:256
	global_store_b128 v[96:97], v[102:105], off offset:512
	;; [unrolled: 1-line block ×3, first 2 shown]
	global_store_b128 v[86:87], v[2:5], off
	global_store_b128 v[86:87], v[34:37], off offset:256
	v_add_nc_u64_e32 v[130:131], v[132:133], v[130:131]
	s_clause 0x3
	global_store_b128 v[86:87], v[110:113], off offset:512
	global_store_b128 v[86:87], v[114:117], off offset:768
	global_store_b128 v[130:131], v[118:121], off
	global_store_b128 v[130:131], v[122:125], off offset:256
	s_wait_xcnt 0x5
	v_add_nc_u64_e32 v[2:3], 0x300, v[130:131]
	s_clause 0x1
	global_store_b128 v[130:131], v[126:129], off offset:512
	global_store_b64 v[130:131], v[6:7], off offset:768
	s_cbranch_execnz .LBB536_2
.LBB536_10:                             ;   in Loop: Header=BB536_3 Depth=1
	s_mul_u64 s[28:29], s[46:47], s[2:3]
	s_wait_xcnt 0x1
	v_lshlrev_b64_e32 v[4:5], 4, v[26:27]
	s_wait_xcnt 0x0
	v_lshl_add_u64 v[6:7], s[28:29], 4, v[28:29]
	v_mul_f64_e32 v[36:37], s[8:9], v[60:61]
	v_mul_f64_e32 v[60:61], s[6:7], v[60:61]
	s_delay_alu instid0(VALU_DEP_3)
	v_add_nc_u64_e32 v[34:35], v[6:7], v[4:5]
	v_add_nc_u64_e32 v[6:7], s[18:19], v[6:7]
	global_load_b128 v[0:3], v[34:35], off
	v_fma_f64 v[36:37], s[6:7], v[58:59], -v[36:37]
	v_fmac_f64_e32 v[60:61], s[8:9], v[58:59]
	s_wait_loadcnt 0x0
	v_mul_f64_e32 v[86:87], s[40:41], v[2:3]
	v_mul_f64_e32 v[2:3], s[38:39], v[2:3]
	s_delay_alu instid0(VALU_DEP_2) | instskip(NEXT) | instid1(VALU_DEP_2)
	v_fma_f64 v[58:59], s[38:39], v[0:1], -v[86:87]
	v_fmac_f64_e32 v[2:3], s[40:41], v[0:1]
	s_delay_alu instid0(VALU_DEP_2) | instskip(NEXT) | instid1(VALU_DEP_2)
	v_add_f64_e32 v[0:1], v[36:37], v[58:59]
	v_add_f64_e32 v[2:3], v[60:61], v[2:3]
	v_lshl_add_u64 v[36:37], v[24:25], 4, s[24:25]
	v_mul_f64_e32 v[60:61], s[8:9], v[46:47]
	v_mul_f64_e32 v[46:47], s[6:7], v[46:47]
	s_delay_alu instid0(VALU_DEP_3)
	v_add_nc_u64_e32 v[58:59], v[36:37], v[4:5]
	global_store_b128 v[58:59], v[0:3], off
	global_load_b128 v[0:3], v[34:35], off offset:256
	v_fma_f64 v[60:61], s[6:7], v[42:43], -v[60:61]
	v_fmac_f64_e32 v[46:47], s[8:9], v[42:43]
	s_wait_loadcnt 0x0
	v_mul_f64_e32 v[86:87], s[40:41], v[2:3]
	v_mul_f64_e32 v[2:3], s[38:39], v[2:3]
	s_delay_alu instid0(VALU_DEP_2) | instskip(NEXT) | instid1(VALU_DEP_2)
	v_fma_f64 v[42:43], s[38:39], v[0:1], -v[86:87]
	v_fmac_f64_e32 v[2:3], s[40:41], v[0:1]
	s_delay_alu instid0(VALU_DEP_2) | instskip(NEXT) | instid1(VALU_DEP_2)
	v_add_f64_e32 v[0:1], v[60:61], v[42:43]
	v_add_f64_e32 v[2:3], v[46:47], v[2:3]
	v_mul_f64_e32 v[42:43], s[8:9], v[40:41]
	v_mul_f64_e32 v[40:41], s[6:7], v[40:41]
	global_store_b128 v[58:59], v[0:3], off offset:256
	global_load_b128 v[0:3], v[34:35], off offset:512
	v_fma_f64 v[42:43], s[6:7], v[38:39], -v[42:43]
	v_fmac_f64_e32 v[40:41], s[8:9], v[38:39]
	s_wait_loadcnt 0x0
	v_mul_f64_e32 v[46:47], s[40:41], v[2:3]
	v_mul_f64_e32 v[2:3], s[38:39], v[2:3]
	s_delay_alu instid0(VALU_DEP_2) | instskip(NEXT) | instid1(VALU_DEP_2)
	v_fma_f64 v[38:39], s[38:39], v[0:1], -v[46:47]
	v_fmac_f64_e32 v[2:3], s[40:41], v[0:1]
	s_delay_alu instid0(VALU_DEP_2) | instskip(NEXT) | instid1(VALU_DEP_2)
	v_add_f64_e32 v[0:1], v[42:43], v[38:39]
	v_add_f64_e32 v[2:3], v[40:41], v[2:3]
	global_store_b128 v[58:59], v[0:3], off offset:512
	global_load_b128 v[0:3], v[34:35], off offset:768
	s_wait_xcnt 0x0
	v_mul_f64_e32 v[34:35], s[8:9], v[22:23]
	v_mul_f64_e32 v[22:23], s[6:7], v[22:23]
	s_delay_alu instid0(VALU_DEP_2) | instskip(NEXT) | instid1(VALU_DEP_2)
	v_fma_f64 v[34:35], s[6:7], v[20:21], -v[34:35]
	v_fmac_f64_e32 v[22:23], s[8:9], v[20:21]
	s_wait_loadcnt 0x0
	v_mul_f64_e32 v[38:39], s[40:41], v[2:3]
	v_mul_f64_e32 v[2:3], s[38:39], v[2:3]
	s_delay_alu instid0(VALU_DEP_2) | instskip(NEXT) | instid1(VALU_DEP_2)
	v_fma_f64 v[20:21], s[38:39], v[0:1], -v[38:39]
	v_fmac_f64_e32 v[2:3], s[40:41], v[0:1]
	s_delay_alu instid0(VALU_DEP_2) | instskip(NEXT) | instid1(VALU_DEP_2)
	v_add_f64_e32 v[0:1], v[34:35], v[20:21]
	v_add_f64_e32 v[2:3], v[22:23], v[2:3]
	v_add_nc_u64_e32 v[20:21], v[6:7], v[4:5]
	v_mul_f64_e32 v[22:23], s[8:9], v[80:81]
	v_mul_f64_e32 v[34:35], s[6:7], v[80:81]
	v_add_nc_u64_e32 v[6:7], s[18:19], v[6:7]
	global_store_b128 v[58:59], v[0:3], off offset:768
	global_load_b128 v[0:3], v[20:21], off
	v_fma_f64 v[22:23], s[6:7], v[78:79], -v[22:23]
	v_fmac_f64_e32 v[34:35], s[8:9], v[78:79]
	s_wait_loadcnt 0x0
	v_mul_f64_e32 v[38:39], s[40:41], v[2:3]
	v_mul_f64_e32 v[2:3], s[38:39], v[2:3]
	s_delay_alu instid0(VALU_DEP_2) | instskip(NEXT) | instid1(VALU_DEP_2)
	v_fma_f64 v[38:39], s[38:39], v[0:1], -v[38:39]
	v_fmac_f64_e32 v[2:3], s[40:41], v[0:1]
	s_delay_alu instid0(VALU_DEP_2) | instskip(NEXT) | instid1(VALU_DEP_2)
	v_add_f64_e32 v[0:1], v[22:23], v[38:39]
	v_add_f64_e32 v[2:3], v[34:35], v[2:3]
	v_add_nc_u64_e32 v[22:23], s[22:23], v[36:37]
	v_mul_f64_e32 v[36:37], s[8:9], v[74:75]
	v_mul_f64_e32 v[38:39], s[6:7], v[74:75]
	s_delay_alu instid0(VALU_DEP_3)
	v_add_nc_u64_e32 v[34:35], v[22:23], v[4:5]
	v_add_nc_u64_e32 v[22:23], s[22:23], v[22:23]
	global_store_b128 v[34:35], v[0:3], off
	global_load_b128 v[0:3], v[20:21], off offset:256
	v_fma_f64 v[36:37], s[6:7], v[70:71], -v[36:37]
	v_fmac_f64_e32 v[38:39], s[8:9], v[70:71]
	s_wait_loadcnt 0x0
	v_mul_f64_e32 v[40:41], s[40:41], v[2:3]
	v_mul_f64_e32 v[2:3], s[38:39], v[2:3]
	s_delay_alu instid0(VALU_DEP_2) | instskip(NEXT) | instid1(VALU_DEP_2)
	v_fma_f64 v[40:41], s[38:39], v[0:1], -v[40:41]
	v_fmac_f64_e32 v[2:3], s[40:41], v[0:1]
	s_delay_alu instid0(VALU_DEP_2) | instskip(NEXT) | instid1(VALU_DEP_2)
	v_add_f64_e32 v[0:1], v[36:37], v[40:41]
	v_add_f64_e32 v[2:3], v[38:39], v[2:3]
	v_mul_f64_e32 v[36:37], s[8:9], v[66:67]
	v_mul_f64_e32 v[38:39], s[6:7], v[66:67]
	global_store_b128 v[34:35], v[0:3], off offset:256
	global_load_b128 v[0:3], v[20:21], off offset:512
	v_fma_f64 v[36:37], s[6:7], v[62:63], -v[36:37]
	v_fmac_f64_e32 v[38:39], s[8:9], v[62:63]
	s_wait_loadcnt 0x0
	v_mul_f64_e32 v[40:41], s[40:41], v[2:3]
	v_mul_f64_e32 v[2:3], s[38:39], v[2:3]
	s_delay_alu instid0(VALU_DEP_2) | instskip(NEXT) | instid1(VALU_DEP_2)
	v_fma_f64 v[40:41], s[38:39], v[0:1], -v[40:41]
	v_fmac_f64_e32 v[2:3], s[40:41], v[0:1]
	s_delay_alu instid0(VALU_DEP_2) | instskip(NEXT) | instid1(VALU_DEP_2)
	v_add_f64_e32 v[0:1], v[36:37], v[40:41]
	v_add_f64_e32 v[2:3], v[38:39], v[2:3]
	v_mul_f64_e32 v[36:37], s[6:7], v[54:55]
	global_store_b128 v[34:35], v[0:3], off offset:512
	global_load_b128 v[0:3], v[20:21], off offset:768
	s_wait_xcnt 0x0
	v_mul_f64_e32 v[20:21], s[8:9], v[54:55]
	v_fmac_f64_e32 v[36:37], s[8:9], v[50:51]
	s_delay_alu instid0(VALU_DEP_2) | instskip(SKIP_3) | instid1(VALU_DEP_2)
	v_fma_f64 v[20:21], s[6:7], v[50:51], -v[20:21]
	s_wait_loadcnt 0x0
	v_mul_f64_e32 v[38:39], s[40:41], v[2:3]
	v_mul_f64_e32 v[2:3], s[38:39], v[2:3]
	v_fma_f64 v[38:39], s[38:39], v[0:1], -v[38:39]
	s_delay_alu instid0(VALU_DEP_2) | instskip(NEXT) | instid1(VALU_DEP_2)
	v_fmac_f64_e32 v[2:3], s[40:41], v[0:1]
	v_add_f64_e32 v[0:1], v[20:21], v[38:39]
	s_delay_alu instid0(VALU_DEP_2) | instskip(SKIP_3) | instid1(VALU_DEP_1)
	v_add_f64_e32 v[2:3], v[36:37], v[2:3]
	v_add_nc_u64_e32 v[20:21], v[6:7], v[4:5]
	v_mul_f64_e32 v[36:37], s[6:7], v[76:77]
	v_add_nc_u64_e32 v[6:7], s[18:19], v[6:7]
	v_add_nc_u64_e32 v[6:7], v[6:7], v[4:5]
	global_store_b128 v[34:35], v[0:3], off offset:768
	global_load_b128 v[0:3], v[20:21], off
	v_mul_f64_e32 v[34:35], s[8:9], v[76:77]
	v_fmac_f64_e32 v[36:37], s[8:9], v[72:73]
	s_delay_alu instid0(VALU_DEP_2) | instskip(SKIP_3) | instid1(VALU_DEP_2)
	v_fma_f64 v[34:35], s[6:7], v[72:73], -v[34:35]
	s_wait_loadcnt 0x0
	v_mul_f64_e32 v[38:39], s[40:41], v[2:3]
	v_mul_f64_e32 v[2:3], s[38:39], v[2:3]
	v_fma_f64 v[38:39], s[38:39], v[0:1], -v[38:39]
	s_delay_alu instid0(VALU_DEP_2) | instskip(NEXT) | instid1(VALU_DEP_2)
	v_fmac_f64_e32 v[2:3], s[40:41], v[0:1]
	v_add_f64_e32 v[0:1], v[34:35], v[38:39]
	s_delay_alu instid0(VALU_DEP_2)
	v_add_f64_e32 v[2:3], v[36:37], v[2:3]
	v_add_nc_u64_e32 v[34:35], v[22:23], v[4:5]
	v_mul_f64_e32 v[36:37], s[8:9], v[68:69]
	v_mul_f64_e32 v[38:39], s[6:7], v[68:69]
	global_store_b128 v[34:35], v[0:3], off
	global_load_b128 v[0:3], v[20:21], off offset:256
	v_fma_f64 v[36:37], s[6:7], v[64:65], -v[36:37]
	v_fmac_f64_e32 v[38:39], s[8:9], v[64:65]
	s_wait_loadcnt 0x0
	v_mul_f64_e32 v[40:41], s[40:41], v[2:3]
	v_mul_f64_e32 v[2:3], s[38:39], v[2:3]
	s_delay_alu instid0(VALU_DEP_2) | instskip(NEXT) | instid1(VALU_DEP_2)
	v_fma_f64 v[40:41], s[38:39], v[0:1], -v[40:41]
	v_fmac_f64_e32 v[2:3], s[40:41], v[0:1]
	s_delay_alu instid0(VALU_DEP_2) | instskip(NEXT) | instid1(VALU_DEP_2)
	v_add_f64_e32 v[0:1], v[36:37], v[40:41]
	v_add_f64_e32 v[2:3], v[38:39], v[2:3]
	v_mul_f64_e32 v[36:37], s[8:9], v[56:57]
	v_mul_f64_e32 v[38:39], s[6:7], v[56:57]
	global_store_b128 v[34:35], v[0:3], off offset:256
	global_load_b128 v[0:3], v[20:21], off offset:512
	v_fma_f64 v[36:37], s[6:7], v[52:53], -v[36:37]
	v_fmac_f64_e32 v[38:39], s[8:9], v[52:53]
	s_wait_loadcnt 0x0
	v_mul_f64_e32 v[40:41], s[40:41], v[2:3]
	v_mul_f64_e32 v[2:3], s[38:39], v[2:3]
	s_delay_alu instid0(VALU_DEP_2) | instskip(NEXT) | instid1(VALU_DEP_2)
	v_fma_f64 v[40:41], s[38:39], v[0:1], -v[40:41]
	v_fmac_f64_e32 v[2:3], s[40:41], v[0:1]
	s_delay_alu instid0(VALU_DEP_2) | instskip(NEXT) | instid1(VALU_DEP_2)
	v_add_f64_e32 v[0:1], v[36:37], v[40:41]
	v_add_f64_e32 v[2:3], v[38:39], v[2:3]
	v_mul_f64_e32 v[36:37], s[6:7], v[48:49]
	global_store_b128 v[34:35], v[0:3], off offset:512
	global_load_b128 v[0:3], v[20:21], off offset:768
	s_wait_xcnt 0x0
	v_mul_f64_e32 v[20:21], s[8:9], v[48:49]
	v_fmac_f64_e32 v[36:37], s[8:9], v[44:45]
	s_delay_alu instid0(VALU_DEP_2) | instskip(SKIP_3) | instid1(VALU_DEP_2)
	v_fma_f64 v[20:21], s[6:7], v[44:45], -v[20:21]
	s_wait_loadcnt 0x0
	v_mul_f64_e32 v[38:39], s[40:41], v[2:3]
	v_mul_f64_e32 v[2:3], s[38:39], v[2:3]
	v_fma_f64 v[38:39], s[38:39], v[0:1], -v[38:39]
	s_delay_alu instid0(VALU_DEP_2) | instskip(NEXT) | instid1(VALU_DEP_2)
	v_fmac_f64_e32 v[2:3], s[40:41], v[0:1]
	v_add_f64_e32 v[0:1], v[20:21], v[38:39]
	s_delay_alu instid0(VALU_DEP_2)
	v_add_f64_e32 v[2:3], v[36:37], v[2:3]
	v_mul_f64_e32 v[20:21], s[8:9], v[18:19]
	v_mul_f64_e32 v[18:19], s[6:7], v[18:19]
	global_store_b128 v[34:35], v[0:3], off offset:768
	global_load_b128 v[0:3], v[6:7], off
	v_fma_f64 v[20:21], s[6:7], v[16:17], -v[20:21]
	v_fmac_f64_e32 v[18:19], s[8:9], v[16:17]
	s_wait_loadcnt 0x0
	v_mul_f64_e32 v[34:35], s[40:41], v[2:3]
	v_mul_f64_e32 v[2:3], s[38:39], v[2:3]
	s_delay_alu instid0(VALU_DEP_2) | instskip(NEXT) | instid1(VALU_DEP_2)
	v_fma_f64 v[16:17], s[38:39], v[0:1], -v[34:35]
	v_fmac_f64_e32 v[2:3], s[40:41], v[0:1]
	s_delay_alu instid0(VALU_DEP_2) | instskip(NEXT) | instid1(VALU_DEP_2)
	v_add_f64_e32 v[0:1], v[20:21], v[16:17]
	v_add_f64_e32 v[2:3], v[18:19], v[2:3]
	v_add_nc_u64_e32 v[16:17], s[22:23], v[22:23]
	s_delay_alu instid0(VALU_DEP_1)
	v_add_nc_u64_e32 v[4:5], v[16:17], v[4:5]
	v_mul_f64_e32 v[16:17], s[8:9], v[14:15]
	v_mul_f64_e32 v[14:15], s[6:7], v[14:15]
	global_store_b128 v[4:5], v[0:3], off
	global_load_b128 v[0:3], v[6:7], off offset:256
	v_fma_f64 v[16:17], s[6:7], v[12:13], -v[16:17]
	v_fmac_f64_e32 v[14:15], s[8:9], v[12:13]
	s_wait_loadcnt 0x0
	v_mul_f64_e32 v[18:19], s[40:41], v[2:3]
	v_mul_f64_e32 v[2:3], s[38:39], v[2:3]
	s_delay_alu instid0(VALU_DEP_2) | instskip(NEXT) | instid1(VALU_DEP_2)
	v_fma_f64 v[12:13], s[38:39], v[0:1], -v[18:19]
	v_fmac_f64_e32 v[2:3], s[40:41], v[0:1]
	s_delay_alu instid0(VALU_DEP_2) | instskip(NEXT) | instid1(VALU_DEP_2)
	v_add_f64_e32 v[0:1], v[16:17], v[12:13]
	v_add_f64_e32 v[2:3], v[14:15], v[2:3]
	v_mul_f64_e32 v[12:13], s[8:9], v[10:11]
	v_mul_f64_e32 v[10:11], s[6:7], v[10:11]
	global_store_b128 v[4:5], v[0:3], off offset:256
	global_load_b128 v[0:3], v[6:7], off offset:512
	v_fma_f64 v[12:13], s[6:7], v[8:9], -v[12:13]
	v_fmac_f64_e32 v[10:11], s[8:9], v[8:9]
	s_wait_loadcnt 0x0
	v_mul_f64_e32 v[14:15], s[40:41], v[2:3]
	v_mul_f64_e32 v[2:3], s[38:39], v[2:3]
	s_delay_alu instid0(VALU_DEP_2) | instskip(NEXT) | instid1(VALU_DEP_2)
	v_fma_f64 v[8:9], s[38:39], v[0:1], -v[14:15]
	v_fmac_f64_e32 v[2:3], s[40:41], v[0:1]
	s_delay_alu instid0(VALU_DEP_2) | instskip(NEXT) | instid1(VALU_DEP_2)
	v_add_f64_e32 v[0:1], v[12:13], v[8:9]
	v_add_f64_e32 v[2:3], v[10:11], v[2:3]
	v_mul_f64_e32 v[8:9], s[6:7], v[84:85]
	global_store_b128 v[4:5], v[0:3], off offset:512
	global_load_b128 v[0:3], v[6:7], off offset:768
	s_wait_xcnt 0x0
	v_mul_f64_e32 v[6:7], s[8:9], v[84:85]
	v_fmac_f64_e32 v[8:9], s[8:9], v[82:83]
	s_delay_alu instid0(VALU_DEP_2) | instskip(SKIP_3) | instid1(VALU_DEP_2)
	v_fma_f64 v[6:7], s[6:7], v[82:83], -v[6:7]
	s_wait_loadcnt 0x0
	v_mul_f64_e32 v[10:11], s[40:41], v[2:3]
	v_mul_f64_e32 v[2:3], s[38:39], v[2:3]
	v_fma_f64 v[10:11], s[38:39], v[0:1], -v[10:11]
	s_delay_alu instid0(VALU_DEP_2) | instskip(NEXT) | instid1(VALU_DEP_2)
	v_fmac_f64_e32 v[2:3], s[40:41], v[0:1]
	v_add_f64_e32 v[6:7], v[6:7], v[10:11]
	s_delay_alu instid0(VALU_DEP_2)
	v_add_f64_e32 v[0:1], v[8:9], v[2:3]
	v_add_nc_u64_e32 v[2:3], 0x300, v[4:5]
	global_store_b64 v[4:5], v[6:7], off offset:768
	s_branch .LBB536_2
.LBB536_11:
	s_sendmsg sendmsg(MSG_DEALLOC_VGPRS)
	s_endpgm
	.section	.rodata,"a",@progbits
	.p2align	6, 0x0
	.amdhsa_kernel _ZN12_GLOBAL__N_127rocblas_gemm_batched_kernelI19rocblas_complex_numIdELi16ELi16ELi64ELi64ELi4ELi64ELi4ELi4ELi64ELc78ELc67EKS2_S3_S2_EEvlllT_PT11_llS6_llS4_PT12_llPT13_lli
		.amdhsa_group_segment_fixed_size 8192
		.amdhsa_private_segment_fixed_size 0
		.amdhsa_kernarg_size 156
		.amdhsa_user_sgpr_count 2
		.amdhsa_user_sgpr_dispatch_ptr 0
		.amdhsa_user_sgpr_queue_ptr 0
		.amdhsa_user_sgpr_kernarg_segment_ptr 1
		.amdhsa_user_sgpr_dispatch_id 0
		.amdhsa_user_sgpr_kernarg_preload_length 0
		.amdhsa_user_sgpr_kernarg_preload_offset 0
		.amdhsa_user_sgpr_private_segment_size 0
		.amdhsa_wavefront_size32 1
		.amdhsa_uses_dynamic_stack 0
		.amdhsa_enable_private_segment 0
		.amdhsa_system_sgpr_workgroup_id_x 1
		.amdhsa_system_sgpr_workgroup_id_y 1
		.amdhsa_system_sgpr_workgroup_id_z 1
		.amdhsa_system_sgpr_workgroup_info 0
		.amdhsa_system_vgpr_workitem_id 1
		.amdhsa_next_free_vgpr 144
		.amdhsa_next_free_sgpr 52
		.amdhsa_named_barrier_count 0
		.amdhsa_reserve_vcc 1
		.amdhsa_float_round_mode_32 0
		.amdhsa_float_round_mode_16_64 0
		.amdhsa_float_denorm_mode_32 3
		.amdhsa_float_denorm_mode_16_64 3
		.amdhsa_fp16_overflow 0
		.amdhsa_memory_ordered 1
		.amdhsa_forward_progress 1
		.amdhsa_inst_pref_size 45
		.amdhsa_round_robin_scheduling 0
		.amdhsa_exception_fp_ieee_invalid_op 0
		.amdhsa_exception_fp_denorm_src 0
		.amdhsa_exception_fp_ieee_div_zero 0
		.amdhsa_exception_fp_ieee_overflow 0
		.amdhsa_exception_fp_ieee_underflow 0
		.amdhsa_exception_fp_ieee_inexact 0
		.amdhsa_exception_int_div_zero 0
	.end_amdhsa_kernel
	.section	.text._ZN12_GLOBAL__N_127rocblas_gemm_batched_kernelI19rocblas_complex_numIdELi16ELi16ELi64ELi64ELi4ELi64ELi4ELi4ELi64ELc78ELc67EKS2_S3_S2_EEvlllT_PT11_llS6_llS4_PT12_llPT13_lli,"axG",@progbits,_ZN12_GLOBAL__N_127rocblas_gemm_batched_kernelI19rocblas_complex_numIdELi16ELi16ELi64ELi64ELi4ELi64ELi4ELi4ELi64ELc78ELc67EKS2_S3_S2_EEvlllT_PT11_llS6_llS4_PT12_llPT13_lli,comdat
.Lfunc_end536:
	.size	_ZN12_GLOBAL__N_127rocblas_gemm_batched_kernelI19rocblas_complex_numIdELi16ELi16ELi64ELi64ELi4ELi64ELi4ELi4ELi64ELc78ELc67EKS2_S3_S2_EEvlllT_PT11_llS6_llS4_PT12_llPT13_lli, .Lfunc_end536-_ZN12_GLOBAL__N_127rocblas_gemm_batched_kernelI19rocblas_complex_numIdELi16ELi16ELi64ELi64ELi4ELi64ELi4ELi4ELi64ELc78ELc67EKS2_S3_S2_EEvlllT_PT11_llS6_llS4_PT12_llPT13_lli
                                        ; -- End function
	.set _ZN12_GLOBAL__N_127rocblas_gemm_batched_kernelI19rocblas_complex_numIdELi16ELi16ELi64ELi64ELi4ELi64ELi4ELi4ELi64ELc78ELc67EKS2_S3_S2_EEvlllT_PT11_llS6_llS4_PT12_llPT13_lli.num_vgpr, 144
	.set _ZN12_GLOBAL__N_127rocblas_gemm_batched_kernelI19rocblas_complex_numIdELi16ELi16ELi64ELi64ELi4ELi64ELi4ELi4ELi64ELc78ELc67EKS2_S3_S2_EEvlllT_PT11_llS6_llS4_PT12_llPT13_lli.num_agpr, 0
	.set _ZN12_GLOBAL__N_127rocblas_gemm_batched_kernelI19rocblas_complex_numIdELi16ELi16ELi64ELi64ELi4ELi64ELi4ELi4ELi64ELc78ELc67EKS2_S3_S2_EEvlllT_PT11_llS6_llS4_PT12_llPT13_lli.numbered_sgpr, 52
	.set _ZN12_GLOBAL__N_127rocblas_gemm_batched_kernelI19rocblas_complex_numIdELi16ELi16ELi64ELi64ELi4ELi64ELi4ELi4ELi64ELc78ELc67EKS2_S3_S2_EEvlllT_PT11_llS6_llS4_PT12_llPT13_lli.num_named_barrier, 0
	.set _ZN12_GLOBAL__N_127rocblas_gemm_batched_kernelI19rocblas_complex_numIdELi16ELi16ELi64ELi64ELi4ELi64ELi4ELi4ELi64ELc78ELc67EKS2_S3_S2_EEvlllT_PT11_llS6_llS4_PT12_llPT13_lli.private_seg_size, 0
	.set _ZN12_GLOBAL__N_127rocblas_gemm_batched_kernelI19rocblas_complex_numIdELi16ELi16ELi64ELi64ELi4ELi64ELi4ELi4ELi64ELc78ELc67EKS2_S3_S2_EEvlllT_PT11_llS6_llS4_PT12_llPT13_lli.uses_vcc, 1
	.set _ZN12_GLOBAL__N_127rocblas_gemm_batched_kernelI19rocblas_complex_numIdELi16ELi16ELi64ELi64ELi4ELi64ELi4ELi4ELi64ELc78ELc67EKS2_S3_S2_EEvlllT_PT11_llS6_llS4_PT12_llPT13_lli.uses_flat_scratch, 0
	.set _ZN12_GLOBAL__N_127rocblas_gemm_batched_kernelI19rocblas_complex_numIdELi16ELi16ELi64ELi64ELi4ELi64ELi4ELi4ELi64ELc78ELc67EKS2_S3_S2_EEvlllT_PT11_llS6_llS4_PT12_llPT13_lli.has_dyn_sized_stack, 0
	.set _ZN12_GLOBAL__N_127rocblas_gemm_batched_kernelI19rocblas_complex_numIdELi16ELi16ELi64ELi64ELi4ELi64ELi4ELi4ELi64ELc78ELc67EKS2_S3_S2_EEvlllT_PT11_llS6_llS4_PT12_llPT13_lli.has_recursion, 0
	.set _ZN12_GLOBAL__N_127rocblas_gemm_batched_kernelI19rocblas_complex_numIdELi16ELi16ELi64ELi64ELi4ELi64ELi4ELi4ELi64ELc78ELc67EKS2_S3_S2_EEvlllT_PT11_llS6_llS4_PT12_llPT13_lli.has_indirect_call, 0
	.section	.AMDGPU.csdata,"",@progbits
; Kernel info:
; codeLenInByte = 5648
; TotalNumSgprs: 54
; NumVgprs: 144
; ScratchSize: 0
; MemoryBound: 0
; FloatMode: 240
; IeeeMode: 1
; LDSByteSize: 8192 bytes/workgroup (compile time only)
; SGPRBlocks: 0
; VGPRBlocks: 8
; NumSGPRsForWavesPerEU: 54
; NumVGPRsForWavesPerEU: 144
; NamedBarCnt: 0
; Occupancy: 7
; WaveLimiterHint : 1
; COMPUTE_PGM_RSRC2:SCRATCH_EN: 0
; COMPUTE_PGM_RSRC2:USER_SGPR: 2
; COMPUTE_PGM_RSRC2:TRAP_HANDLER: 0
; COMPUTE_PGM_RSRC2:TGID_X_EN: 1
; COMPUTE_PGM_RSRC2:TGID_Y_EN: 1
; COMPUTE_PGM_RSRC2:TGID_Z_EN: 1
; COMPUTE_PGM_RSRC2:TIDIG_COMP_CNT: 1
	.section	.text._ZN12_GLOBAL__N_127rocblas_gemm_batched_kernelI19rocblas_complex_numIdELi16ELi16ELi64ELi64ELi4ELi64ELi4ELi4ELi64ELc84ELc67EKS2_S3_S2_EEvlllT_PT11_llS6_llS4_PT12_llPT13_lli,"axG",@progbits,_ZN12_GLOBAL__N_127rocblas_gemm_batched_kernelI19rocblas_complex_numIdELi16ELi16ELi64ELi64ELi4ELi64ELi4ELi4ELi64ELc84ELc67EKS2_S3_S2_EEvlllT_PT11_llS6_llS4_PT12_llPT13_lli,comdat
	.globl	_ZN12_GLOBAL__N_127rocblas_gemm_batched_kernelI19rocblas_complex_numIdELi16ELi16ELi64ELi64ELi4ELi64ELi4ELi4ELi64ELc84ELc67EKS2_S3_S2_EEvlllT_PT11_llS6_llS4_PT12_llPT13_lli ; -- Begin function _ZN12_GLOBAL__N_127rocblas_gemm_batched_kernelI19rocblas_complex_numIdELi16ELi16ELi64ELi64ELi4ELi64ELi4ELi4ELi64ELc84ELc67EKS2_S3_S2_EEvlllT_PT11_llS6_llS4_PT12_llPT13_lli
	.p2align	8
	.type	_ZN12_GLOBAL__N_127rocblas_gemm_batched_kernelI19rocblas_complex_numIdELi16ELi16ELi64ELi64ELi4ELi64ELi4ELi4ELi64ELc84ELc67EKS2_S3_S2_EEvlllT_PT11_llS6_llS4_PT12_llPT13_lli,@function
_ZN12_GLOBAL__N_127rocblas_gemm_batched_kernelI19rocblas_complex_numIdELi16ELi16ELi64ELi64ELi4ELi64ELi4ELi4ELi64ELc84ELc67EKS2_S3_S2_EEvlllT_PT11_llS6_llS4_PT12_llPT13_lli: ; @_ZN12_GLOBAL__N_127rocblas_gemm_batched_kernelI19rocblas_complex_numIdELi16ELi16ELi64ELi64ELi4ELi64ELi4ELi4ELi64ELc84ELc67EKS2_S3_S2_EEvlllT_PT11_llS6_llS4_PT12_llPT13_lli
; %bb.0:
	s_load_b32 s24, s[0:1], 0x98
	s_bfe_u32 s2, ttmp6, 0x40014
	s_lshr_b32 s3, ttmp7, 16
	s_add_co_i32 s2, s2, 1
	s_bfe_u32 s4, ttmp6, 0x40008
	s_mul_i32 s2, s3, s2
	s_getreg_b32 s20, hwreg(HW_REG_IB_STS2, 6, 4)
	s_add_co_i32 s4, s4, s2
	s_cmp_eq_u32 s20, 0
	s_cselect_b32 s2, s3, s4
	s_mov_b32 s3, 0
	s_wait_kmcnt 0x0
	s_cmp_ge_i32 s2, s24
	s_cbranch_scc1 .LBB537_11
; %bb.1:
	v_bfe_u32 v2, v0, 10, 10
	v_and_b32_e32 v4, 0x3ff, v0
	s_bfe_u32 s21, ttmp6, 0x4000c
	s_bfe_u32 s23, ttmp6, 0x40010
	s_clause 0x1
	s_load_b512 s[4:19], s[0:1], 0x10
	s_load_b512 s[36:51], s[0:1], 0x50
	s_add_co_i32 s21, s21, 1
	s_and_b32 s25, ttmp7, 0xffff
	s_add_co_i32 s23, s23, 1
	s_and_b32 s22, ttmp6, 15
	s_mul_i32 s21, ttmp9, s21
	s_mul_i32 s23, s25, s23
	s_bfe_u32 s26, ttmp6, 0x40004
	v_lshl_add_u32 v16, v2, 4, v4
	s_add_co_i32 s22, s22, s21
	s_add_co_i32 s26, s26, s23
	s_cmp_eq_u32 s20, 0
	s_delay_alu instid0(VALU_DEP_1)
	v_dual_mov_b32 v3, 0 :: v_dual_bitop2_b32 v17, 63, v16 bitop3:0x40
	s_cselect_b32 s20, ttmp9, s22
	s_cselect_b32 s22, s25, s26
	s_ashr_i32 s21, s20, 31
	s_lshl_b32 s22, s22, 6
	s_lshl_b64 s[20:21], s[20:21], 6
	s_mov_b32 s23, s3
	v_dual_mov_b32 v9, s21 :: v_dual_bitop2_b32 v8, s20, v17 bitop3:0x54
	v_dual_mov_b32 v11, v3 :: v_dual_lshrrev_b32 v10, 2, v16
	v_add_nc_u64_e32 v[6:7], s[22:23], v[2:3]
	s_wait_kmcnt 0x0
	v_cmp_eq_f64_e64 s25, s[38:39], 0
	v_mul_u64_e32 v[8:9], s[12:13], v[8:9]
	v_cmp_eq_f64_e64 s26, s[40:41], 0
	v_add_nc_u64_e32 v[14:15], s[22:23], v[10:11]
	v_dual_mov_b32 v5, v3 :: v_dual_bitop2_b32 v11, 3, v0 bitop3:0x40
	v_mul_u64_e32 v[12:13], s[44:45], v[6:7]
	v_mul_u64_e32 v[24:25], s[50:51], v[6:7]
	v_lshrrev_b32_e32 v7, 6, v16
	s_load_b64 s[12:13], s[0:1], 0x90
	v_mad_nc_u64_u32 v[0:1], s18, v11, v[14:15]
	v_lshlrev_b32_e32 v14, 4, v17
	v_lshl_add_u32 v99, v2, 6, 0x1000
	v_lshlrev_b32_e32 v2, 4, v7
	s_wait_xcnt 0x0
	v_cmp_gt_i64_e64 s0, s[4:5], 0
	v_dual_lshlrev_b32 v6, 4, v11 :: v_dual_lshlrev_b32 v98, 4, v4
	v_add_nc_u64_e32 v[26:27], s[20:21], v[4:5]
	v_lshl_or_b32 v100, v7, 10, v14
	s_lshl_b64 s[20:21], s[50:51], 4
	s_delay_alu instid0(VALU_DEP_3)
	v_lshl_or_b32 v6, v10, 6, v6
	v_mad_u32 v1, s19, v11, v1
	v_cndmask_b32_e64 v4, 0, 1, s0
	s_lshl_b64 s[22:23], s[44:45], 4
	s_lshl_b64 s[20:21], s[20:21], 4
	v_add_nc_u32_e32 v101, 0x1000, v6
	s_delay_alu instid0(VALU_DEP_2) | instskip(NEXT) | instid1(VALU_DEP_4)
	v_cmp_ne_u32_e64 s0, 1, v4
	v_lshl_add_u64 v[0:1], v[0:1], 4, s[16:17]
	v_lshl_add_u64 v[2:3], v[8:9], 4, v[2:3]
	s_and_b32 s1, s25, s26
	s_lshl_b64 s[16:17], s[18:19], 6
	s_lshl_b64 s[18:19], s[22:23], 4
	v_add_nc_u64_e32 v[32:33], 8, v[0:1]
	v_add_nc_u64_e32 v[30:31], s[10:11], v[2:3]
	v_lshl_add_u64 v[28:29], v[12:13], 4, s[42:43]
	s_lshl_b64 s[10:11], s[14:15], 4
	s_lshl_b64 s[14:15], s[36:37], 4
	s_branch .LBB537_3
.LBB537_2:                              ;   in Loop: Header=BB537_3 Depth=1
	s_add_co_i32 s2, s2, 0x10000
	global_store_b64 v[2:3], v[0:1], off offset:8
	s_cmp_lt_i32 s2, s24
	s_cbranch_scc0 .LBB537_11
.LBB537_3:                              ; =>This Loop Header: Depth=1
                                        ;     Child Loop BB537_5 Depth 2
	s_and_b32 vcc_lo, exec_lo, s0
	s_cbranch_vccnz .LBB537_6
; %bb.4:                                ;   in Loop: Header=BB537_3 Depth=1
	s_wait_xcnt 0x7
	v_mad_nc_u64_u32 v[34:35], s10, s2, v[30:31]
	v_mad_nc_u64_u32 v[36:37], s14, s2, v[32:33]
	v_mov_b64_e32 v[84:85], 0
	v_mov_b64_e32 v[82:83], 0
	;; [unrolled: 1-line block ×9, first 2 shown]
	v_mad_u32 v35, s11, s2, v35
	v_mad_u32 v37, s15, s2, v37
	v_mov_b64_e32 v[44:45], 0
	v_mov_b64_e32 v[56:57], 0
	;; [unrolled: 1-line block ×23, first 2 shown]
	s_mov_b64 s[22:23], 0
.LBB537_5:                              ;   Parent Loop BB537_3 Depth=1
                                        ; =>  This Inner Loop Header: Depth=2
	global_load_b128 v[0:3], v[34:35], off
	s_add_nc_u64 s[22:23], s[22:23], 4
	s_wait_xcnt 0x0
	v_add_nc_u64_e32 v[34:35], 64, v[34:35]
	v_cmp_lt_i64_e64 s25, s[22:23], s[4:5]
	s_and_b32 vcc_lo, exec_lo, s25
	s_wait_loadcnt 0x0
	ds_store_2addr_b64 v100, v[0:1], v[2:3] offset1:1
	global_load_b128 v[0:3], v[36:37], off offset:-8
	s_wait_xcnt 0x0
	v_add_nc_u64_e32 v[36:37], s[16:17], v[36:37]
	s_wait_loadcnt 0x0
	v_xor_b32_e32 v3, 0x80000000, v3
	ds_store_b128 v101, v[0:3]
	s_wait_dscnt 0x0
	s_barrier_signal -1
	s_barrier_wait -1
	ds_load_b128 v[86:89], v99
	ds_load_b128 v[90:93], v99 offset:16
	ds_load_b128 v[4:7], v99 offset:32
	;; [unrolled: 1-line block ×3, first 2 shown]
	ds_load_b128 v[94:97], v98
	s_wait_dscnt 0x0
	v_mul_f64_e32 v[102:103], v[88:89], v[96:97]
	v_mul_f64_e32 v[104:105], v[86:87], v[96:97]
	s_delay_alu instid0(VALU_DEP_2) | instskip(NEXT) | instid1(VALU_DEP_2)
	v_fma_f64 v[102:103], v[86:87], v[94:95], -v[102:103]
	v_fmac_f64_e32 v[104:105], v[88:89], v[94:95]
	s_delay_alu instid0(VALU_DEP_2) | instskip(NEXT) | instid1(VALU_DEP_2)
	v_add_f64_e32 v[106:107], v[58:59], v[102:103]
	v_add_f64_e32 v[108:109], v[104:105], v[60:61]
	ds_load_b128 v[58:61], v98 offset:256
	s_wait_dscnt 0x0
	v_mul_f64_e32 v[102:103], v[88:89], v[60:61]
	v_mul_f64_e32 v[104:105], v[86:87], v[60:61]
	s_delay_alu instid0(VALU_DEP_2) | instskip(NEXT) | instid1(VALU_DEP_2)
	v_fma_f64 v[102:103], v[86:87], v[58:59], -v[102:103]
	v_fmac_f64_e32 v[104:105], v[88:89], v[58:59]
	s_delay_alu instid0(VALU_DEP_2) | instskip(NEXT) | instid1(VALU_DEP_2)
	v_add_f64_e32 v[42:43], v[42:43], v[102:103]
	v_add_f64_e32 v[110:111], v[104:105], v[46:47]
	ds_load_b128 v[102:105], v98 offset:512
	;; [unrolled: 10-line block ×3, first 2 shown]
	s_wait_dscnt 0x0
	v_mul_f64_e32 v[46:47], v[88:89], v[40:41]
	s_delay_alu instid0(VALU_DEP_1) | instskip(SKIP_1) | instid1(VALU_DEP_1)
	v_fma_f64 v[46:47], v[86:87], v[38:39], -v[46:47]
	v_mul_f64_e32 v[86:87], v[86:87], v[40:41]
	v_fmac_f64_e32 v[86:87], v[88:89], v[38:39]
	s_delay_alu instid0(VALU_DEP_3) | instskip(NEXT) | instid1(VALU_DEP_2)
	v_add_f64_e32 v[88:89], v[20:21], v[46:47]
	v_add_f64_e32 v[86:87], v[86:87], v[22:23]
	ds_load_b128 v[20:23], v99 offset:1024
	s_wait_dscnt 0x0
	v_mul_f64_e32 v[46:47], v[22:23], v[96:97]
	v_mul_f64_e32 v[116:117], v[20:21], v[96:97]
	s_delay_alu instid0(VALU_DEP_2) | instskip(NEXT) | instid1(VALU_DEP_2)
	v_fma_f64 v[46:47], v[20:21], v[94:95], -v[46:47]
	v_fmac_f64_e32 v[116:117], v[22:23], v[94:95]
	s_delay_alu instid0(VALU_DEP_2) | instskip(SKIP_1) | instid1(VALU_DEP_3)
	v_add_f64_e32 v[78:79], v[78:79], v[46:47]
	v_mul_f64_e32 v[46:47], v[22:23], v[60:61]
	v_add_f64_e32 v[80:81], v[116:117], v[80:81]
	v_mul_f64_e32 v[116:117], v[20:21], v[60:61]
	s_delay_alu instid0(VALU_DEP_3) | instskip(NEXT) | instid1(VALU_DEP_2)
	v_fma_f64 v[46:47], v[20:21], v[58:59], -v[46:47]
	v_fmac_f64_e32 v[116:117], v[22:23], v[58:59]
	s_delay_alu instid0(VALU_DEP_2) | instskip(SKIP_2) | instid1(VALU_DEP_4)
	v_add_f64_e32 v[118:119], v[70:71], v[46:47]
	v_mul_f64_e32 v[46:47], v[22:23], v[104:105]
	v_mul_f64_e32 v[70:71], v[20:21], v[104:105]
	v_add_f64_e32 v[116:117], v[116:117], v[74:75]
	s_delay_alu instid0(VALU_DEP_3) | instskip(NEXT) | instid1(VALU_DEP_3)
	v_fma_f64 v[46:47], v[20:21], v[102:103], -v[46:47]
	v_fmac_f64_e32 v[70:71], v[22:23], v[102:103]
	s_delay_alu instid0(VALU_DEP_2) | instskip(SKIP_1) | instid1(VALU_DEP_3)
	v_add_f64_e32 v[120:121], v[62:63], v[46:47]
	v_mul_f64_e32 v[46:47], v[22:23], v[40:41]
	v_add_f64_e32 v[122:123], v[70:71], v[66:67]
	s_delay_alu instid0(VALU_DEP_2) | instskip(SKIP_1) | instid1(VALU_DEP_2)
	v_fma_f64 v[46:47], v[20:21], v[38:39], -v[46:47]
	v_mul_f64_e32 v[20:21], v[20:21], v[40:41]
	v_add_f64_e32 v[124:125], v[50:51], v[46:47]
	s_delay_alu instid0(VALU_DEP_2) | instskip(NEXT) | instid1(VALU_DEP_1)
	v_fmac_f64_e32 v[20:21], v[22:23], v[38:39]
	v_add_f64_e32 v[126:127], v[20:21], v[54:55]
	ds_load_b128 v[20:23], v99 offset:2048
	s_wait_dscnt 0x0
	v_mul_f64_e32 v[46:47], v[22:23], v[96:97]
	v_mul_f64_e32 v[50:51], v[20:21], v[96:97]
	s_delay_alu instid0(VALU_DEP_2) | instskip(NEXT) | instid1(VALU_DEP_2)
	v_fma_f64 v[46:47], v[20:21], v[94:95], -v[46:47]
	v_fmac_f64_e32 v[50:51], v[22:23], v[94:95]
	s_delay_alu instid0(VALU_DEP_2) | instskip(SKIP_1) | instid1(VALU_DEP_3)
	v_add_f64_e32 v[128:129], v[72:73], v[46:47]
	v_mul_f64_e32 v[46:47], v[22:23], v[60:61]
	v_add_f64_e32 v[130:131], v[50:51], v[76:77]
	v_mul_f64_e32 v[50:51], v[20:21], v[60:61]
	s_delay_alu instid0(VALU_DEP_3) | instskip(NEXT) | instid1(VALU_DEP_2)
	v_fma_f64 v[46:47], v[20:21], v[58:59], -v[46:47]
	v_fmac_f64_e32 v[50:51], v[22:23], v[58:59]
	s_delay_alu instid0(VALU_DEP_2) | instskip(SKIP_1) | instid1(VALU_DEP_3)
	v_add_f64_e32 v[132:133], v[64:65], v[46:47]
	v_mul_f64_e32 v[46:47], v[22:23], v[104:105]
	v_add_f64_e32 v[134:135], v[50:51], v[68:69]
	v_mul_f64_e32 v[50:51], v[20:21], v[104:105]
	s_delay_alu instid0(VALU_DEP_3) | instskip(NEXT) | instid1(VALU_DEP_2)
	v_fma_f64 v[46:47], v[20:21], v[102:103], -v[46:47]
	v_fmac_f64_e32 v[50:51], v[22:23], v[102:103]
	s_delay_alu instid0(VALU_DEP_2) | instskip(SKIP_1) | instid1(VALU_DEP_3)
	v_add_f64_e32 v[136:137], v[52:53], v[46:47]
	v_mul_f64_e32 v[46:47], v[22:23], v[40:41]
	v_add_f64_e32 v[138:139], v[50:51], v[56:57]
	s_delay_alu instid0(VALU_DEP_2) | instskip(SKIP_1) | instid1(VALU_DEP_2)
	v_fma_f64 v[46:47], v[20:21], v[38:39], -v[46:47]
	v_mul_f64_e32 v[20:21], v[20:21], v[40:41]
	v_add_f64_e32 v[140:141], v[44:45], v[46:47]
	s_delay_alu instid0(VALU_DEP_2) | instskip(NEXT) | instid1(VALU_DEP_1)
	v_fmac_f64_e32 v[20:21], v[22:23], v[38:39]
	v_add_f64_e32 v[142:143], v[20:21], v[48:49]
	ds_load_b128 v[20:23], v99 offset:3072
	s_wait_dscnt 0x0
	v_mul_f64_e32 v[44:45], v[22:23], v[96:97]
	v_mul_f64_e32 v[46:47], v[20:21], v[96:97]
	s_delay_alu instid0(VALU_DEP_2) | instskip(NEXT) | instid1(VALU_DEP_2)
	v_fma_f64 v[44:45], v[20:21], v[94:95], -v[44:45]
	v_fmac_f64_e32 v[46:47], v[22:23], v[94:95]
	s_delay_alu instid0(VALU_DEP_2) | instskip(NEXT) | instid1(VALU_DEP_2)
	v_add_f64_e32 v[66:67], v[16:17], v[44:45]
	v_add_f64_e32 v[68:69], v[46:47], v[18:19]
	v_mul_f64_e32 v[16:17], v[22:23], v[60:61]
	v_mul_f64_e32 v[18:19], v[20:21], v[60:61]
	s_delay_alu instid0(VALU_DEP_2) | instskip(NEXT) | instid1(VALU_DEP_2)
	v_fma_f64 v[16:17], v[20:21], v[58:59], -v[16:17]
	v_fmac_f64_e32 v[18:19], v[22:23], v[58:59]
	s_delay_alu instid0(VALU_DEP_2) | instskip(NEXT) | instid1(VALU_DEP_2)
	v_add_f64_e32 v[62:63], v[12:13], v[16:17]
	v_add_f64_e32 v[64:65], v[18:19], v[14:15]
	v_mul_f64_e32 v[12:13], v[22:23], v[104:105]
	v_mul_f64_e32 v[14:15], v[20:21], v[104:105]
	ds_load_b128 v[16:19], v98 offset:1280
	v_fma_f64 v[12:13], v[20:21], v[102:103], -v[12:13]
	v_fmac_f64_e32 v[14:15], v[22:23], v[102:103]
	s_delay_alu instid0(VALU_DEP_2) | instskip(NEXT) | instid1(VALU_DEP_2)
	v_add_f64_e32 v[58:59], v[8:9], v[12:13]
	v_add_f64_e32 v[60:61], v[14:15], v[10:11]
	v_mul_f64_e32 v[8:9], v[22:23], v[40:41]
	v_mul_f64_e32 v[10:11], v[20:21], v[40:41]
	ds_load_b128 v[12:15], v98 offset:1536
	v_fma_f64 v[8:9], v[20:21], v[38:39], -v[8:9]
	v_fmac_f64_e32 v[10:11], v[22:23], v[38:39]
	ds_load_b128 v[20:23], v98 offset:1024
	v_add_f64_e32 v[54:55], v[82:83], v[8:9]
	v_add_f64_e32 v[56:57], v[10:11], v[84:85]
	s_wait_dscnt 0x0
	v_mul_f64_e32 v[8:9], v[92:93], v[22:23]
	v_mul_f64_e32 v[10:11], v[90:91], v[22:23]
	ds_load_b128 v[82:85], v99 offset:1040
	s_wait_dscnt 0x0
	v_mul_f64_e32 v[70:71], v[84:85], v[22:23]
	v_mul_f64_e32 v[72:73], v[82:83], v[22:23]
	;; [unrolled: 1-line block ×4, first 2 shown]
	v_fma_f64 v[8:9], v[90:91], v[20:21], -v[8:9]
	v_fmac_f64_e32 v[10:11], v[92:93], v[20:21]
	v_fma_f64 v[70:71], v[82:83], v[20:21], -v[70:71]
	v_fmac_f64_e32 v[72:73], v[84:85], v[20:21]
	;; [unrolled: 2-line block ×3, first 2 shown]
	v_add_f64_e32 v[50:51], v[106:107], v[8:9]
	v_add_f64_e32 v[52:53], v[10:11], v[108:109]
	v_mul_f64_e32 v[8:9], v[92:93], v[18:19]
	v_mul_f64_e32 v[10:11], v[90:91], v[18:19]
	v_add_f64_e32 v[70:71], v[78:79], v[70:71]
	v_add_f64_e32 v[72:73], v[72:73], v[80:81]
	v_mul_f64_e32 v[78:79], v[84:85], v[14:15]
	v_mul_f64_e32 v[80:81], v[82:83], v[14:15]
	v_add_f64_e32 v[74:75], v[118:119], v[74:75]
	v_add_f64_e32 v[76:77], v[76:77], v[116:117]
	v_fma_f64 v[8:9], v[90:91], v[16:17], -v[8:9]
	v_fmac_f64_e32 v[10:11], v[92:93], v[16:17]
	v_fma_f64 v[78:79], v[82:83], v[12:13], -v[78:79]
	v_fmac_f64_e32 v[80:81], v[84:85], v[12:13]
	s_delay_alu instid0(VALU_DEP_4) | instskip(NEXT) | instid1(VALU_DEP_4)
	v_add_f64_e32 v[46:47], v[42:43], v[8:9]
	v_add_f64_e32 v[48:49], v[10:11], v[110:111]
	v_mul_f64_e32 v[8:9], v[92:93], v[14:15]
	v_mul_f64_e32 v[10:11], v[90:91], v[14:15]
	v_add_f64_e32 v[78:79], v[120:121], v[78:79]
	v_add_f64_e32 v[80:81], v[80:81], v[122:123]
	s_delay_alu instid0(VALU_DEP_4) | instskip(NEXT) | instid1(VALU_DEP_4)
	v_fma_f64 v[8:9], v[90:91], v[12:13], -v[8:9]
	v_fmac_f64_e32 v[10:11], v[92:93], v[12:13]
	s_delay_alu instid0(VALU_DEP_2) | instskip(NEXT) | instid1(VALU_DEP_2)
	v_add_f64_e32 v[42:43], v[114:115], v[8:9]
	v_add_f64_e32 v[44:45], v[10:11], v[112:113]
	ds_load_b128 v[8:11], v98 offset:1792
	s_wait_dscnt 0x0
	v_mul_f64_e32 v[38:39], v[92:93], v[10:11]
	v_mul_f64_e32 v[40:41], v[90:91], v[10:11]
	s_delay_alu instid0(VALU_DEP_2) | instskip(NEXT) | instid1(VALU_DEP_2)
	v_fma_f64 v[38:39], v[90:91], v[8:9], -v[38:39]
	v_fmac_f64_e32 v[40:41], v[92:93], v[8:9]
	s_delay_alu instid0(VALU_DEP_2) | instskip(NEXT) | instid1(VALU_DEP_2)
	v_add_f64_e32 v[38:39], v[88:89], v[38:39]
	v_add_f64_e32 v[40:41], v[40:41], v[86:87]
	v_mul_f64_e32 v[86:87], v[84:85], v[10:11]
	v_mul_f64_e32 v[88:89], v[82:83], v[10:11]
	s_delay_alu instid0(VALU_DEP_2) | instskip(NEXT) | instid1(VALU_DEP_2)
	v_fma_f64 v[86:87], v[82:83], v[8:9], -v[86:87]
	v_fmac_f64_e32 v[88:89], v[84:85], v[8:9]
	s_delay_alu instid0(VALU_DEP_2) | instskip(NEXT) | instid1(VALU_DEP_2)
	v_add_f64_e32 v[82:83], v[124:125], v[86:87]
	v_add_f64_e32 v[84:85], v[88:89], v[126:127]
	ds_load_b128 v[86:89], v99 offset:2064
	s_wait_dscnt 0x0
	v_mul_f64_e32 v[90:91], v[88:89], v[22:23]
	v_mul_f64_e32 v[94:95], v[88:89], v[18:19]
	;; [unrolled: 1-line block ×7, first 2 shown]
	v_fma_f64 v[90:91], v[86:87], v[20:21], -v[90:91]
	v_fma_f64 v[94:95], v[86:87], v[16:17], -v[94:95]
	;; [unrolled: 1-line block ×4, first 2 shown]
	v_mul_f64_e32 v[86:87], v[86:87], v[10:11]
	v_fmac_f64_e32 v[92:93], v[88:89], v[20:21]
	v_fmac_f64_e32 v[96:97], v[88:89], v[16:17]
	;; [unrolled: 1-line block ×3, first 2 shown]
	v_add_f64_e32 v[90:91], v[128:129], v[90:91]
	v_add_f64_e32 v[94:95], v[132:133], v[94:95]
	;; [unrolled: 1-line block ×4, first 2 shown]
	v_fmac_f64_e32 v[86:87], v[88:89], v[8:9]
	v_add_f64_e32 v[92:93], v[92:93], v[130:131]
	v_add_f64_e32 v[96:97], v[96:97], v[134:135]
	;; [unrolled: 1-line block ×3, first 2 shown]
	s_delay_alu instid0(VALU_DEP_4) | instskip(SKIP_4) | instid1(VALU_DEP_2)
	v_add_f64_e32 v[108:109], v[86:87], v[142:143]
	ds_load_b128 v[86:89], v99 offset:3088
	s_wait_dscnt 0x0
	v_mul_f64_e32 v[110:111], v[88:89], v[22:23]
	v_mul_f64_e32 v[22:23], v[86:87], v[22:23]
	v_fma_f64 v[110:111], v[86:87], v[20:21], -v[110:111]
	s_delay_alu instid0(VALU_DEP_2) | instskip(SKIP_2) | instid1(VALU_DEP_4)
	v_fmac_f64_e32 v[22:23], v[88:89], v[20:21]
	v_mul_f64_e32 v[20:21], v[88:89], v[18:19]
	v_mul_f64_e32 v[18:19], v[86:87], v[18:19]
	v_add_f64_e32 v[66:67], v[66:67], v[110:111]
	s_delay_alu instid0(VALU_DEP_4) | instskip(NEXT) | instid1(VALU_DEP_4)
	v_add_f64_e32 v[68:69], v[22:23], v[68:69]
	v_fma_f64 v[20:21], v[86:87], v[16:17], -v[20:21]
	s_delay_alu instid0(VALU_DEP_4) | instskip(SKIP_2) | instid1(VALU_DEP_4)
	v_fmac_f64_e32 v[18:19], v[88:89], v[16:17]
	v_mul_f64_e32 v[16:17], v[88:89], v[14:15]
	v_mul_f64_e32 v[14:15], v[86:87], v[14:15]
	v_add_f64_e32 v[62:63], v[62:63], v[20:21]
	s_delay_alu instid0(VALU_DEP_4) | instskip(NEXT) | instid1(VALU_DEP_4)
	v_add_f64_e32 v[64:65], v[18:19], v[64:65]
	v_fma_f64 v[16:17], v[86:87], v[12:13], -v[16:17]
	s_delay_alu instid0(VALU_DEP_4) | instskip(SKIP_2) | instid1(VALU_DEP_4)
	v_fmac_f64_e32 v[14:15], v[88:89], v[12:13]
	v_mul_f64_e32 v[12:13], v[88:89], v[10:11]
	v_mul_f64_e32 v[10:11], v[86:87], v[10:11]
	v_add_f64_e32 v[58:59], v[58:59], v[16:17]
	s_delay_alu instid0(VALU_DEP_4) | instskip(NEXT) | instid1(VALU_DEP_4)
	v_add_f64_e32 v[60:61], v[14:15], v[60:61]
	v_fma_f64 v[12:13], v[86:87], v[8:9], -v[12:13]
	s_delay_alu instid0(VALU_DEP_4) | instskip(NEXT) | instid1(VALU_DEP_2)
	v_fmac_f64_e32 v[10:11], v[88:89], v[8:9]
	v_add_f64_e32 v[54:55], v[54:55], v[12:13]
	s_delay_alu instid0(VALU_DEP_2) | instskip(SKIP_4) | instid1(VALU_DEP_2)
	v_add_f64_e32 v[56:57], v[10:11], v[56:57]
	ds_load_b128 v[8:11], v98 offset:2048
	s_wait_dscnt 0x0
	v_mul_f64_e32 v[12:13], v[6:7], v[10:11]
	v_mul_f64_e32 v[14:15], v[4:5], v[10:11]
	v_fma_f64 v[12:13], v[4:5], v[8:9], -v[12:13]
	s_delay_alu instid0(VALU_DEP_2) | instskip(NEXT) | instid1(VALU_DEP_2)
	v_fmac_f64_e32 v[14:15], v[6:7], v[8:9]
	v_add_f64_e32 v[50:51], v[50:51], v[12:13]
	s_delay_alu instid0(VALU_DEP_2) | instskip(SKIP_4) | instid1(VALU_DEP_2)
	v_add_f64_e32 v[52:53], v[14:15], v[52:53]
	ds_load_b128 v[12:15], v98 offset:2304
	s_wait_dscnt 0x0
	v_mul_f64_e32 v[16:17], v[6:7], v[14:15]
	v_mul_f64_e32 v[18:19], v[4:5], v[14:15]
	v_fma_f64 v[16:17], v[4:5], v[12:13], -v[16:17]
	s_delay_alu instid0(VALU_DEP_2) | instskip(NEXT) | instid1(VALU_DEP_2)
	;; [unrolled: 10-line block ×3, first 2 shown]
	v_fmac_f64_e32 v[22:23], v[6:7], v[16:17]
	v_add_f64_e32 v[110:111], v[42:43], v[20:21]
	s_delay_alu instid0(VALU_DEP_2) | instskip(SKIP_3) | instid1(VALU_DEP_1)
	v_add_f64_e32 v[44:45], v[22:23], v[44:45]
	ds_load_b128 v[20:23], v98 offset:2816
	s_wait_dscnt 0x0
	v_mul_f64_e32 v[42:43], v[6:7], v[22:23]
	v_fma_f64 v[42:43], v[4:5], v[20:21], -v[42:43]
	v_mul_f64_e32 v[4:5], v[4:5], v[22:23]
	s_delay_alu instid0(VALU_DEP_2) | instskip(NEXT) | instid1(VALU_DEP_2)
	v_add_f64_e32 v[112:113], v[38:39], v[42:43]
	v_fmac_f64_e32 v[4:5], v[6:7], v[20:21]
	s_delay_alu instid0(VALU_DEP_1) | instskip(SKIP_4) | instid1(VALU_DEP_2)
	v_add_f64_e32 v[114:115], v[4:5], v[40:41]
	ds_load_b128 v[4:7], v99 offset:1056
	s_wait_dscnt 0x0
	v_mul_f64_e32 v[38:39], v[6:7], v[10:11]
	v_mul_f64_e32 v[40:41], v[4:5], v[10:11]
	v_fma_f64 v[38:39], v[4:5], v[8:9], -v[38:39]
	s_delay_alu instid0(VALU_DEP_2) | instskip(NEXT) | instid1(VALU_DEP_2)
	v_fmac_f64_e32 v[40:41], v[6:7], v[8:9]
	v_add_f64_e32 v[70:71], v[70:71], v[38:39]
	v_mul_f64_e32 v[38:39], v[6:7], v[14:15]
	s_delay_alu instid0(VALU_DEP_3) | instskip(SKIP_1) | instid1(VALU_DEP_3)
	v_add_f64_e32 v[72:73], v[40:41], v[72:73]
	v_mul_f64_e32 v[40:41], v[4:5], v[14:15]
	v_fma_f64 v[38:39], v[4:5], v[12:13], -v[38:39]
	s_delay_alu instid0(VALU_DEP_2) | instskip(NEXT) | instid1(VALU_DEP_2)
	v_fmac_f64_e32 v[40:41], v[6:7], v[12:13]
	v_add_f64_e32 v[74:75], v[74:75], v[38:39]
	v_mul_f64_e32 v[38:39], v[6:7], v[18:19]
	s_delay_alu instid0(VALU_DEP_3) | instskip(SKIP_1) | instid1(VALU_DEP_3)
	v_add_f64_e32 v[76:77], v[40:41], v[76:77]
	v_mul_f64_e32 v[40:41], v[4:5], v[18:19]
	v_fma_f64 v[38:39], v[4:5], v[16:17], -v[38:39]
	s_delay_alu instid0(VALU_DEP_2) | instskip(NEXT) | instid1(VALU_DEP_2)
	v_fmac_f64_e32 v[40:41], v[6:7], v[16:17]
	v_add_f64_e32 v[116:117], v[78:79], v[38:39]
	v_mul_f64_e32 v[38:39], v[6:7], v[22:23]
	s_delay_alu instid0(VALU_DEP_3) | instskip(NEXT) | instid1(VALU_DEP_2)
	v_add_f64_e32 v[118:119], v[40:41], v[80:81]
	v_fma_f64 v[38:39], v[4:5], v[20:21], -v[38:39]
	v_mul_f64_e32 v[4:5], v[4:5], v[22:23]
	s_delay_alu instid0(VALU_DEP_2) | instskip(NEXT) | instid1(VALU_DEP_2)
	v_add_f64_e32 v[120:121], v[82:83], v[38:39]
	v_fmac_f64_e32 v[4:5], v[6:7], v[20:21]
	s_delay_alu instid0(VALU_DEP_1) | instskip(SKIP_4) | instid1(VALU_DEP_2)
	v_add_f64_e32 v[122:123], v[4:5], v[84:85]
	ds_load_b128 v[4:7], v99 offset:2080
	s_wait_dscnt 0x0
	v_mul_f64_e32 v[38:39], v[6:7], v[10:11]
	v_mul_f64_e32 v[40:41], v[4:5], v[10:11]
	v_fma_f64 v[38:39], v[4:5], v[8:9], -v[38:39]
	s_delay_alu instid0(VALU_DEP_2) | instskip(NEXT) | instid1(VALU_DEP_2)
	v_fmac_f64_e32 v[40:41], v[6:7], v[8:9]
	v_add_f64_e32 v[124:125], v[90:91], v[38:39]
	v_mul_f64_e32 v[38:39], v[6:7], v[14:15]
	s_delay_alu instid0(VALU_DEP_3) | instskip(SKIP_1) | instid1(VALU_DEP_3)
	v_add_f64_e32 v[126:127], v[40:41], v[92:93]
	v_mul_f64_e32 v[40:41], v[4:5], v[14:15]
	v_fma_f64 v[38:39], v[4:5], v[12:13], -v[38:39]
	s_delay_alu instid0(VALU_DEP_2) | instskip(NEXT) | instid1(VALU_DEP_2)
	v_fmac_f64_e32 v[40:41], v[6:7], v[12:13]
	v_add_f64_e32 v[128:129], v[94:95], v[38:39]
	v_mul_f64_e32 v[38:39], v[6:7], v[18:19]
	s_delay_alu instid0(VALU_DEP_3) | instskip(SKIP_1) | instid1(VALU_DEP_3)
	v_add_f64_e32 v[130:131], v[40:41], v[96:97]
	v_mul_f64_e32 v[40:41], v[4:5], v[18:19]
	v_fma_f64 v[38:39], v[4:5], v[16:17], -v[38:39]
	s_delay_alu instid0(VALU_DEP_2) | instskip(NEXT) | instid1(VALU_DEP_2)
	v_fmac_f64_e32 v[40:41], v[6:7], v[16:17]
	v_add_f64_e32 v[102:103], v[102:103], v[38:39]
	v_mul_f64_e32 v[38:39], v[6:7], v[22:23]
	s_delay_alu instid0(VALU_DEP_3) | instskip(NEXT) | instid1(VALU_DEP_2)
	v_add_f64_e32 v[104:105], v[40:41], v[104:105]
	v_fma_f64 v[38:39], v[4:5], v[20:21], -v[38:39]
	v_mul_f64_e32 v[4:5], v[4:5], v[22:23]
	s_delay_alu instid0(VALU_DEP_2) | instskip(NEXT) | instid1(VALU_DEP_2)
	v_add_f64_e32 v[106:107], v[106:107], v[38:39]
	v_fmac_f64_e32 v[4:5], v[6:7], v[20:21]
	s_delay_alu instid0(VALU_DEP_1) | instskip(SKIP_4) | instid1(VALU_DEP_2)
	v_add_f64_e32 v[108:109], v[4:5], v[108:109]
	ds_load_b128 v[4:7], v99 offset:3104
	s_wait_dscnt 0x0
	v_mul_f64_e32 v[38:39], v[6:7], v[10:11]
	v_mul_f64_e32 v[10:11], v[4:5], v[10:11]
	v_fma_f64 v[38:39], v[4:5], v[8:9], -v[38:39]
	s_delay_alu instid0(VALU_DEP_2) | instskip(SKIP_1) | instid1(VALU_DEP_3)
	v_fmac_f64_e32 v[10:11], v[6:7], v[8:9]
	v_mul_f64_e32 v[8:9], v[6:7], v[14:15]
	v_add_f64_e32 v[94:95], v[66:67], v[38:39]
	s_delay_alu instid0(VALU_DEP_3) | instskip(NEXT) | instid1(VALU_DEP_3)
	v_add_f64_e32 v[96:97], v[10:11], v[68:69]
	v_fma_f64 v[8:9], v[4:5], v[12:13], -v[8:9]
	v_mul_f64_e32 v[10:11], v[4:5], v[14:15]
	s_delay_alu instid0(VALU_DEP_2) | instskip(SKIP_1) | instid1(VALU_DEP_3)
	v_add_f64_e32 v[90:91], v[62:63], v[8:9]
	v_mul_f64_e32 v[8:9], v[6:7], v[18:19]
	v_fmac_f64_e32 v[10:11], v[6:7], v[12:13]
	ds_load_b128 v[12:15], v98 offset:3328
	v_fma_f64 v[8:9], v[4:5], v[16:17], -v[8:9]
	v_add_f64_e32 v[92:93], v[10:11], v[64:65]
	v_mul_f64_e32 v[10:11], v[4:5], v[18:19]
	s_delay_alu instid0(VALU_DEP_3) | instskip(SKIP_1) | instid1(VALU_DEP_3)
	v_add_f64_e32 v[86:87], v[58:59], v[8:9]
	v_mul_f64_e32 v[8:9], v[6:7], v[22:23]
	v_fmac_f64_e32 v[10:11], v[6:7], v[16:17]
	ds_load_b128 v[16:19], v98 offset:3072
	v_fma_f64 v[8:9], v[4:5], v[20:21], -v[8:9]
	v_mul_f64_e32 v[4:5], v[4:5], v[22:23]
	v_add_f64_e32 v[88:89], v[10:11], v[60:61]
	s_delay_alu instid0(VALU_DEP_3) | instskip(NEXT) | instid1(VALU_DEP_3)
	v_add_f64_e32 v[82:83], v[54:55], v[8:9]
	v_fmac_f64_e32 v[4:5], v[6:7], v[20:21]
	s_wait_dscnt 0x0
	v_mul_f64_e32 v[6:7], v[0:1], v[18:19]
	ds_load_b128 v[8:11], v98 offset:3584
	v_add_f64_e32 v[84:85], v[4:5], v[56:57]
	v_mul_f64_e32 v[4:5], v[2:3], v[18:19]
	v_fmac_f64_e32 v[6:7], v[2:3], v[16:17]
	s_delay_alu instid0(VALU_DEP_2) | instskip(NEXT) | instid1(VALU_DEP_2)
	v_fma_f64 v[4:5], v[0:1], v[16:17], -v[4:5]
	v_add_f64_e32 v[60:61], v[6:7], v[52:53]
	v_mul_f64_e32 v[6:7], v[0:1], v[14:15]
	s_delay_alu instid0(VALU_DEP_3) | instskip(SKIP_1) | instid1(VALU_DEP_3)
	v_add_f64_e32 v[58:59], v[50:51], v[4:5]
	v_mul_f64_e32 v[4:5], v[2:3], v[14:15]
	v_fmac_f64_e32 v[6:7], v[2:3], v[12:13]
	s_delay_alu instid0(VALU_DEP_2) | instskip(NEXT) | instid1(VALU_DEP_1)
	v_fma_f64 v[4:5], v[0:1], v[12:13], -v[4:5]
	v_add_f64_e32 v[42:43], v[46:47], v[4:5]
	s_delay_alu instid0(VALU_DEP_3) | instskip(SKIP_3) | instid1(VALU_DEP_2)
	v_add_f64_e32 v[46:47], v[6:7], v[48:49]
	s_wait_dscnt 0x0
	v_mul_f64_e32 v[4:5], v[2:3], v[10:11]
	v_mul_f64_e32 v[6:7], v[0:1], v[10:11]
	v_fma_f64 v[4:5], v[0:1], v[8:9], -v[4:5]
	s_delay_alu instid0(VALU_DEP_2) | instskip(NEXT) | instid1(VALU_DEP_2)
	v_fmac_f64_e32 v[6:7], v[2:3], v[8:9]
	v_add_f64_e32 v[38:39], v[110:111], v[4:5]
	s_delay_alu instid0(VALU_DEP_2) | instskip(SKIP_3) | instid1(VALU_DEP_1)
	v_add_f64_e32 v[40:41], v[6:7], v[44:45]
	ds_load_b128 v[4:7], v98 offset:3840
	s_wait_dscnt 0x0
	v_mul_f64_e32 v[20:21], v[2:3], v[6:7]
	v_fma_f64 v[20:21], v[0:1], v[4:5], -v[20:21]
	v_mul_f64_e32 v[0:1], v[0:1], v[6:7]
	s_delay_alu instid0(VALU_DEP_2) | instskip(NEXT) | instid1(VALU_DEP_2)
	v_add_f64_e32 v[20:21], v[112:113], v[20:21]
	v_fmac_f64_e32 v[0:1], v[2:3], v[4:5]
	s_delay_alu instid0(VALU_DEP_1) | instskip(SKIP_4) | instid1(VALU_DEP_2)
	v_add_f64_e32 v[22:23], v[0:1], v[114:115]
	ds_load_b128 v[0:3], v99 offset:1072
	s_wait_dscnt 0x0
	v_mul_f64_e32 v[44:45], v[2:3], v[18:19]
	v_mul_f64_e32 v[48:49], v[0:1], v[18:19]
	v_fma_f64 v[44:45], v[0:1], v[16:17], -v[44:45]
	s_delay_alu instid0(VALU_DEP_2) | instskip(NEXT) | instid1(VALU_DEP_2)
	v_fmac_f64_e32 v[48:49], v[2:3], v[16:17]
	v_add_f64_e32 v[78:79], v[70:71], v[44:45]
	v_mul_f64_e32 v[44:45], v[2:3], v[14:15]
	s_delay_alu instid0(VALU_DEP_3) | instskip(SKIP_1) | instid1(VALU_DEP_3)
	v_add_f64_e32 v[80:81], v[48:49], v[72:73]
	v_mul_f64_e32 v[48:49], v[0:1], v[14:15]
	v_fma_f64 v[44:45], v[0:1], v[12:13], -v[44:45]
	s_delay_alu instid0(VALU_DEP_2) | instskip(NEXT) | instid1(VALU_DEP_2)
	v_fmac_f64_e32 v[48:49], v[2:3], v[12:13]
	v_add_f64_e32 v[70:71], v[74:75], v[44:45]
	v_mul_f64_e32 v[44:45], v[2:3], v[10:11]
	s_delay_alu instid0(VALU_DEP_3) | instskip(SKIP_1) | instid1(VALU_DEP_3)
	v_add_f64_e32 v[74:75], v[48:49], v[76:77]
	v_mul_f64_e32 v[48:49], v[0:1], v[10:11]
	v_fma_f64 v[44:45], v[0:1], v[8:9], -v[44:45]
	s_delay_alu instid0(VALU_DEP_2) | instskip(NEXT) | instid1(VALU_DEP_2)
	v_fmac_f64_e32 v[48:49], v[2:3], v[8:9]
	v_add_f64_e32 v[62:63], v[116:117], v[44:45]
	v_mul_f64_e32 v[44:45], v[2:3], v[6:7]
	s_delay_alu instid0(VALU_DEP_3) | instskip(NEXT) | instid1(VALU_DEP_2)
	v_add_f64_e32 v[66:67], v[48:49], v[118:119]
	v_fma_f64 v[44:45], v[0:1], v[4:5], -v[44:45]
	v_mul_f64_e32 v[0:1], v[0:1], v[6:7]
	s_delay_alu instid0(VALU_DEP_2) | instskip(NEXT) | instid1(VALU_DEP_2)
	v_add_f64_e32 v[50:51], v[120:121], v[44:45]
	v_fmac_f64_e32 v[0:1], v[2:3], v[4:5]
	s_delay_alu instid0(VALU_DEP_1) | instskip(SKIP_4) | instid1(VALU_DEP_2)
	v_add_f64_e32 v[54:55], v[0:1], v[122:123]
	ds_load_b128 v[0:3], v99 offset:2096
	s_wait_dscnt 0x0
	v_mul_f64_e32 v[44:45], v[2:3], v[18:19]
	v_mul_f64_e32 v[48:49], v[0:1], v[18:19]
	v_fma_f64 v[44:45], v[0:1], v[16:17], -v[44:45]
	s_delay_alu instid0(VALU_DEP_2) | instskip(NEXT) | instid1(VALU_DEP_2)
	v_fmac_f64_e32 v[48:49], v[2:3], v[16:17]
	v_add_f64_e32 v[72:73], v[124:125], v[44:45]
	v_mul_f64_e32 v[44:45], v[2:3], v[14:15]
	s_delay_alu instid0(VALU_DEP_3) | instskip(SKIP_1) | instid1(VALU_DEP_3)
	v_add_f64_e32 v[76:77], v[48:49], v[126:127]
	v_mul_f64_e32 v[48:49], v[0:1], v[14:15]
	v_fma_f64 v[44:45], v[0:1], v[12:13], -v[44:45]
	s_delay_alu instid0(VALU_DEP_2) | instskip(NEXT) | instid1(VALU_DEP_2)
	v_fmac_f64_e32 v[48:49], v[2:3], v[12:13]
	v_add_f64_e32 v[64:65], v[128:129], v[44:45]
	v_mul_f64_e32 v[44:45], v[2:3], v[10:11]
	s_delay_alu instid0(VALU_DEP_3) | instskip(SKIP_1) | instid1(VALU_DEP_3)
	v_add_f64_e32 v[68:69], v[48:49], v[130:131]
	v_mul_f64_e32 v[48:49], v[0:1], v[10:11]
	v_fma_f64 v[44:45], v[0:1], v[8:9], -v[44:45]
	s_delay_alu instid0(VALU_DEP_2) | instskip(NEXT) | instid1(VALU_DEP_2)
	v_fmac_f64_e32 v[48:49], v[2:3], v[8:9]
	v_add_f64_e32 v[52:53], v[102:103], v[44:45]
	v_mul_f64_e32 v[44:45], v[2:3], v[6:7]
	s_delay_alu instid0(VALU_DEP_3) | instskip(NEXT) | instid1(VALU_DEP_2)
	v_add_f64_e32 v[56:57], v[48:49], v[104:105]
	v_fma_f64 v[44:45], v[0:1], v[4:5], -v[44:45]
	v_mul_f64_e32 v[0:1], v[0:1], v[6:7]
	s_delay_alu instid0(VALU_DEP_2) | instskip(NEXT) | instid1(VALU_DEP_2)
	v_add_f64_e32 v[44:45], v[106:107], v[44:45]
	v_fmac_f64_e32 v[0:1], v[2:3], v[4:5]
	s_delay_alu instid0(VALU_DEP_1)
	v_add_f64_e32 v[48:49], v[0:1], v[108:109]
	ds_load_b128 v[0:3], v99 offset:3120
	s_wait_dscnt 0x0
	s_barrier_signal -1
	s_barrier_wait -1
	v_mul_f64_e32 v[102:103], v[2:3], v[18:19]
	v_mul_f64_e32 v[18:19], v[0:1], v[18:19]
	s_delay_alu instid0(VALU_DEP_2) | instskip(NEXT) | instid1(VALU_DEP_2)
	v_fma_f64 v[102:103], v[0:1], v[16:17], -v[102:103]
	v_fmac_f64_e32 v[18:19], v[2:3], v[16:17]
	s_delay_alu instid0(VALU_DEP_2) | instskip(SKIP_2) | instid1(VALU_DEP_4)
	v_add_f64_e32 v[16:17], v[94:95], v[102:103]
	v_mul_f64_e32 v[94:95], v[2:3], v[14:15]
	v_mul_f64_e32 v[14:15], v[0:1], v[14:15]
	v_add_f64_e32 v[18:19], v[18:19], v[96:97]
	s_delay_alu instid0(VALU_DEP_3) | instskip(NEXT) | instid1(VALU_DEP_3)
	v_fma_f64 v[94:95], v[0:1], v[12:13], -v[94:95]
	v_fmac_f64_e32 v[14:15], v[2:3], v[12:13]
	s_delay_alu instid0(VALU_DEP_2) | instskip(SKIP_2) | instid1(VALU_DEP_4)
	v_add_f64_e32 v[12:13], v[90:91], v[94:95]
	v_mul_f64_e32 v[90:91], v[2:3], v[10:11]
	v_mul_f64_e32 v[10:11], v[0:1], v[10:11]
	v_add_f64_e32 v[14:15], v[14:15], v[92:93]
	s_delay_alu instid0(VALU_DEP_3) | instskip(NEXT) | instid1(VALU_DEP_3)
	v_fma_f64 v[90:91], v[0:1], v[8:9], -v[90:91]
	v_fmac_f64_e32 v[10:11], v[2:3], v[8:9]
	s_delay_alu instid0(VALU_DEP_2) | instskip(SKIP_1) | instid1(VALU_DEP_3)
	v_add_f64_e32 v[8:9], v[86:87], v[90:91]
	v_mul_f64_e32 v[86:87], v[2:3], v[6:7]
	v_add_f64_e32 v[10:11], v[10:11], v[88:89]
	s_delay_alu instid0(VALU_DEP_2) | instskip(SKIP_1) | instid1(VALU_DEP_2)
	v_fma_f64 v[86:87], v[0:1], v[4:5], -v[86:87]
	v_mul_f64_e32 v[0:1], v[0:1], v[6:7]
	v_add_f64_e32 v[82:83], v[82:83], v[86:87]
	s_delay_alu instid0(VALU_DEP_2) | instskip(NEXT) | instid1(VALU_DEP_1)
	v_fmac_f64_e32 v[0:1], v[2:3], v[4:5]
	v_add_f64_e32 v[84:85], v[0:1], v[84:85]
	s_cbranch_vccnz .LBB537_5
	s_branch .LBB537_7
.LBB537_6:                              ;   in Loop: Header=BB537_3 Depth=1
	v_mov_b64_e32 v[58:59], 0
	v_mov_b64_e32 v[60:61], 0
	;; [unrolled: 1-line block ×32, first 2 shown]
.LBB537_7:                              ;   in Loop: Header=BB537_3 Depth=1
	s_wait_kmcnt 0x0
	s_mul_u64 s[22:23], s[12:13], s[2:3]
	s_and_not1_b32 vcc_lo, exec_lo, s1
	s_lshl_b64 s[22:23], s[22:23], 4
	s_mov_b32 s25, -1
	s_add_nc_u64 s[22:23], s[48:49], s[22:23]
                                        ; implicit-def: $vgpr0_vgpr1
                                        ; implicit-def: $vgpr2_vgpr3
	s_cbranch_vccz .LBB537_9
; %bb.8:                                ;   in Loop: Header=BB537_3 Depth=1
	s_and_not1_b32 vcc_lo, exec_lo, s25
	s_cbranch_vccnz .LBB537_2
	s_branch .LBB537_10
.LBB537_9:                              ;   in Loop: Header=BB537_3 Depth=1
	s_wait_xcnt 0x0
	v_mul_f64_e32 v[0:1], s[8:9], v[60:61]
	v_mul_f64_e32 v[2:3], s[6:7], v[60:61]
	;; [unrolled: 1-line block ×8, first 2 shown]
	v_lshlrev_b64_e32 v[130:131], 4, v[26:27]
	v_lshl_add_u64 v[122:123], v[24:25], 4, s[22:23]
	v_mul_f64_e32 v[92:93], s[8:9], v[80:81]
	v_mul_f64_e32 v[90:91], s[6:7], v[80:81]
	v_mul_f64_e32 v[96:97], s[8:9], v[74:75]
	v_mul_f64_e32 v[94:95], s[6:7], v[74:75]
	v_mul_f64_e32 v[102:103], s[8:9], v[66:67]
	v_add_nc_u64_e32 v[112:113], v[122:123], v[130:131]
	v_mul_f64_e32 v[104:105], s[6:7], v[66:67]
	v_mul_f64_e32 v[106:107], s[8:9], v[54:55]
	;; [unrolled: 1-line block ×13, first 2 shown]
	v_fma_f64 v[0:1], s[6:7], v[58:59], -v[0:1]
	v_fmac_f64_e32 v[2:3], s[8:9], v[58:59]
	v_fma_f64 v[4:5], s[6:7], v[42:43], -v[4:5]
	v_fmac_f64_e32 v[6:7], s[8:9], v[42:43]
	;; [unrolled: 2-line block ×4, first 2 shown]
	v_fmac_f64_e32 v[90:91], s[8:9], v[78:79]
	v_fmac_f64_e32 v[94:95], s[8:9], v[70:71]
	v_fma_f64 v[102:103], s[6:7], v[62:63], -v[102:103]
	v_fmac_f64_e32 v[104:105], s[8:9], v[62:63]
	v_fma_f64 v[106:107], s[6:7], v[50:51], -v[106:107]
	v_fmac_f64_e32 v[108:109], s[8:9], v[50:51]
	v_fmac_f64_e32 v[128:129], s[8:9], v[8:9]
	;; [unrolled: 1-line block ×5, first 2 shown]
	global_store_b128 v[112:113], v[0:3], off
	s_wait_xcnt 0x0
	v_mul_f64_e32 v[0:1], s[6:7], v[84:85]
	global_store_b128 v[112:113], v[4:7], off offset:256
	s_wait_xcnt 0x0
	v_mul_f64_e32 v[4:5], s[6:7], v[76:77]
	global_store_b128 v[112:113], v[34:37], off offset:512
	;; [unrolled: 3-line block ×3, first 2 shown]
	s_wait_xcnt 0x0
	v_mul_f64_e32 v[112:113], s[6:7], v[56:57]
	v_mul_f64_e32 v[6:7], s[8:9], v[10:11]
	v_mul_f64_e32 v[86:87], s[8:9], v[84:85]
	v_fma_f64 v[88:89], s[6:7], v[78:79], -v[92:93]
	v_fma_f64 v[92:93], s[6:7], v[70:71], -v[96:97]
	;; [unrolled: 1-line block ×3, first 2 shown]
	v_add_nc_u64_e32 v[96:97], s[20:21], v[122:123]
	v_fma_f64 v[34:35], s[6:7], v[64:65], -v[114:115]
	v_fma_f64 v[110:111], s[6:7], v[52:53], -v[118:119]
	;; [unrolled: 1-line block ×5, first 2 shown]
	v_fmac_f64_e32 v[0:1], s[8:9], v[82:83]
	v_fmac_f64_e32 v[4:5], s[8:9], v[72:73]
	;; [unrolled: 1-line block ×4, first 2 shown]
	v_fma_f64 v[126:127], s[6:7], v[8:9], -v[6:7]
	v_fma_f64 v[6:7], s[6:7], v[82:83], -v[86:87]
	v_add_nc_u64_e32 v[86:87], s[20:21], v[96:97]
	v_add_nc_u64_e32 v[96:97], v[96:97], v[130:131]
	s_delay_alu instid0(VALU_DEP_2)
	v_add_nc_u64_e32 v[132:133], s[20:21], v[86:87]
	v_add_nc_u64_e32 v[86:87], v[86:87], v[130:131]
	s_clause 0x5
	global_store_b128 v[96:97], v[88:91], off
	global_store_b128 v[96:97], v[92:95], off offset:256
	global_store_b128 v[96:97], v[102:105], off offset:512
	;; [unrolled: 1-line block ×3, first 2 shown]
	global_store_b128 v[86:87], v[2:5], off
	global_store_b128 v[86:87], v[34:37], off offset:256
	v_add_nc_u64_e32 v[130:131], v[132:133], v[130:131]
	s_clause 0x3
	global_store_b128 v[86:87], v[110:113], off offset:512
	global_store_b128 v[86:87], v[114:117], off offset:768
	global_store_b128 v[130:131], v[118:121], off
	global_store_b128 v[130:131], v[122:125], off offset:256
	s_wait_xcnt 0x5
	v_add_nc_u64_e32 v[2:3], 0x300, v[130:131]
	s_clause 0x1
	global_store_b128 v[130:131], v[126:129], off offset:512
	global_store_b64 v[130:131], v[6:7], off offset:768
	s_cbranch_execnz .LBB537_2
.LBB537_10:                             ;   in Loop: Header=BB537_3 Depth=1
	s_mul_u64 s[26:27], s[46:47], s[2:3]
	s_wait_xcnt 0x1
	v_lshlrev_b64_e32 v[4:5], 4, v[26:27]
	s_wait_xcnt 0x0
	v_lshl_add_u64 v[6:7], s[26:27], 4, v[28:29]
	v_mul_f64_e32 v[36:37], s[8:9], v[60:61]
	v_mul_f64_e32 v[60:61], s[6:7], v[60:61]
	s_delay_alu instid0(VALU_DEP_3)
	v_add_nc_u64_e32 v[34:35], v[6:7], v[4:5]
	v_add_nc_u64_e32 v[6:7], s[18:19], v[6:7]
	global_load_b128 v[0:3], v[34:35], off
	v_fma_f64 v[36:37], s[6:7], v[58:59], -v[36:37]
	v_fmac_f64_e32 v[60:61], s[8:9], v[58:59]
	s_wait_loadcnt 0x0
	v_mul_f64_e32 v[86:87], s[40:41], v[2:3]
	v_mul_f64_e32 v[2:3], s[38:39], v[2:3]
	s_delay_alu instid0(VALU_DEP_2) | instskip(NEXT) | instid1(VALU_DEP_2)
	v_fma_f64 v[58:59], s[38:39], v[0:1], -v[86:87]
	v_fmac_f64_e32 v[2:3], s[40:41], v[0:1]
	s_delay_alu instid0(VALU_DEP_2) | instskip(NEXT) | instid1(VALU_DEP_2)
	v_add_f64_e32 v[0:1], v[36:37], v[58:59]
	v_add_f64_e32 v[2:3], v[60:61], v[2:3]
	v_lshl_add_u64 v[36:37], v[24:25], 4, s[22:23]
	v_mul_f64_e32 v[60:61], s[8:9], v[46:47]
	v_mul_f64_e32 v[46:47], s[6:7], v[46:47]
	s_delay_alu instid0(VALU_DEP_3)
	v_add_nc_u64_e32 v[58:59], v[36:37], v[4:5]
	global_store_b128 v[58:59], v[0:3], off
	global_load_b128 v[0:3], v[34:35], off offset:256
	v_fma_f64 v[60:61], s[6:7], v[42:43], -v[60:61]
	v_fmac_f64_e32 v[46:47], s[8:9], v[42:43]
	s_wait_loadcnt 0x0
	v_mul_f64_e32 v[86:87], s[40:41], v[2:3]
	v_mul_f64_e32 v[2:3], s[38:39], v[2:3]
	s_delay_alu instid0(VALU_DEP_2) | instskip(NEXT) | instid1(VALU_DEP_2)
	v_fma_f64 v[42:43], s[38:39], v[0:1], -v[86:87]
	v_fmac_f64_e32 v[2:3], s[40:41], v[0:1]
	s_delay_alu instid0(VALU_DEP_2) | instskip(NEXT) | instid1(VALU_DEP_2)
	v_add_f64_e32 v[0:1], v[60:61], v[42:43]
	v_add_f64_e32 v[2:3], v[46:47], v[2:3]
	v_mul_f64_e32 v[42:43], s[8:9], v[40:41]
	v_mul_f64_e32 v[40:41], s[6:7], v[40:41]
	global_store_b128 v[58:59], v[0:3], off offset:256
	global_load_b128 v[0:3], v[34:35], off offset:512
	v_fma_f64 v[42:43], s[6:7], v[38:39], -v[42:43]
	v_fmac_f64_e32 v[40:41], s[8:9], v[38:39]
	s_wait_loadcnt 0x0
	v_mul_f64_e32 v[46:47], s[40:41], v[2:3]
	v_mul_f64_e32 v[2:3], s[38:39], v[2:3]
	s_delay_alu instid0(VALU_DEP_2) | instskip(NEXT) | instid1(VALU_DEP_2)
	v_fma_f64 v[38:39], s[38:39], v[0:1], -v[46:47]
	v_fmac_f64_e32 v[2:3], s[40:41], v[0:1]
	s_delay_alu instid0(VALU_DEP_2) | instskip(NEXT) | instid1(VALU_DEP_2)
	v_add_f64_e32 v[0:1], v[42:43], v[38:39]
	v_add_f64_e32 v[2:3], v[40:41], v[2:3]
	global_store_b128 v[58:59], v[0:3], off offset:512
	global_load_b128 v[0:3], v[34:35], off offset:768
	s_wait_xcnt 0x0
	v_mul_f64_e32 v[34:35], s[8:9], v[22:23]
	v_mul_f64_e32 v[22:23], s[6:7], v[22:23]
	s_delay_alu instid0(VALU_DEP_2) | instskip(NEXT) | instid1(VALU_DEP_2)
	v_fma_f64 v[34:35], s[6:7], v[20:21], -v[34:35]
	v_fmac_f64_e32 v[22:23], s[8:9], v[20:21]
	s_wait_loadcnt 0x0
	v_mul_f64_e32 v[38:39], s[40:41], v[2:3]
	v_mul_f64_e32 v[2:3], s[38:39], v[2:3]
	s_delay_alu instid0(VALU_DEP_2) | instskip(NEXT) | instid1(VALU_DEP_2)
	v_fma_f64 v[20:21], s[38:39], v[0:1], -v[38:39]
	v_fmac_f64_e32 v[2:3], s[40:41], v[0:1]
	s_delay_alu instid0(VALU_DEP_2) | instskip(NEXT) | instid1(VALU_DEP_2)
	v_add_f64_e32 v[0:1], v[34:35], v[20:21]
	v_add_f64_e32 v[2:3], v[22:23], v[2:3]
	v_add_nc_u64_e32 v[20:21], v[6:7], v[4:5]
	v_mul_f64_e32 v[22:23], s[8:9], v[80:81]
	v_mul_f64_e32 v[34:35], s[6:7], v[80:81]
	v_add_nc_u64_e32 v[6:7], s[18:19], v[6:7]
	global_store_b128 v[58:59], v[0:3], off offset:768
	global_load_b128 v[0:3], v[20:21], off
	v_fma_f64 v[22:23], s[6:7], v[78:79], -v[22:23]
	v_fmac_f64_e32 v[34:35], s[8:9], v[78:79]
	s_wait_loadcnt 0x0
	v_mul_f64_e32 v[38:39], s[40:41], v[2:3]
	v_mul_f64_e32 v[2:3], s[38:39], v[2:3]
	s_delay_alu instid0(VALU_DEP_2) | instskip(NEXT) | instid1(VALU_DEP_2)
	v_fma_f64 v[38:39], s[38:39], v[0:1], -v[38:39]
	v_fmac_f64_e32 v[2:3], s[40:41], v[0:1]
	s_delay_alu instid0(VALU_DEP_2) | instskip(NEXT) | instid1(VALU_DEP_2)
	v_add_f64_e32 v[0:1], v[22:23], v[38:39]
	v_add_f64_e32 v[2:3], v[34:35], v[2:3]
	v_add_nc_u64_e32 v[22:23], s[20:21], v[36:37]
	v_mul_f64_e32 v[36:37], s[8:9], v[74:75]
	v_mul_f64_e32 v[38:39], s[6:7], v[74:75]
	s_delay_alu instid0(VALU_DEP_3)
	v_add_nc_u64_e32 v[34:35], v[22:23], v[4:5]
	v_add_nc_u64_e32 v[22:23], s[20:21], v[22:23]
	global_store_b128 v[34:35], v[0:3], off
	global_load_b128 v[0:3], v[20:21], off offset:256
	v_fma_f64 v[36:37], s[6:7], v[70:71], -v[36:37]
	v_fmac_f64_e32 v[38:39], s[8:9], v[70:71]
	s_wait_loadcnt 0x0
	v_mul_f64_e32 v[40:41], s[40:41], v[2:3]
	v_mul_f64_e32 v[2:3], s[38:39], v[2:3]
	s_delay_alu instid0(VALU_DEP_2) | instskip(NEXT) | instid1(VALU_DEP_2)
	v_fma_f64 v[40:41], s[38:39], v[0:1], -v[40:41]
	v_fmac_f64_e32 v[2:3], s[40:41], v[0:1]
	s_delay_alu instid0(VALU_DEP_2) | instskip(NEXT) | instid1(VALU_DEP_2)
	v_add_f64_e32 v[0:1], v[36:37], v[40:41]
	v_add_f64_e32 v[2:3], v[38:39], v[2:3]
	v_mul_f64_e32 v[36:37], s[8:9], v[66:67]
	v_mul_f64_e32 v[38:39], s[6:7], v[66:67]
	global_store_b128 v[34:35], v[0:3], off offset:256
	global_load_b128 v[0:3], v[20:21], off offset:512
	v_fma_f64 v[36:37], s[6:7], v[62:63], -v[36:37]
	v_fmac_f64_e32 v[38:39], s[8:9], v[62:63]
	s_wait_loadcnt 0x0
	v_mul_f64_e32 v[40:41], s[40:41], v[2:3]
	v_mul_f64_e32 v[2:3], s[38:39], v[2:3]
	s_delay_alu instid0(VALU_DEP_2) | instskip(NEXT) | instid1(VALU_DEP_2)
	v_fma_f64 v[40:41], s[38:39], v[0:1], -v[40:41]
	v_fmac_f64_e32 v[2:3], s[40:41], v[0:1]
	s_delay_alu instid0(VALU_DEP_2) | instskip(NEXT) | instid1(VALU_DEP_2)
	v_add_f64_e32 v[0:1], v[36:37], v[40:41]
	v_add_f64_e32 v[2:3], v[38:39], v[2:3]
	v_mul_f64_e32 v[36:37], s[6:7], v[54:55]
	global_store_b128 v[34:35], v[0:3], off offset:512
	global_load_b128 v[0:3], v[20:21], off offset:768
	s_wait_xcnt 0x0
	v_mul_f64_e32 v[20:21], s[8:9], v[54:55]
	v_fmac_f64_e32 v[36:37], s[8:9], v[50:51]
	s_delay_alu instid0(VALU_DEP_2) | instskip(SKIP_3) | instid1(VALU_DEP_2)
	v_fma_f64 v[20:21], s[6:7], v[50:51], -v[20:21]
	s_wait_loadcnt 0x0
	v_mul_f64_e32 v[38:39], s[40:41], v[2:3]
	v_mul_f64_e32 v[2:3], s[38:39], v[2:3]
	v_fma_f64 v[38:39], s[38:39], v[0:1], -v[38:39]
	s_delay_alu instid0(VALU_DEP_2) | instskip(NEXT) | instid1(VALU_DEP_2)
	v_fmac_f64_e32 v[2:3], s[40:41], v[0:1]
	v_add_f64_e32 v[0:1], v[20:21], v[38:39]
	s_delay_alu instid0(VALU_DEP_2) | instskip(SKIP_3) | instid1(VALU_DEP_1)
	v_add_f64_e32 v[2:3], v[36:37], v[2:3]
	v_add_nc_u64_e32 v[20:21], v[6:7], v[4:5]
	v_mul_f64_e32 v[36:37], s[6:7], v[76:77]
	v_add_nc_u64_e32 v[6:7], s[18:19], v[6:7]
	v_add_nc_u64_e32 v[6:7], v[6:7], v[4:5]
	global_store_b128 v[34:35], v[0:3], off offset:768
	global_load_b128 v[0:3], v[20:21], off
	v_mul_f64_e32 v[34:35], s[8:9], v[76:77]
	v_fmac_f64_e32 v[36:37], s[8:9], v[72:73]
	s_delay_alu instid0(VALU_DEP_2) | instskip(SKIP_3) | instid1(VALU_DEP_2)
	v_fma_f64 v[34:35], s[6:7], v[72:73], -v[34:35]
	s_wait_loadcnt 0x0
	v_mul_f64_e32 v[38:39], s[40:41], v[2:3]
	v_mul_f64_e32 v[2:3], s[38:39], v[2:3]
	v_fma_f64 v[38:39], s[38:39], v[0:1], -v[38:39]
	s_delay_alu instid0(VALU_DEP_2) | instskip(NEXT) | instid1(VALU_DEP_2)
	v_fmac_f64_e32 v[2:3], s[40:41], v[0:1]
	v_add_f64_e32 v[0:1], v[34:35], v[38:39]
	s_delay_alu instid0(VALU_DEP_2)
	v_add_f64_e32 v[2:3], v[36:37], v[2:3]
	v_add_nc_u64_e32 v[34:35], v[22:23], v[4:5]
	v_mul_f64_e32 v[36:37], s[8:9], v[68:69]
	v_mul_f64_e32 v[38:39], s[6:7], v[68:69]
	global_store_b128 v[34:35], v[0:3], off
	global_load_b128 v[0:3], v[20:21], off offset:256
	v_fma_f64 v[36:37], s[6:7], v[64:65], -v[36:37]
	v_fmac_f64_e32 v[38:39], s[8:9], v[64:65]
	s_wait_loadcnt 0x0
	v_mul_f64_e32 v[40:41], s[40:41], v[2:3]
	v_mul_f64_e32 v[2:3], s[38:39], v[2:3]
	s_delay_alu instid0(VALU_DEP_2) | instskip(NEXT) | instid1(VALU_DEP_2)
	v_fma_f64 v[40:41], s[38:39], v[0:1], -v[40:41]
	v_fmac_f64_e32 v[2:3], s[40:41], v[0:1]
	s_delay_alu instid0(VALU_DEP_2) | instskip(NEXT) | instid1(VALU_DEP_2)
	v_add_f64_e32 v[0:1], v[36:37], v[40:41]
	v_add_f64_e32 v[2:3], v[38:39], v[2:3]
	v_mul_f64_e32 v[36:37], s[8:9], v[56:57]
	v_mul_f64_e32 v[38:39], s[6:7], v[56:57]
	global_store_b128 v[34:35], v[0:3], off offset:256
	global_load_b128 v[0:3], v[20:21], off offset:512
	v_fma_f64 v[36:37], s[6:7], v[52:53], -v[36:37]
	v_fmac_f64_e32 v[38:39], s[8:9], v[52:53]
	s_wait_loadcnt 0x0
	v_mul_f64_e32 v[40:41], s[40:41], v[2:3]
	v_mul_f64_e32 v[2:3], s[38:39], v[2:3]
	s_delay_alu instid0(VALU_DEP_2) | instskip(NEXT) | instid1(VALU_DEP_2)
	v_fma_f64 v[40:41], s[38:39], v[0:1], -v[40:41]
	v_fmac_f64_e32 v[2:3], s[40:41], v[0:1]
	s_delay_alu instid0(VALU_DEP_2) | instskip(NEXT) | instid1(VALU_DEP_2)
	v_add_f64_e32 v[0:1], v[36:37], v[40:41]
	v_add_f64_e32 v[2:3], v[38:39], v[2:3]
	v_mul_f64_e32 v[36:37], s[6:7], v[48:49]
	global_store_b128 v[34:35], v[0:3], off offset:512
	global_load_b128 v[0:3], v[20:21], off offset:768
	s_wait_xcnt 0x0
	v_mul_f64_e32 v[20:21], s[8:9], v[48:49]
	v_fmac_f64_e32 v[36:37], s[8:9], v[44:45]
	s_delay_alu instid0(VALU_DEP_2) | instskip(SKIP_3) | instid1(VALU_DEP_2)
	v_fma_f64 v[20:21], s[6:7], v[44:45], -v[20:21]
	s_wait_loadcnt 0x0
	v_mul_f64_e32 v[38:39], s[40:41], v[2:3]
	v_mul_f64_e32 v[2:3], s[38:39], v[2:3]
	v_fma_f64 v[38:39], s[38:39], v[0:1], -v[38:39]
	s_delay_alu instid0(VALU_DEP_2) | instskip(NEXT) | instid1(VALU_DEP_2)
	v_fmac_f64_e32 v[2:3], s[40:41], v[0:1]
	v_add_f64_e32 v[0:1], v[20:21], v[38:39]
	s_delay_alu instid0(VALU_DEP_2)
	v_add_f64_e32 v[2:3], v[36:37], v[2:3]
	v_mul_f64_e32 v[20:21], s[8:9], v[18:19]
	v_mul_f64_e32 v[18:19], s[6:7], v[18:19]
	global_store_b128 v[34:35], v[0:3], off offset:768
	global_load_b128 v[0:3], v[6:7], off
	v_fma_f64 v[20:21], s[6:7], v[16:17], -v[20:21]
	v_fmac_f64_e32 v[18:19], s[8:9], v[16:17]
	s_wait_loadcnt 0x0
	v_mul_f64_e32 v[34:35], s[40:41], v[2:3]
	v_mul_f64_e32 v[2:3], s[38:39], v[2:3]
	s_delay_alu instid0(VALU_DEP_2) | instskip(NEXT) | instid1(VALU_DEP_2)
	v_fma_f64 v[16:17], s[38:39], v[0:1], -v[34:35]
	v_fmac_f64_e32 v[2:3], s[40:41], v[0:1]
	s_delay_alu instid0(VALU_DEP_2) | instskip(NEXT) | instid1(VALU_DEP_2)
	v_add_f64_e32 v[0:1], v[20:21], v[16:17]
	v_add_f64_e32 v[2:3], v[18:19], v[2:3]
	v_add_nc_u64_e32 v[16:17], s[20:21], v[22:23]
	s_delay_alu instid0(VALU_DEP_1)
	v_add_nc_u64_e32 v[4:5], v[16:17], v[4:5]
	v_mul_f64_e32 v[16:17], s[8:9], v[14:15]
	v_mul_f64_e32 v[14:15], s[6:7], v[14:15]
	global_store_b128 v[4:5], v[0:3], off
	global_load_b128 v[0:3], v[6:7], off offset:256
	v_fma_f64 v[16:17], s[6:7], v[12:13], -v[16:17]
	v_fmac_f64_e32 v[14:15], s[8:9], v[12:13]
	s_wait_loadcnt 0x0
	v_mul_f64_e32 v[18:19], s[40:41], v[2:3]
	v_mul_f64_e32 v[2:3], s[38:39], v[2:3]
	s_delay_alu instid0(VALU_DEP_2) | instskip(NEXT) | instid1(VALU_DEP_2)
	v_fma_f64 v[12:13], s[38:39], v[0:1], -v[18:19]
	v_fmac_f64_e32 v[2:3], s[40:41], v[0:1]
	s_delay_alu instid0(VALU_DEP_2) | instskip(NEXT) | instid1(VALU_DEP_2)
	v_add_f64_e32 v[0:1], v[16:17], v[12:13]
	v_add_f64_e32 v[2:3], v[14:15], v[2:3]
	v_mul_f64_e32 v[12:13], s[8:9], v[10:11]
	v_mul_f64_e32 v[10:11], s[6:7], v[10:11]
	global_store_b128 v[4:5], v[0:3], off offset:256
	global_load_b128 v[0:3], v[6:7], off offset:512
	v_fma_f64 v[12:13], s[6:7], v[8:9], -v[12:13]
	v_fmac_f64_e32 v[10:11], s[8:9], v[8:9]
	s_wait_loadcnt 0x0
	v_mul_f64_e32 v[14:15], s[40:41], v[2:3]
	v_mul_f64_e32 v[2:3], s[38:39], v[2:3]
	s_delay_alu instid0(VALU_DEP_2) | instskip(NEXT) | instid1(VALU_DEP_2)
	v_fma_f64 v[8:9], s[38:39], v[0:1], -v[14:15]
	v_fmac_f64_e32 v[2:3], s[40:41], v[0:1]
	s_delay_alu instid0(VALU_DEP_2) | instskip(NEXT) | instid1(VALU_DEP_2)
	v_add_f64_e32 v[0:1], v[12:13], v[8:9]
	v_add_f64_e32 v[2:3], v[10:11], v[2:3]
	v_mul_f64_e32 v[8:9], s[6:7], v[84:85]
	global_store_b128 v[4:5], v[0:3], off offset:512
	global_load_b128 v[0:3], v[6:7], off offset:768
	s_wait_xcnt 0x0
	v_mul_f64_e32 v[6:7], s[8:9], v[84:85]
	v_fmac_f64_e32 v[8:9], s[8:9], v[82:83]
	s_delay_alu instid0(VALU_DEP_2) | instskip(SKIP_3) | instid1(VALU_DEP_2)
	v_fma_f64 v[6:7], s[6:7], v[82:83], -v[6:7]
	s_wait_loadcnt 0x0
	v_mul_f64_e32 v[10:11], s[40:41], v[2:3]
	v_mul_f64_e32 v[2:3], s[38:39], v[2:3]
	v_fma_f64 v[10:11], s[38:39], v[0:1], -v[10:11]
	s_delay_alu instid0(VALU_DEP_2) | instskip(NEXT) | instid1(VALU_DEP_2)
	v_fmac_f64_e32 v[2:3], s[40:41], v[0:1]
	v_add_f64_e32 v[6:7], v[6:7], v[10:11]
	s_delay_alu instid0(VALU_DEP_2)
	v_add_f64_e32 v[0:1], v[8:9], v[2:3]
	v_add_nc_u64_e32 v[2:3], 0x300, v[4:5]
	global_store_b64 v[4:5], v[6:7], off offset:768
	s_branch .LBB537_2
.LBB537_11:
	s_sendmsg sendmsg(MSG_DEALLOC_VGPRS)
	s_endpgm
	.section	.rodata,"a",@progbits
	.p2align	6, 0x0
	.amdhsa_kernel _ZN12_GLOBAL__N_127rocblas_gemm_batched_kernelI19rocblas_complex_numIdELi16ELi16ELi64ELi64ELi4ELi64ELi4ELi4ELi64ELc84ELc67EKS2_S3_S2_EEvlllT_PT11_llS6_llS4_PT12_llPT13_lli
		.amdhsa_group_segment_fixed_size 8192
		.amdhsa_private_segment_fixed_size 0
		.amdhsa_kernarg_size 156
		.amdhsa_user_sgpr_count 2
		.amdhsa_user_sgpr_dispatch_ptr 0
		.amdhsa_user_sgpr_queue_ptr 0
		.amdhsa_user_sgpr_kernarg_segment_ptr 1
		.amdhsa_user_sgpr_dispatch_id 0
		.amdhsa_user_sgpr_kernarg_preload_length 0
		.amdhsa_user_sgpr_kernarg_preload_offset 0
		.amdhsa_user_sgpr_private_segment_size 0
		.amdhsa_wavefront_size32 1
		.amdhsa_uses_dynamic_stack 0
		.amdhsa_enable_private_segment 0
		.amdhsa_system_sgpr_workgroup_id_x 1
		.amdhsa_system_sgpr_workgroup_id_y 1
		.amdhsa_system_sgpr_workgroup_id_z 1
		.amdhsa_system_sgpr_workgroup_info 0
		.amdhsa_system_vgpr_workitem_id 1
		.amdhsa_next_free_vgpr 144
		.amdhsa_next_free_sgpr 52
		.amdhsa_named_barrier_count 0
		.amdhsa_reserve_vcc 1
		.amdhsa_float_round_mode_32 0
		.amdhsa_float_round_mode_16_64 0
		.amdhsa_float_denorm_mode_32 3
		.amdhsa_float_denorm_mode_16_64 3
		.amdhsa_fp16_overflow 0
		.amdhsa_memory_ordered 1
		.amdhsa_forward_progress 1
		.amdhsa_inst_pref_size 45
		.amdhsa_round_robin_scheduling 0
		.amdhsa_exception_fp_ieee_invalid_op 0
		.amdhsa_exception_fp_denorm_src 0
		.amdhsa_exception_fp_ieee_div_zero 0
		.amdhsa_exception_fp_ieee_overflow 0
		.amdhsa_exception_fp_ieee_underflow 0
		.amdhsa_exception_fp_ieee_inexact 0
		.amdhsa_exception_int_div_zero 0
	.end_amdhsa_kernel
	.section	.text._ZN12_GLOBAL__N_127rocblas_gemm_batched_kernelI19rocblas_complex_numIdELi16ELi16ELi64ELi64ELi4ELi64ELi4ELi4ELi64ELc84ELc67EKS2_S3_S2_EEvlllT_PT11_llS6_llS4_PT12_llPT13_lli,"axG",@progbits,_ZN12_GLOBAL__N_127rocblas_gemm_batched_kernelI19rocblas_complex_numIdELi16ELi16ELi64ELi64ELi4ELi64ELi4ELi4ELi64ELc84ELc67EKS2_S3_S2_EEvlllT_PT11_llS6_llS4_PT12_llPT13_lli,comdat
.Lfunc_end537:
	.size	_ZN12_GLOBAL__N_127rocblas_gemm_batched_kernelI19rocblas_complex_numIdELi16ELi16ELi64ELi64ELi4ELi64ELi4ELi4ELi64ELc84ELc67EKS2_S3_S2_EEvlllT_PT11_llS6_llS4_PT12_llPT13_lli, .Lfunc_end537-_ZN12_GLOBAL__N_127rocblas_gemm_batched_kernelI19rocblas_complex_numIdELi16ELi16ELi64ELi64ELi4ELi64ELi4ELi4ELi64ELc84ELc67EKS2_S3_S2_EEvlllT_PT11_llS6_llS4_PT12_llPT13_lli
                                        ; -- End function
	.set _ZN12_GLOBAL__N_127rocblas_gemm_batched_kernelI19rocblas_complex_numIdELi16ELi16ELi64ELi64ELi4ELi64ELi4ELi4ELi64ELc84ELc67EKS2_S3_S2_EEvlllT_PT11_llS6_llS4_PT12_llPT13_lli.num_vgpr, 144
	.set _ZN12_GLOBAL__N_127rocblas_gemm_batched_kernelI19rocblas_complex_numIdELi16ELi16ELi64ELi64ELi4ELi64ELi4ELi4ELi64ELc84ELc67EKS2_S3_S2_EEvlllT_PT11_llS6_llS4_PT12_llPT13_lli.num_agpr, 0
	.set _ZN12_GLOBAL__N_127rocblas_gemm_batched_kernelI19rocblas_complex_numIdELi16ELi16ELi64ELi64ELi4ELi64ELi4ELi4ELi64ELc84ELc67EKS2_S3_S2_EEvlllT_PT11_llS6_llS4_PT12_llPT13_lli.numbered_sgpr, 52
	.set _ZN12_GLOBAL__N_127rocblas_gemm_batched_kernelI19rocblas_complex_numIdELi16ELi16ELi64ELi64ELi4ELi64ELi4ELi4ELi64ELc84ELc67EKS2_S3_S2_EEvlllT_PT11_llS6_llS4_PT12_llPT13_lli.num_named_barrier, 0
	.set _ZN12_GLOBAL__N_127rocblas_gemm_batched_kernelI19rocblas_complex_numIdELi16ELi16ELi64ELi64ELi4ELi64ELi4ELi4ELi64ELc84ELc67EKS2_S3_S2_EEvlllT_PT11_llS6_llS4_PT12_llPT13_lli.private_seg_size, 0
	.set _ZN12_GLOBAL__N_127rocblas_gemm_batched_kernelI19rocblas_complex_numIdELi16ELi16ELi64ELi64ELi4ELi64ELi4ELi4ELi64ELc84ELc67EKS2_S3_S2_EEvlllT_PT11_llS6_llS4_PT12_llPT13_lli.uses_vcc, 1
	.set _ZN12_GLOBAL__N_127rocblas_gemm_batched_kernelI19rocblas_complex_numIdELi16ELi16ELi64ELi64ELi4ELi64ELi4ELi4ELi64ELc84ELc67EKS2_S3_S2_EEvlllT_PT11_llS6_llS4_PT12_llPT13_lli.uses_flat_scratch, 0
	.set _ZN12_GLOBAL__N_127rocblas_gemm_batched_kernelI19rocblas_complex_numIdELi16ELi16ELi64ELi64ELi4ELi64ELi4ELi4ELi64ELc84ELc67EKS2_S3_S2_EEvlllT_PT11_llS6_llS4_PT12_llPT13_lli.has_dyn_sized_stack, 0
	.set _ZN12_GLOBAL__N_127rocblas_gemm_batched_kernelI19rocblas_complex_numIdELi16ELi16ELi64ELi64ELi4ELi64ELi4ELi4ELi64ELc84ELc67EKS2_S3_S2_EEvlllT_PT11_llS6_llS4_PT12_llPT13_lli.has_recursion, 0
	.set _ZN12_GLOBAL__N_127rocblas_gemm_batched_kernelI19rocblas_complex_numIdELi16ELi16ELi64ELi64ELi4ELi64ELi4ELi4ELi64ELc84ELc67EKS2_S3_S2_EEvlllT_PT11_llS6_llS4_PT12_llPT13_lli.has_indirect_call, 0
	.section	.AMDGPU.csdata,"",@progbits
; Kernel info:
; codeLenInByte = 5648
; TotalNumSgprs: 54
; NumVgprs: 144
; ScratchSize: 0
; MemoryBound: 0
; FloatMode: 240
; IeeeMode: 1
; LDSByteSize: 8192 bytes/workgroup (compile time only)
; SGPRBlocks: 0
; VGPRBlocks: 8
; NumSGPRsForWavesPerEU: 54
; NumVGPRsForWavesPerEU: 144
; NamedBarCnt: 0
; Occupancy: 7
; WaveLimiterHint : 1
; COMPUTE_PGM_RSRC2:SCRATCH_EN: 0
; COMPUTE_PGM_RSRC2:USER_SGPR: 2
; COMPUTE_PGM_RSRC2:TRAP_HANDLER: 0
; COMPUTE_PGM_RSRC2:TGID_X_EN: 1
; COMPUTE_PGM_RSRC2:TGID_Y_EN: 1
; COMPUTE_PGM_RSRC2:TGID_Z_EN: 1
; COMPUTE_PGM_RSRC2:TIDIG_COMP_CNT: 1
	.section	.text._ZN12_GLOBAL__N_127rocblas_gemm_batched_kernelI19rocblas_complex_numIdELi16ELi16ELi32ELi32ELi8ELi32ELi8ELi8ELi32ELc78ELc78EKS2_S3_S2_EEvlllT_PT11_llS6_llS4_PT12_llPT13_lli,"axG",@progbits,_ZN12_GLOBAL__N_127rocblas_gemm_batched_kernelI19rocblas_complex_numIdELi16ELi16ELi32ELi32ELi8ELi32ELi8ELi8ELi32ELc78ELc78EKS2_S3_S2_EEvlllT_PT11_llS6_llS4_PT12_llPT13_lli,comdat
	.globl	_ZN12_GLOBAL__N_127rocblas_gemm_batched_kernelI19rocblas_complex_numIdELi16ELi16ELi32ELi32ELi8ELi32ELi8ELi8ELi32ELc78ELc78EKS2_S3_S2_EEvlllT_PT11_llS6_llS4_PT12_llPT13_lli ; -- Begin function _ZN12_GLOBAL__N_127rocblas_gemm_batched_kernelI19rocblas_complex_numIdELi16ELi16ELi32ELi32ELi8ELi32ELi8ELi8ELi32ELc78ELc78EKS2_S3_S2_EEvlllT_PT11_llS6_llS4_PT12_llPT13_lli
	.p2align	8
	.type	_ZN12_GLOBAL__N_127rocblas_gemm_batched_kernelI19rocblas_complex_numIdELi16ELi16ELi32ELi32ELi8ELi32ELi8ELi8ELi32ELc78ELc78EKS2_S3_S2_EEvlllT_PT11_llS6_llS4_PT12_llPT13_lli,@function
_ZN12_GLOBAL__N_127rocblas_gemm_batched_kernelI19rocblas_complex_numIdELi16ELi16ELi32ELi32ELi8ELi32ELi8ELi8ELi32ELc78ELc78EKS2_S3_S2_EEvlllT_PT11_llS6_llS4_PT12_llPT13_lli: ; @_ZN12_GLOBAL__N_127rocblas_gemm_batched_kernelI19rocblas_complex_numIdELi16ELi16ELi32ELi32ELi8ELi32ELi8ELi8ELi32ELc78ELc78EKS2_S3_S2_EEvlllT_PT11_llS6_llS4_PT12_llPT13_lli
; %bb.0:
	s_load_b32 s24, s[0:1], 0x98
	s_bfe_u32 s2, ttmp6, 0x40014
	s_lshr_b32 s3, ttmp7, 16
	s_add_co_i32 s2, s2, 1
	s_bfe_u32 s4, ttmp6, 0x40008
	s_mul_i32 s2, s3, s2
	s_getreg_b32 s20, hwreg(HW_REG_IB_STS2, 6, 4)
	s_add_co_i32 s4, s4, s2
	s_cmp_eq_u32 s20, 0
	s_cselect_b32 s2, s3, s4
	s_mov_b32 s3, 0
	s_wait_kmcnt 0x0
	s_cmp_ge_i32 s2, s24
	s_cbranch_scc1 .LBB538_11
; %bb.1:
	s_clause 0x1
	s_load_b512 s[4:19], s[0:1], 0x10
	s_load_b512 s[36:51], s[0:1], 0x50
	s_bfe_u32 s22, ttmp6, 0x4000c
	s_bfe_u32 s23, ttmp6, 0x40010
	s_add_co_i32 s22, s22, 1
	s_and_b32 s25, ttmp7, 0xffff
	s_add_co_i32 s23, s23, 1
	v_bfe_u32 v2, v0, 10, 10
	v_and_b32_e32 v4, 0x3ff, v0
	s_and_b32 s21, ttmp6, 15
	s_mul_i32 s22, ttmp9, s22
	s_mul_i32 s23, s25, s23
	s_bfe_u32 s26, ttmp6, 0x40004
	s_add_co_i32 s21, s21, s22
	s_add_co_i32 s26, s26, s23
	s_cmp_eq_u32 s20, 0
	v_lshl_add_u32 v1, v2, 4, v4
	v_mov_b32_e32 v3, 0
	s_cselect_b32 s22, s25, s26
	s_cselect_b32 s20, ttmp9, s21
	s_lshl_b32 s22, s22, 5
	s_mov_b32 s23, s3
	v_lshrrev_b32_e32 v6, 3, v1
	v_add_nc_u64_e32 v[10:11], s[22:23], v[2:3]
	v_mov_b32_e32 v7, v3
	s_ashr_i32 s21, s20, 31
	v_mov_b32_e32 v5, v3
	s_lshl_b64 s[20:21], s[20:21], 5
	v_lshlrev_b32_e32 v86, 4, v4
	v_lshl_add_u32 v87, v2, 7, 0x1000
	s_wait_kmcnt 0x0
	v_mul_u64_e32 v[12:13], s[44:45], v[10:11]
	v_mul_u64_e32 v[56:57], s[50:51], v[10:11]
	v_lshlrev_b32_e32 v10, 4, v0
	v_add_nc_u64_e32 v[8:9], s[22:23], v[6:7]
	v_lshrrev_b32_e32 v7, 5, v1
	v_cmp_eq_f64_e64 s22, s[38:39], 0
	v_cmp_eq_f64_e64 s23, s[40:41], 0
	v_dual_mov_b32 v1, v3 :: v_dual_bitop2_b32 v0, 31, v1 bitop3:0x40
	s_delay_alu instid0(VALU_DEP_4)
	v_mad_nc_u64_u32 v[14:15], s12, v7, s[20:21]
	v_mul_u64_e32 v[8:9], s[18:19], v[8:9]
	s_load_b64 s[18:19], s[0:1], 0x90
	v_and_b32_e32 v10, 0x70, v10
	v_mov_b32_e32 v11, v3
	s_wait_xcnt 0x0
	v_cmp_gt_i64_e64 s0, s[4:5], 0
	v_lshlrev_b32_e32 v16, 4, v0
	v_add_nc_u64_e32 v[58:59], s[20:21], v[4:5]
	v_lshl_or_b32 v6, v6, 7, v10
	s_lshl_b64 s[20:21], s[50:51], 4
	v_mad_u32 v15, s13, v7, v15
	v_cndmask_b32_e64 v4, 0, 1, s0
	v_lshl_or_b32 v88, v7, 9, v16
	v_add_nc_u32_e32 v89, 0x1000, v6
	s_lshl_b64 s[12:13], s[12:13], 7
	s_delay_alu instid0(VALU_DEP_3) | instskip(SKIP_2) | instid1(VALU_DEP_2)
	v_cmp_ne_u32_e64 s0, 1, v4
	v_add_nc_u64_e32 v[0:1], v[14:15], v[0:1]
	v_lshl_add_u64 v[60:61], v[12:13], 4, s[42:43]
	v_lshl_add_u64 v[64:65], v[0:1], 4, s[10:11]
	s_and_b32 s1, s22, s23
	s_lshl_b64 s[22:23], s[44:45], 4
	s_lshl_b64 s[10:11], s[14:15], 4
	v_lshl_add_u64 v[2:3], v[8:9], 4, v[10:11]
	s_lshl_b64 s[14:15], s[36:37], 4
	s_delay_alu instid0(VALU_DEP_1)
	v_add_nc_u64_e32 v[62:63], s[16:17], v[2:3]
	s_branch .LBB538_3
.LBB538_2:                              ;   in Loop: Header=BB538_3 Depth=1
	s_add_co_i32 s2, s2, 0x10000
	global_store_b64 v[2:3], v[0:1], off offset:8
	s_cmp_lt_i32 s2, s24
	s_cbranch_scc0 .LBB538_11
.LBB538_3:                              ; =>This Loop Header: Depth=1
                                        ;     Child Loop BB538_5 Depth 2
	s_and_b32 vcc_lo, exec_lo, s0
	s_cbranch_vccnz .LBB538_6
; %bb.4:                                ;   in Loop: Header=BB538_3 Depth=1
	v_mad_nc_u64_u32 v[78:79], s10, s2, v[64:65]
	s_delay_alu instid0(VALU_DEP_2)
	v_mad_nc_u64_u32 v[80:81], s14, s2, v[62:63]
	v_mov_b64_e32 v[68:69], 0
	v_mov_b64_e32 v[66:67], 0
	;; [unrolled: 1-line block ×8, first 2 shown]
	s_mov_b64 s[16:17], 0
	v_mad_u32 v79, s11, s2, v79
	v_mad_u32 v81, s15, s2, v81
.LBB538_5:                              ;   Parent Loop BB538_3 Depth=1
                                        ; =>  This Inner Loop Header: Depth=2
	global_load_b128 v[0:3], v[78:79], off
	global_load_b128 v[4:7], v[80:81], off
	s_add_nc_u64 s[16:17], s[16:17], 8
	s_wait_xcnt 0x1
	v_add_nc_u64_e32 v[78:79], s[12:13], v[78:79]
	v_cmp_lt_i64_e64 s25, s[16:17], s[4:5]
	s_wait_xcnt 0x0
	v_add_nc_u64_e32 v[80:81], 0x80, v[80:81]
	s_wait_loadcnt 0x1
	ds_store_2addr_b64 v88, v[0:1], v[2:3] offset1:1
	s_wait_loadcnt 0x0
	ds_store_2addr_b64 v89, v[4:5], v[6:7] offset1:1
	s_wait_dscnt 0x0
	s_barrier_signal -1
	s_barrier_wait -1
	ds_load_b128 v[0:3], v86
	ds_load_b128 v[8:11], v86 offset:256
	ds_load_b128 v[12:15], v87
	ds_load_b128 v[4:7], v87 offset:16
	ds_load_b128 v[16:19], v87 offset:2048
	;; [unrolled: 1-line block ×28, first 2 shown]
	s_wait_dscnt 0x1c
	v_mul_f64_e32 v[160:161], v[12:13], v[2:3]
	v_mul_f64_e32 v[164:165], v[12:13], v[10:11]
	v_mul_f64_e32 v[158:159], v[14:15], v[2:3]
	v_mul_f64_e32 v[162:163], v[14:15], v[10:11]
	s_and_b32 vcc_lo, exec_lo, s25
	s_delay_alu instid0(VALU_DEP_4) | instskip(NEXT) | instid1(VALU_DEP_4)
	v_fmac_f64_e32 v[160:161], v[14:15], v[0:1]
	v_fmac_f64_e32 v[164:165], v[14:15], v[8:9]
	s_wait_dscnt 0x1a
	v_mul_f64_e32 v[14:15], v[18:19], v[2:3]
	v_mul_f64_e32 v[2:3], v[16:17], v[2:3]
	v_fma_f64 v[158:159], v[12:13], v[0:1], -v[158:159]
	v_fma_f64 v[12:13], v[12:13], v[8:9], -v[162:163]
	s_wait_dscnt 0x17
	v_mul_f64_e32 v[162:163], v[4:5], v[34:35]
	v_add_f64_e32 v[84:85], v[160:161], v[84:85]
	v_add_f64_e32 v[76:77], v[164:165], v[76:77]
	v_fma_f64 v[14:15], v[16:17], v[0:1], -v[14:15]
	v_fmac_f64_e32 v[2:3], v[18:19], v[0:1]
	v_mul_f64_e32 v[0:1], v[18:19], v[10:11]
	v_mul_f64_e32 v[10:11], v[16:17], v[10:11]
	v_fmac_f64_e32 v[162:163], v[6:7], v[32:33]
	v_add_f64_e32 v[12:13], v[74:75], v[12:13]
	s_wait_dscnt 0x10
	v_mul_f64_e32 v[74:75], v[22:23], v[92:93]
	v_add_f64_e32 v[14:15], v[70:71], v[14:15]
	v_add_f64_e32 v[2:3], v[2:3], v[72:73]
	v_fma_f64 v[0:1], v[16:17], v[8:9], -v[0:1]
	v_fmac_f64_e32 v[10:11], v[18:19], v[8:9]
	v_mul_f64_e32 v[8:9], v[6:7], v[30:31]
	v_mul_f64_e32 v[16:17], v[4:5], v[30:31]
	;; [unrolled: 1-line block ×3, first 2 shown]
	s_wait_dscnt 0xf
	v_mul_f64_e32 v[70:71], v[22:23], v[96:97]
	v_mul_f64_e32 v[72:73], v[20:21], v[96:97]
	v_fma_f64 v[74:75], v[20:21], v[90:91], -v[74:75]
	v_add_f64_e32 v[0:1], v[66:67], v[0:1]
	v_add_f64_e32 v[10:11], v[10:11], v[68:69]
	v_fma_f64 v[8:9], v[4:5], v[28:29], -v[8:9]
	v_fmac_f64_e32 v[16:17], v[6:7], v[28:29]
	v_fma_f64 v[4:5], v[4:5], v[32:33], -v[18:19]
	v_mul_f64_e32 v[6:7], v[26:27], v[30:31]
	v_mul_f64_e32 v[18:19], v[24:25], v[30:31]
	;; [unrolled: 1-line block ×5, first 2 shown]
	v_fmac_f64_e32 v[72:73], v[22:23], v[94:95]
	v_add_f64_e32 v[16:17], v[16:17], v[84:85]
	v_add_f64_e32 v[4:5], v[12:13], v[4:5]
	v_fma_f64 v[6:7], v[24:25], v[28:29], -v[6:7]
	v_fmac_f64_e32 v[18:19], v[26:27], v[28:29]
	v_mul_f64_e32 v[28:29], v[26:27], v[34:35]
	v_fmac_f64_e32 v[30:31], v[26:27], v[32:33]
	v_mul_f64_e32 v[26:27], v[46:47], v[38:39]
	v_mul_f64_e32 v[34:35], v[44:45], v[42:43]
	v_add_f64_e32 v[12:13], v[162:163], v[76:77]
	s_wait_dscnt 0xa
	v_mul_f64_e32 v[84:85], v[114:115], v[100:101]
	v_fmac_f64_e32 v[68:69], v[54:55], v[90:91]
	s_wait_dscnt 0x7
	v_mul_f64_e32 v[76:77], v[112:113], v[128:129]
	v_add_f64_e32 v[6:7], v[14:15], v[6:7]
	v_add_f64_e32 v[2:3], v[18:19], v[2:3]
	v_fma_f64 v[24:25], v[24:25], v[32:33], -v[28:29]
	v_mul_f64_e32 v[28:29], v[44:45], v[38:39]
	v_mul_f64_e32 v[32:33], v[46:47], v[42:43]
	v_fma_f64 v[26:27], v[44:45], v[36:37], -v[26:27]
	v_fmac_f64_e32 v[34:35], v[46:47], v[40:41]
	v_add_f64_e32 v[10:11], v[30:31], v[10:11]
	v_mul_f64_e32 v[14:15], v[116:117], v[104:105]
	v_mul_f64_e32 v[18:19], v[114:115], v[104:105]
	;; [unrolled: 1-line block ×3, first 2 shown]
	v_fmac_f64_e32 v[84:85], v[116:117], v[98:99]
	v_add_f64_e32 v[0:1], v[0:1], v[24:25]
	v_fmac_f64_e32 v[28:29], v[46:47], v[36:37]
	v_fma_f64 v[32:33], v[44:45], v[40:41], -v[32:33]
	v_mul_f64_e32 v[44:45], v[50:51], v[38:39]
	v_mul_f64_e32 v[38:39], v[48:49], v[38:39]
	v_add_f64_e32 v[46:47], v[82:83], v[158:159]
	v_mul_f64_e32 v[82:83], v[50:51], v[42:43]
	v_mul_f64_e32 v[42:43], v[48:49], v[42:43]
	;; [unrolled: 1-line block ×4, first 2 shown]
	v_fma_f64 v[20:21], v[20:21], v[94:95], -v[70:71]
	v_add_f64_e32 v[12:13], v[34:35], v[12:13]
	v_mul_f64_e32 v[24:25], v[112:113], v[124:125]
	v_mul_f64_e32 v[34:35], v[118:119], v[128:129]
	v_fma_f64 v[14:15], v[114:115], v[102:103], -v[14:15]
	v_fmac_f64_e32 v[18:19], v[116:117], v[102:103]
	v_fmac_f64_e32 v[30:31], v[112:113], v[122:123]
	v_add_f64_e32 v[16:17], v[28:29], v[16:17]
	v_add_f64_e32 v[4:5], v[4:5], v[32:33]
	v_fma_f64 v[44:45], v[48:49], v[36:37], -v[44:45]
	v_fmac_f64_e32 v[38:39], v[50:51], v[36:37]
	v_mul_f64_e32 v[36:37], v[54:55], v[96:97]
	v_fma_f64 v[48:49], v[48:49], v[40:41], -v[82:83]
	v_fmac_f64_e32 v[42:43], v[50:51], v[40:41]
	v_add_f64_e32 v[8:9], v[46:47], v[8:9]
	v_mul_f64_e32 v[40:41], v[108:109], v[100:101]
	v_mul_f64_e32 v[50:51], v[106:107], v[100:101]
	;; [unrolled: 1-line block ×5, first 2 shown]
	v_fmac_f64_e32 v[158:159], v[22:23], v[90:91]
	v_fma_f64 v[22:23], v[52:53], v[90:91], -v[66:67]
	v_fmac_f64_e32 v[92:93], v[54:55], v[94:95]
	v_mul_f64_e32 v[100:101], v[110:111], v[128:129]
	v_mul_f64_e32 v[28:29], v[118:119], v[124:125]
	;; [unrolled: 1-line block ×3, first 2 shown]
	v_add_f64_e32 v[12:13], v[72:73], v[12:13]
	s_wait_dscnt 0x1
	v_mul_f64_e32 v[54:55], v[150:151], v[136:137]
	v_fma_f64 v[24:25], v[110:111], v[122:123], -v[24:25]
	v_fma_f64 v[66:67], v[110:111], v[126:127], -v[76:77]
	v_fmac_f64_e32 v[34:35], v[120:121], v[126:127]
	s_wait_dscnt 0x0
	v_mul_f64_e32 v[72:73], v[154:155], v[148:149]
	v_add_f64_e32 v[4:5], v[4:5], v[20:21]
	v_add_f64_e32 v[6:7], v[6:7], v[44:45]
	v_add_f64_e32 v[2:3], v[38:39], v[2:3]
	v_fma_f64 v[36:37], v[52:53], v[94:95], -v[36:37]
	v_add_f64_e32 v[0:1], v[0:1], v[48:49]
	v_add_f64_e32 v[10:11], v[42:43], v[10:11]
	;; [unrolled: 1-line block ×3, first 2 shown]
	v_mul_f64_e32 v[26:27], v[120:121], v[124:125]
	v_fma_f64 v[40:41], v[106:107], v[98:99], -v[40:41]
	v_fmac_f64_e32 v[50:51], v[108:109], v[98:99]
	v_fma_f64 v[44:45], v[106:107], v[102:103], -v[82:83]
	v_fmac_f64_e32 v[96:97], v[108:109], v[102:103]
	v_fma_f64 v[46:47], v[114:115], v[98:99], -v[46:47]
	v_add_f64_e32 v[16:17], v[158:159], v[16:17]
	v_mul_f64_e32 v[38:39], v[140:141], v[132:133]
	v_mul_f64_e32 v[42:43], v[138:139], v[132:133]
	;; [unrolled: 1-line block ×5, first 2 shown]
	v_fmac_f64_e32 v[100:101], v[112:113], v[126:127]
	v_fmac_f64_e32 v[28:29], v[120:121], v[122:123]
	v_fma_f64 v[32:33], v[118:119], v[126:127], -v[32:33]
	v_fmac_f64_e32 v[54:55], v[152:153], v[134:135]
	v_fmac_f64_e32 v[72:73], v[156:157], v[146:147]
	v_add_f64_e32 v[6:7], v[6:7], v[22:23]
	v_add_f64_e32 v[2:3], v[68:69], v[2:3]
	v_mul_f64_e32 v[22:23], v[138:139], v[136:137]
	v_add_f64_e32 v[0:1], v[0:1], v[36:37]
	v_add_f64_e32 v[10:11], v[92:93], v[10:11]
	;; [unrolled: 1-line block ×3, first 2 shown]
	v_mul_f64_e32 v[36:37], v[152:153], v[132:133]
	v_fma_f64 v[26:27], v[118:119], v[122:123], -v[26:27]
	v_mul_f64_e32 v[68:69], v[156:157], v[148:149]
	v_add_f64_e32 v[4:5], v[4:5], v[44:45]
	v_add_f64_e32 v[12:13], v[96:97], v[12:13]
	v_mul_f64_e32 v[44:45], v[142:143], v[148:149]
	v_add_f64_e32 v[16:17], v[50:51], v[16:17]
	v_fma_f64 v[38:39], v[138:139], v[130:131], -v[38:39]
	v_fmac_f64_e32 v[42:43], v[140:141], v[130:131]
	v_fma_f64 v[20:21], v[138:139], v[134:135], -v[20:21]
	v_fmac_f64_e32 v[48:49], v[152:153], v[130:131]
	v_fma_f64 v[52:53], v[150:151], v[134:135], -v[52:53]
	v_add_f64_e32 v[6:7], v[6:7], v[46:47]
	v_fmac_f64_e32 v[22:23], v[140:141], v[134:135]
	v_add_f64_e32 v[14:15], v[0:1], v[14:15]
	v_add_f64_e32 v[10:11], v[18:19], v[10:11]
	;; [unrolled: 1-line block ×4, first 2 shown]
	ds_load_b128 v[0:3], v86 offset:3840
	v_mul_f64_e32 v[18:19], v[144:145], v[148:149]
	v_fma_f64 v[36:37], v[150:151], v[130:131], -v[36:37]
	v_add_f64_e32 v[4:5], v[4:5], v[66:67]
	v_add_f64_e32 v[12:13], v[100:101], v[12:13]
	;; [unrolled: 1-line block ×3, first 2 shown]
	v_fmac_f64_e32 v[44:45], v[144:145], v[146:147]
	s_wait_dscnt 0x0
	s_barrier_signal -1
	s_barrier_wait -1
	v_mul_f64_e32 v[46:47], v[144:145], v[2:3]
	v_mul_f64_e32 v[50:51], v[142:143], v[2:3]
	;; [unrolled: 1-line block ×4, first 2 shown]
	v_add_f64_e32 v[6:7], v[6:7], v[26:27]
	v_add_f64_e32 v[14:15], v[14:15], v[32:33]
	;; [unrolled: 1-line block ×5, first 2 shown]
	v_fma_f64 v[28:29], v[154:155], v[146:147], -v[68:69]
	v_fma_f64 v[18:19], v[142:143], v[146:147], -v[18:19]
	v_add_f64_e32 v[4:5], v[4:5], v[20:21]
	v_add_f64_e32 v[12:13], v[22:23], v[12:13]
	v_fma_f64 v[26:27], v[142:143], v[0:1], -v[46:47]
	v_fmac_f64_e32 v[50:51], v[144:145], v[0:1]
	v_fma_f64 v[30:31], v[154:155], v[0:1], -v[70:71]
	v_fmac_f64_e32 v[2:3], v[156:157], v[0:1]
	v_add_f64_e32 v[6:7], v[6:7], v[36:37]
	v_add_f64_e32 v[14:15], v[14:15], v[52:53]
	v_add_f64_e32 v[10:11], v[54:55], v[10:11]
	v_add_f64_e32 v[0:1], v[8:9], v[38:39]
	v_add_f64_e32 v[8:9], v[42:43], v[16:17]
	v_add_f64_e32 v[16:17], v[48:49], v[24:25]
	v_add_f64_e32 v[74:75], v[4:5], v[26:27]
	v_add_f64_e32 v[76:77], v[50:51], v[12:13]
	v_add_f64_e32 v[70:71], v[6:7], v[28:29]
	v_add_f64_e32 v[66:67], v[14:15], v[30:31]
	v_add_f64_e32 v[68:69], v[2:3], v[10:11]
	v_add_f64_e32 v[82:83], v[0:1], v[18:19]
	v_add_f64_e32 v[84:85], v[44:45], v[8:9]
	v_add_f64_e32 v[72:73], v[72:73], v[16:17]
	s_cbranch_vccnz .LBB538_5
	s_branch .LBB538_7
.LBB538_6:                              ;   in Loop: Header=BB538_3 Depth=1
	v_mov_b64_e32 v[82:83], 0
	v_mov_b64_e32 v[84:85], 0
	;; [unrolled: 1-line block ×8, first 2 shown]
.LBB538_7:                              ;   in Loop: Header=BB538_3 Depth=1
	s_wait_kmcnt 0x0
	s_mul_u64 s[16:17], s[18:19], s[2:3]
	s_and_not1_b32 vcc_lo, exec_lo, s1
	s_lshl_b64 s[16:17], s[16:17], 4
	s_mov_b32 s25, -1
	s_add_nc_u64 s[16:17], s[48:49], s[16:17]
                                        ; implicit-def: $vgpr0_vgpr1
                                        ; implicit-def: $vgpr2_vgpr3
	s_cbranch_vccz .LBB538_9
; %bb.8:                                ;   in Loop: Header=BB538_3 Depth=1
	s_and_not1_b32 vcc_lo, exec_lo, s25
	s_cbranch_vccnz .LBB538_2
	s_branch .LBB538_10
.LBB538_9:                              ;   in Loop: Header=BB538_3 Depth=1
	s_wait_xcnt 0x0
	s_delay_alu instid0(VALU_DEP_2) | instskip(SKIP_1) | instid1(VALU_DEP_3)
	v_mul_f64_e32 v[2:3], s[8:9], v[84:85]
	v_mul_f64_e32 v[6:7], s[6:7], v[84:85]
	;; [unrolled: 1-line block ×8, first 2 shown]
	v_lshlrev_b64_e32 v[18:19], 4, v[58:59]
	v_fma_f64 v[4:5], s[6:7], v[82:83], -v[2:3]
	v_fmac_f64_e32 v[6:7], s[8:9], v[82:83]
	v_fmac_f64_e32 v[0:1], s[8:9], v[66:67]
	v_fma_f64 v[8:9], s[6:7], v[74:75], -v[8:9]
	v_fmac_f64_e32 v[10:11], s[8:9], v[74:75]
	v_fma_f64 v[12:13], s[6:7], v[70:71], -v[12:13]
	;; [unrolled: 2-line block ×3, first 2 shown]
	v_lshl_add_u64 v[2:3], v[56:57], 4, s[16:17]
	s_delay_alu instid0(VALU_DEP_1) | instskip(NEXT) | instid1(VALU_DEP_1)
	v_lshl_add_u64 v[20:21], s[20:21], 4, v[2:3]
	v_add_nc_u64_e32 v[20:21], v[20:21], v[18:19]
	v_add_nc_u64_e32 v[18:19], v[2:3], v[18:19]
	s_clause 0x3
	global_store_b128 v[18:19], v[4:7], off
	global_store_b128 v[18:19], v[8:11], off offset:256
	global_store_b128 v[20:21], v[12:15], off
	global_store_b64 v[20:21], v[16:17], off offset:256
	v_add_nc_u64_e32 v[2:3], 0x100, v[20:21]
	s_cbranch_execnz .LBB538_2
.LBB538_10:                             ;   in Loop: Header=BB538_3 Depth=1
	s_mul_u64 s[26:27], s[46:47], s[2:3]
	s_wait_xcnt 0x1
	v_lshlrev_b64_e32 v[4:5], 4, v[58:59]
	v_lshl_add_u64 v[6:7], s[26:27], 4, v[60:61]
	s_wait_xcnt 0x2
	s_delay_alu instid0(VALU_DEP_4) | instskip(SKIP_2) | instid1(VALU_DEP_4)
	v_mul_f64_e32 v[10:11], s[8:9], v[84:85]
	s_wait_xcnt 0x1
	v_mul_f64_e32 v[12:13], s[6:7], v[84:85]
	v_add_nc_u64_e32 v[8:9], v[6:7], v[4:5]
	v_lshl_add_u64 v[6:7], s[22:23], 4, v[6:7]
	s_delay_alu instid0(VALU_DEP_1)
	v_add_nc_u64_e32 v[6:7], v[6:7], v[4:5]
	global_load_b128 v[0:3], v[8:9], off
	v_fma_f64 v[10:11], s[6:7], v[82:83], -v[10:11]
	v_fmac_f64_e32 v[12:13], s[8:9], v[82:83]
	s_wait_loadcnt 0x0
	v_mul_f64_e32 v[14:15], s[40:41], v[2:3]
	v_mul_f64_e32 v[2:3], s[38:39], v[2:3]
	s_delay_alu instid0(VALU_DEP_2) | instskip(NEXT) | instid1(VALU_DEP_2)
	v_fma_f64 v[14:15], s[38:39], v[0:1], -v[14:15]
	v_fmac_f64_e32 v[2:3], s[40:41], v[0:1]
	s_delay_alu instid0(VALU_DEP_2) | instskip(NEXT) | instid1(VALU_DEP_2)
	v_add_f64_e32 v[0:1], v[10:11], v[14:15]
	v_add_f64_e32 v[2:3], v[12:13], v[2:3]
	v_lshl_add_u64 v[10:11], v[56:57], 4, s[16:17]
	v_mul_f64_e32 v[14:15], s[6:7], v[76:77]
	s_delay_alu instid0(VALU_DEP_2)
	v_add_nc_u64_e32 v[12:13], v[10:11], v[4:5]
	global_store_b128 v[12:13], v[0:3], off
	global_load_b128 v[0:3], v[8:9], off offset:256
	s_wait_xcnt 0x0
	v_mul_f64_e32 v[8:9], s[8:9], v[76:77]
	v_fmac_f64_e32 v[14:15], s[8:9], v[74:75]
	s_delay_alu instid0(VALU_DEP_2) | instskip(SKIP_3) | instid1(VALU_DEP_2)
	v_fma_f64 v[8:9], s[6:7], v[74:75], -v[8:9]
	s_wait_loadcnt 0x0
	v_mul_f64_e32 v[16:17], s[40:41], v[2:3]
	v_mul_f64_e32 v[2:3], s[38:39], v[2:3]
	v_fma_f64 v[16:17], s[38:39], v[0:1], -v[16:17]
	s_delay_alu instid0(VALU_DEP_2) | instskip(NEXT) | instid1(VALU_DEP_2)
	v_fmac_f64_e32 v[2:3], s[40:41], v[0:1]
	v_add_f64_e32 v[0:1], v[8:9], v[16:17]
	s_delay_alu instid0(VALU_DEP_2)
	v_add_f64_e32 v[2:3], v[14:15], v[2:3]
	v_mul_f64_e32 v[8:9], s[8:9], v[72:73]
	global_store_b128 v[12:13], v[0:3], off offset:256
	global_load_b128 v[0:3], v[6:7], off
	v_mul_f64_e32 v[12:13], s[6:7], v[72:73]
	v_fma_f64 v[8:9], s[6:7], v[70:71], -v[8:9]
	s_delay_alu instid0(VALU_DEP_2) | instskip(SKIP_3) | instid1(VALU_DEP_2)
	v_fmac_f64_e32 v[12:13], s[8:9], v[70:71]
	s_wait_loadcnt 0x0
	v_mul_f64_e32 v[14:15], s[40:41], v[2:3]
	v_mul_f64_e32 v[2:3], s[38:39], v[2:3]
	v_fma_f64 v[14:15], s[38:39], v[0:1], -v[14:15]
	s_delay_alu instid0(VALU_DEP_2) | instskip(NEXT) | instid1(VALU_DEP_2)
	v_fmac_f64_e32 v[2:3], s[40:41], v[0:1]
	v_add_f64_e32 v[0:1], v[8:9], v[14:15]
	s_delay_alu instid0(VALU_DEP_2) | instskip(SKIP_1) | instid1(VALU_DEP_1)
	v_add_f64_e32 v[2:3], v[12:13], v[2:3]
	v_lshl_add_u64 v[8:9], s[20:21], 4, v[10:11]
	v_add_nc_u64_e32 v[4:5], v[8:9], v[4:5]
	v_mul_f64_e32 v[8:9], s[6:7], v[68:69]
	global_store_b128 v[4:5], v[0:3], off
	global_load_b128 v[0:3], v[6:7], off offset:256
	s_wait_xcnt 0x0
	v_mul_f64_e32 v[6:7], s[8:9], v[68:69]
	v_fmac_f64_e32 v[8:9], s[8:9], v[66:67]
	s_delay_alu instid0(VALU_DEP_2) | instskip(SKIP_3) | instid1(VALU_DEP_2)
	v_fma_f64 v[6:7], s[6:7], v[66:67], -v[6:7]
	s_wait_loadcnt 0x0
	v_mul_f64_e32 v[10:11], s[40:41], v[2:3]
	v_mul_f64_e32 v[2:3], s[38:39], v[2:3]
	v_fma_f64 v[10:11], s[38:39], v[0:1], -v[10:11]
	s_delay_alu instid0(VALU_DEP_2) | instskip(NEXT) | instid1(VALU_DEP_2)
	v_fmac_f64_e32 v[2:3], s[40:41], v[0:1]
	v_add_f64_e32 v[6:7], v[6:7], v[10:11]
	s_delay_alu instid0(VALU_DEP_2)
	v_add_f64_e32 v[0:1], v[8:9], v[2:3]
	v_add_nc_u64_e32 v[2:3], 0x100, v[4:5]
	global_store_b64 v[4:5], v[6:7], off offset:256
	s_branch .LBB538_2
.LBB538_11:
	s_sendmsg sendmsg(MSG_DEALLOC_VGPRS)
	s_endpgm
	.section	.rodata,"a",@progbits
	.p2align	6, 0x0
	.amdhsa_kernel _ZN12_GLOBAL__N_127rocblas_gemm_batched_kernelI19rocblas_complex_numIdELi16ELi16ELi32ELi32ELi8ELi32ELi8ELi8ELi32ELc78ELc78EKS2_S3_S2_EEvlllT_PT11_llS6_llS4_PT12_llPT13_lli
		.amdhsa_group_segment_fixed_size 8192
		.amdhsa_private_segment_fixed_size 0
		.amdhsa_kernarg_size 156
		.amdhsa_user_sgpr_count 2
		.amdhsa_user_sgpr_dispatch_ptr 0
		.amdhsa_user_sgpr_queue_ptr 0
		.amdhsa_user_sgpr_kernarg_segment_ptr 1
		.amdhsa_user_sgpr_dispatch_id 0
		.amdhsa_user_sgpr_kernarg_preload_length 0
		.amdhsa_user_sgpr_kernarg_preload_offset 0
		.amdhsa_user_sgpr_private_segment_size 0
		.amdhsa_wavefront_size32 1
		.amdhsa_uses_dynamic_stack 0
		.amdhsa_enable_private_segment 0
		.amdhsa_system_sgpr_workgroup_id_x 1
		.amdhsa_system_sgpr_workgroup_id_y 1
		.amdhsa_system_sgpr_workgroup_id_z 1
		.amdhsa_system_sgpr_workgroup_info 0
		.amdhsa_system_vgpr_workitem_id 1
		.amdhsa_next_free_vgpr 166
		.amdhsa_next_free_sgpr 52
		.amdhsa_named_barrier_count 0
		.amdhsa_reserve_vcc 1
		.amdhsa_float_round_mode_32 0
		.amdhsa_float_round_mode_16_64 0
		.amdhsa_float_denorm_mode_32 3
		.amdhsa_float_denorm_mode_16_64 3
		.amdhsa_fp16_overflow 0
		.amdhsa_memory_ordered 1
		.amdhsa_forward_progress 1
		.amdhsa_inst_pref_size 21
		.amdhsa_round_robin_scheduling 0
		.amdhsa_exception_fp_ieee_invalid_op 0
		.amdhsa_exception_fp_denorm_src 0
		.amdhsa_exception_fp_ieee_div_zero 0
		.amdhsa_exception_fp_ieee_overflow 0
		.amdhsa_exception_fp_ieee_underflow 0
		.amdhsa_exception_fp_ieee_inexact 0
		.amdhsa_exception_int_div_zero 0
	.end_amdhsa_kernel
	.section	.text._ZN12_GLOBAL__N_127rocblas_gemm_batched_kernelI19rocblas_complex_numIdELi16ELi16ELi32ELi32ELi8ELi32ELi8ELi8ELi32ELc78ELc78EKS2_S3_S2_EEvlllT_PT11_llS6_llS4_PT12_llPT13_lli,"axG",@progbits,_ZN12_GLOBAL__N_127rocblas_gemm_batched_kernelI19rocblas_complex_numIdELi16ELi16ELi32ELi32ELi8ELi32ELi8ELi8ELi32ELc78ELc78EKS2_S3_S2_EEvlllT_PT11_llS6_llS4_PT12_llPT13_lli,comdat
.Lfunc_end538:
	.size	_ZN12_GLOBAL__N_127rocblas_gemm_batched_kernelI19rocblas_complex_numIdELi16ELi16ELi32ELi32ELi8ELi32ELi8ELi8ELi32ELc78ELc78EKS2_S3_S2_EEvlllT_PT11_llS6_llS4_PT12_llPT13_lli, .Lfunc_end538-_ZN12_GLOBAL__N_127rocblas_gemm_batched_kernelI19rocblas_complex_numIdELi16ELi16ELi32ELi32ELi8ELi32ELi8ELi8ELi32ELc78ELc78EKS2_S3_S2_EEvlllT_PT11_llS6_llS4_PT12_llPT13_lli
                                        ; -- End function
	.set _ZN12_GLOBAL__N_127rocblas_gemm_batched_kernelI19rocblas_complex_numIdELi16ELi16ELi32ELi32ELi8ELi32ELi8ELi8ELi32ELc78ELc78EKS2_S3_S2_EEvlllT_PT11_llS6_llS4_PT12_llPT13_lli.num_vgpr, 166
	.set _ZN12_GLOBAL__N_127rocblas_gemm_batched_kernelI19rocblas_complex_numIdELi16ELi16ELi32ELi32ELi8ELi32ELi8ELi8ELi32ELc78ELc78EKS2_S3_S2_EEvlllT_PT11_llS6_llS4_PT12_llPT13_lli.num_agpr, 0
	.set _ZN12_GLOBAL__N_127rocblas_gemm_batched_kernelI19rocblas_complex_numIdELi16ELi16ELi32ELi32ELi8ELi32ELi8ELi8ELi32ELc78ELc78EKS2_S3_S2_EEvlllT_PT11_llS6_llS4_PT12_llPT13_lli.numbered_sgpr, 52
	.set _ZN12_GLOBAL__N_127rocblas_gemm_batched_kernelI19rocblas_complex_numIdELi16ELi16ELi32ELi32ELi8ELi32ELi8ELi8ELi32ELc78ELc78EKS2_S3_S2_EEvlllT_PT11_llS6_llS4_PT12_llPT13_lli.num_named_barrier, 0
	.set _ZN12_GLOBAL__N_127rocblas_gemm_batched_kernelI19rocblas_complex_numIdELi16ELi16ELi32ELi32ELi8ELi32ELi8ELi8ELi32ELc78ELc78EKS2_S3_S2_EEvlllT_PT11_llS6_llS4_PT12_llPT13_lli.private_seg_size, 0
	.set _ZN12_GLOBAL__N_127rocblas_gemm_batched_kernelI19rocblas_complex_numIdELi16ELi16ELi32ELi32ELi8ELi32ELi8ELi8ELi32ELc78ELc78EKS2_S3_S2_EEvlllT_PT11_llS6_llS4_PT12_llPT13_lli.uses_vcc, 1
	.set _ZN12_GLOBAL__N_127rocblas_gemm_batched_kernelI19rocblas_complex_numIdELi16ELi16ELi32ELi32ELi8ELi32ELi8ELi8ELi32ELc78ELc78EKS2_S3_S2_EEvlllT_PT11_llS6_llS4_PT12_llPT13_lli.uses_flat_scratch, 0
	.set _ZN12_GLOBAL__N_127rocblas_gemm_batched_kernelI19rocblas_complex_numIdELi16ELi16ELi32ELi32ELi8ELi32ELi8ELi8ELi32ELc78ELc78EKS2_S3_S2_EEvlllT_PT11_llS6_llS4_PT12_llPT13_lli.has_dyn_sized_stack, 0
	.set _ZN12_GLOBAL__N_127rocblas_gemm_batched_kernelI19rocblas_complex_numIdELi16ELi16ELi32ELi32ELi8ELi32ELi8ELi8ELi32ELc78ELc78EKS2_S3_S2_EEvlllT_PT11_llS6_llS4_PT12_llPT13_lli.has_recursion, 0
	.set _ZN12_GLOBAL__N_127rocblas_gemm_batched_kernelI19rocblas_complex_numIdELi16ELi16ELi32ELi32ELi8ELi32ELi8ELi8ELi32ELc78ELc78EKS2_S3_S2_EEvlllT_PT11_llS6_llS4_PT12_llPT13_lli.has_indirect_call, 0
	.section	.AMDGPU.csdata,"",@progbits
; Kernel info:
; codeLenInByte = 2588
; TotalNumSgprs: 54
; NumVgprs: 166
; ScratchSize: 0
; MemoryBound: 0
; FloatMode: 240
; IeeeMode: 1
; LDSByteSize: 8192 bytes/workgroup (compile time only)
; SGPRBlocks: 0
; VGPRBlocks: 10
; NumSGPRsForWavesPerEU: 54
; NumVGPRsForWavesPerEU: 166
; NamedBarCnt: 0
; Occupancy: 5
; WaveLimiterHint : 1
; COMPUTE_PGM_RSRC2:SCRATCH_EN: 0
; COMPUTE_PGM_RSRC2:USER_SGPR: 2
; COMPUTE_PGM_RSRC2:TRAP_HANDLER: 0
; COMPUTE_PGM_RSRC2:TGID_X_EN: 1
; COMPUTE_PGM_RSRC2:TGID_Y_EN: 1
; COMPUTE_PGM_RSRC2:TGID_Z_EN: 1
; COMPUTE_PGM_RSRC2:TIDIG_COMP_CNT: 1
	.section	.text._ZN12_GLOBAL__N_127rocblas_gemm_batched_kernelI19rocblas_complex_numIdELi16ELi16ELi32ELi32ELi8ELi32ELi8ELi8ELi32ELc84ELc78EKS2_S3_S2_EEvlllT_PT11_llS6_llS4_PT12_llPT13_lli,"axG",@progbits,_ZN12_GLOBAL__N_127rocblas_gemm_batched_kernelI19rocblas_complex_numIdELi16ELi16ELi32ELi32ELi8ELi32ELi8ELi8ELi32ELc84ELc78EKS2_S3_S2_EEvlllT_PT11_llS6_llS4_PT12_llPT13_lli,comdat
	.globl	_ZN12_GLOBAL__N_127rocblas_gemm_batched_kernelI19rocblas_complex_numIdELi16ELi16ELi32ELi32ELi8ELi32ELi8ELi8ELi32ELc84ELc78EKS2_S3_S2_EEvlllT_PT11_llS6_llS4_PT12_llPT13_lli ; -- Begin function _ZN12_GLOBAL__N_127rocblas_gemm_batched_kernelI19rocblas_complex_numIdELi16ELi16ELi32ELi32ELi8ELi32ELi8ELi8ELi32ELc84ELc78EKS2_S3_S2_EEvlllT_PT11_llS6_llS4_PT12_llPT13_lli
	.p2align	8
	.type	_ZN12_GLOBAL__N_127rocblas_gemm_batched_kernelI19rocblas_complex_numIdELi16ELi16ELi32ELi32ELi8ELi32ELi8ELi8ELi32ELc84ELc78EKS2_S3_S2_EEvlllT_PT11_llS6_llS4_PT12_llPT13_lli,@function
_ZN12_GLOBAL__N_127rocblas_gemm_batched_kernelI19rocblas_complex_numIdELi16ELi16ELi32ELi32ELi8ELi32ELi8ELi8ELi32ELc84ELc78EKS2_S3_S2_EEvlllT_PT11_llS6_llS4_PT12_llPT13_lli: ; @_ZN12_GLOBAL__N_127rocblas_gemm_batched_kernelI19rocblas_complex_numIdELi16ELi16ELi32ELi32ELi8ELi32ELi8ELi8ELi32ELc84ELc78EKS2_S3_S2_EEvlllT_PT11_llS6_llS4_PT12_llPT13_lli
; %bb.0:
	s_load_b32 s22, s[0:1], 0x98
	s_bfe_u32 s2, ttmp6, 0x40014
	s_lshr_b32 s3, ttmp7, 16
	s_add_co_i32 s2, s2, 1
	s_bfe_u32 s4, ttmp6, 0x40008
	s_mul_i32 s2, s3, s2
	s_getreg_b32 s20, hwreg(HW_REG_IB_STS2, 6, 4)
	s_add_co_i32 s4, s4, s2
	s_cmp_eq_u32 s20, 0
	s_cselect_b32 s2, s3, s4
	s_mov_b32 s3, 0
	s_wait_kmcnt 0x0
	s_cmp_ge_i32 s2, s22
	s_cbranch_scc1 .LBB539_11
; %bb.1:
	v_bfe_u32 v2, v0, 10, 10
	v_and_b32_e32 v4, 0x3ff, v0
	s_bfe_u32 s21, ttmp6, 0x4000c
	s_bfe_u32 s24, ttmp6, 0x40010
	s_clause 0x1
	s_load_b512 s[4:19], s[0:1], 0x10
	s_load_b512 s[36:51], s[0:1], 0x50
	s_add_co_i32 s21, s21, 1
	s_and_b32 s25, ttmp7, 0xffff
	s_add_co_i32 s24, s24, 1
	v_lshl_add_u32 v1, v2, 4, v4
	v_mov_b32_e32 v3, 0
	s_and_b32 s23, ttmp6, 15
	s_mul_i32 s21, ttmp9, s21
	s_mul_i32 s24, s25, s24
	s_bfe_u32 s26, ttmp6, 0x40004
	s_add_co_i32 s23, s23, s21
	s_add_co_i32 s26, s26, s24
	s_cmp_eq_u32 s20, 0
	v_dual_lshrrev_b32 v6, 3, v1 :: v_dual_bitop2_b32 v16, 31, v1 bitop3:0x40
	v_mov_b32_e32 v7, v3
	s_cselect_b32 s20, ttmp9, s23
	s_cselect_b32 s23, s25, s26
	s_ashr_i32 s21, s20, 31
	s_lshl_b32 s24, s23, 5
	s_mov_b32 s25, s3
	s_lshl_b64 s[20:21], s[20:21], 5
	v_add_nc_u64_e32 v[8:9], s[24:25], v[6:7]
	v_dual_mov_b32 v11, s21 :: v_dual_bitop2_b32 v10, s20, v16 bitop3:0x54
	v_add_nc_u64_e32 v[12:13], s[24:25], v[2:3]
	s_wait_kmcnt 0x0
	v_cmp_eq_f64_e64 s23, s[38:39], 0
	v_cmp_eq_f64_e64 s26, s[40:41], 0
	v_dual_mov_b32 v5, v3 :: v_dual_lshlrev_b32 v0, 4, v0
	v_mul_u64_e32 v[10:11], s[12:13], v[10:11]
	v_mul_u64_e32 v[8:9], s[18:19], v[8:9]
	;; [unrolled: 1-line block ×4, first 2 shown]
	v_dual_lshlrev_b32 v86, 4, v4 :: v_dual_lshrrev_b32 v7, 5, v1
	s_load_b64 s[12:13], s[0:1], 0x90
	v_and_b32_e32 v0, 0x70, v0
	v_dual_mov_b32 v1, v3 :: v_dual_lshlrev_b32 v12, 4, v16
	v_lshl_add_u32 v87, v2, 7, 0x1000
	v_lshlrev_b32_e32 v2, 4, v7
	s_wait_xcnt 0x0
	v_cmp_gt_i64_e64 s0, s[4:5], 0
	v_lshl_or_b32 v6, v6, 7, v0
	v_add_nc_u64_e32 v[58:59], s[20:21], v[4:5]
	v_lshl_or_b32 v88, v7, 9, v12
	s_lshl_b64 s[18:19], s[50:51], 4
	s_lshl_b64 s[14:15], s[14:15], 4
	v_add_nc_u32_e32 v89, 0x1000, v6
	v_cndmask_b32_e64 v4, 0, 1, s0
	s_delay_alu instid0(VALU_DEP_1) | instskip(SKIP_4) | instid1(VALU_DEP_3)
	v_cmp_ne_u32_e64 s0, 1, v4
	s_and_b32 s1, s23, s26
	v_lshl_add_u64 v[2:3], v[10:11], 4, v[2:3]
	v_lshl_add_u64 v[0:1], v[8:9], 4, v[0:1]
	;; [unrolled: 1-line block ×3, first 2 shown]
	v_add_nc_u64_e32 v[60:61], s[10:11], v[2:3]
	s_delay_alu instid0(VALU_DEP_3)
	v_add_nc_u64_e32 v[62:63], s[16:17], v[0:1]
	s_lshl_b64 s[10:11], s[44:45], 4
	s_lshl_b64 s[16:17], s[36:37], 4
	s_branch .LBB539_3
.LBB539_2:                              ;   in Loop: Header=BB539_3 Depth=1
	s_add_co_i32 s2, s2, 0x10000
	global_store_b64 v[2:3], v[0:1], off offset:8
	s_cmp_lt_i32 s2, s22
	s_cbranch_scc0 .LBB539_11
.LBB539_3:                              ; =>This Loop Header: Depth=1
                                        ;     Child Loop BB539_5 Depth 2
	s_and_b32 vcc_lo, exec_lo, s0
	s_cbranch_vccnz .LBB539_6
; %bb.4:                                ;   in Loop: Header=BB539_3 Depth=1
	v_mad_nc_u64_u32 v[78:79], s14, s2, v[60:61]
	v_mad_nc_u64_u32 v[80:81], s16, s2, v[62:63]
	v_mov_b64_e32 v[68:69], 0
	v_mov_b64_e32 v[66:67], 0
	;; [unrolled: 1-line block ×8, first 2 shown]
	s_mov_b64 s[20:21], 0
	v_mad_u32 v79, s15, s2, v79
	v_mad_u32 v81, s17, s2, v81
.LBB539_5:                              ;   Parent Loop BB539_3 Depth=1
                                        ; =>  This Inner Loop Header: Depth=2
	global_load_b128 v[0:3], v[78:79], off
	global_load_b128 v[4:7], v[80:81], off
	s_add_nc_u64 s[20:21], s[20:21], 8
	s_wait_xcnt 0x1
	v_add_nc_u64_e32 v[78:79], 0x80, v[78:79]
	v_cmp_lt_i64_e64 s23, s[20:21], s[4:5]
	s_wait_xcnt 0x0
	v_add_nc_u64_e32 v[80:81], 0x80, v[80:81]
	s_wait_loadcnt 0x1
	ds_store_2addr_b64 v88, v[0:1], v[2:3] offset1:1
	s_wait_loadcnt 0x0
	ds_store_2addr_b64 v89, v[4:5], v[6:7] offset1:1
	s_wait_dscnt 0x0
	s_barrier_signal -1
	s_barrier_wait -1
	ds_load_b128 v[0:3], v86
	ds_load_b128 v[8:11], v86 offset:256
	ds_load_b128 v[12:15], v87
	ds_load_b128 v[4:7], v87 offset:16
	ds_load_b128 v[16:19], v87 offset:2048
	;; [unrolled: 1-line block ×28, first 2 shown]
	s_wait_dscnt 0x1c
	v_mul_f64_e32 v[160:161], v[12:13], v[2:3]
	v_mul_f64_e32 v[164:165], v[12:13], v[10:11]
	;; [unrolled: 1-line block ×4, first 2 shown]
	s_and_b32 vcc_lo, exec_lo, s23
	s_delay_alu instid0(VALU_DEP_4) | instskip(NEXT) | instid1(VALU_DEP_4)
	v_fmac_f64_e32 v[160:161], v[14:15], v[0:1]
	v_fmac_f64_e32 v[164:165], v[14:15], v[8:9]
	s_wait_dscnt 0x1a
	v_mul_f64_e32 v[14:15], v[18:19], v[2:3]
	v_mul_f64_e32 v[2:3], v[16:17], v[2:3]
	v_fma_f64 v[158:159], v[12:13], v[0:1], -v[158:159]
	v_fma_f64 v[12:13], v[12:13], v[8:9], -v[162:163]
	s_wait_dscnt 0x17
	v_mul_f64_e32 v[162:163], v[4:5], v[34:35]
	v_add_f64_e32 v[84:85], v[160:161], v[84:85]
	v_add_f64_e32 v[76:77], v[164:165], v[76:77]
	v_fma_f64 v[14:15], v[16:17], v[0:1], -v[14:15]
	v_fmac_f64_e32 v[2:3], v[18:19], v[0:1]
	v_mul_f64_e32 v[0:1], v[18:19], v[10:11]
	v_mul_f64_e32 v[10:11], v[16:17], v[10:11]
	v_fmac_f64_e32 v[162:163], v[6:7], v[32:33]
	v_add_f64_e32 v[12:13], v[74:75], v[12:13]
	s_wait_dscnt 0x10
	v_mul_f64_e32 v[74:75], v[22:23], v[92:93]
	v_add_f64_e32 v[14:15], v[70:71], v[14:15]
	v_add_f64_e32 v[2:3], v[2:3], v[72:73]
	v_fma_f64 v[0:1], v[16:17], v[8:9], -v[0:1]
	v_fmac_f64_e32 v[10:11], v[18:19], v[8:9]
	v_mul_f64_e32 v[8:9], v[6:7], v[30:31]
	v_mul_f64_e32 v[16:17], v[4:5], v[30:31]
	;; [unrolled: 1-line block ×3, first 2 shown]
	s_wait_dscnt 0xf
	v_mul_f64_e32 v[70:71], v[22:23], v[96:97]
	v_mul_f64_e32 v[72:73], v[20:21], v[96:97]
	v_fma_f64 v[74:75], v[20:21], v[90:91], -v[74:75]
	v_add_f64_e32 v[0:1], v[66:67], v[0:1]
	v_add_f64_e32 v[10:11], v[10:11], v[68:69]
	v_fma_f64 v[8:9], v[4:5], v[28:29], -v[8:9]
	v_fmac_f64_e32 v[16:17], v[6:7], v[28:29]
	v_fma_f64 v[4:5], v[4:5], v[32:33], -v[18:19]
	v_mul_f64_e32 v[6:7], v[26:27], v[30:31]
	v_mul_f64_e32 v[18:19], v[24:25], v[30:31]
	;; [unrolled: 1-line block ×5, first 2 shown]
	v_fmac_f64_e32 v[72:73], v[22:23], v[94:95]
	v_add_f64_e32 v[16:17], v[16:17], v[84:85]
	v_add_f64_e32 v[4:5], v[12:13], v[4:5]
	v_fma_f64 v[6:7], v[24:25], v[28:29], -v[6:7]
	v_fmac_f64_e32 v[18:19], v[26:27], v[28:29]
	v_mul_f64_e32 v[28:29], v[26:27], v[34:35]
	v_fmac_f64_e32 v[30:31], v[26:27], v[32:33]
	v_mul_f64_e32 v[26:27], v[46:47], v[38:39]
	v_mul_f64_e32 v[34:35], v[44:45], v[42:43]
	v_add_f64_e32 v[12:13], v[162:163], v[76:77]
	s_wait_dscnt 0xa
	v_mul_f64_e32 v[84:85], v[114:115], v[100:101]
	v_fmac_f64_e32 v[68:69], v[54:55], v[90:91]
	s_wait_dscnt 0x7
	v_mul_f64_e32 v[76:77], v[112:113], v[128:129]
	v_add_f64_e32 v[6:7], v[14:15], v[6:7]
	v_add_f64_e32 v[2:3], v[18:19], v[2:3]
	v_fma_f64 v[24:25], v[24:25], v[32:33], -v[28:29]
	v_mul_f64_e32 v[28:29], v[44:45], v[38:39]
	v_mul_f64_e32 v[32:33], v[46:47], v[42:43]
	v_fma_f64 v[26:27], v[44:45], v[36:37], -v[26:27]
	v_fmac_f64_e32 v[34:35], v[46:47], v[40:41]
	v_add_f64_e32 v[10:11], v[30:31], v[10:11]
	v_mul_f64_e32 v[14:15], v[116:117], v[104:105]
	v_mul_f64_e32 v[18:19], v[114:115], v[104:105]
	;; [unrolled: 1-line block ×3, first 2 shown]
	v_fmac_f64_e32 v[84:85], v[116:117], v[98:99]
	v_add_f64_e32 v[0:1], v[0:1], v[24:25]
	v_fmac_f64_e32 v[28:29], v[46:47], v[36:37]
	v_fma_f64 v[32:33], v[44:45], v[40:41], -v[32:33]
	v_mul_f64_e32 v[44:45], v[50:51], v[38:39]
	v_mul_f64_e32 v[38:39], v[48:49], v[38:39]
	v_add_f64_e32 v[46:47], v[82:83], v[158:159]
	v_mul_f64_e32 v[82:83], v[50:51], v[42:43]
	v_mul_f64_e32 v[42:43], v[48:49], v[42:43]
	;; [unrolled: 1-line block ×4, first 2 shown]
	v_fma_f64 v[20:21], v[20:21], v[94:95], -v[70:71]
	v_add_f64_e32 v[12:13], v[34:35], v[12:13]
	v_mul_f64_e32 v[24:25], v[112:113], v[124:125]
	v_mul_f64_e32 v[34:35], v[118:119], v[128:129]
	v_fma_f64 v[14:15], v[114:115], v[102:103], -v[14:15]
	v_fmac_f64_e32 v[18:19], v[116:117], v[102:103]
	v_fmac_f64_e32 v[30:31], v[112:113], v[122:123]
	v_add_f64_e32 v[16:17], v[28:29], v[16:17]
	v_add_f64_e32 v[4:5], v[4:5], v[32:33]
	v_fma_f64 v[44:45], v[48:49], v[36:37], -v[44:45]
	v_fmac_f64_e32 v[38:39], v[50:51], v[36:37]
	v_mul_f64_e32 v[36:37], v[54:55], v[96:97]
	v_fma_f64 v[48:49], v[48:49], v[40:41], -v[82:83]
	v_fmac_f64_e32 v[42:43], v[50:51], v[40:41]
	v_add_f64_e32 v[8:9], v[46:47], v[8:9]
	v_mul_f64_e32 v[40:41], v[108:109], v[100:101]
	v_mul_f64_e32 v[50:51], v[106:107], v[100:101]
	;; [unrolled: 1-line block ×5, first 2 shown]
	v_fmac_f64_e32 v[158:159], v[22:23], v[90:91]
	v_fma_f64 v[22:23], v[52:53], v[90:91], -v[66:67]
	v_fmac_f64_e32 v[92:93], v[54:55], v[94:95]
	v_mul_f64_e32 v[100:101], v[110:111], v[128:129]
	v_mul_f64_e32 v[28:29], v[118:119], v[124:125]
	;; [unrolled: 1-line block ×3, first 2 shown]
	v_add_f64_e32 v[12:13], v[72:73], v[12:13]
	s_wait_dscnt 0x1
	v_mul_f64_e32 v[54:55], v[150:151], v[136:137]
	v_fma_f64 v[24:25], v[110:111], v[122:123], -v[24:25]
	v_fma_f64 v[66:67], v[110:111], v[126:127], -v[76:77]
	v_fmac_f64_e32 v[34:35], v[120:121], v[126:127]
	s_wait_dscnt 0x0
	v_mul_f64_e32 v[72:73], v[154:155], v[148:149]
	v_add_f64_e32 v[4:5], v[4:5], v[20:21]
	v_add_f64_e32 v[6:7], v[6:7], v[44:45]
	;; [unrolled: 1-line block ×3, first 2 shown]
	v_fma_f64 v[36:37], v[52:53], v[94:95], -v[36:37]
	v_add_f64_e32 v[0:1], v[0:1], v[48:49]
	v_add_f64_e32 v[10:11], v[42:43], v[10:11]
	;; [unrolled: 1-line block ×3, first 2 shown]
	v_mul_f64_e32 v[26:27], v[120:121], v[124:125]
	v_fma_f64 v[40:41], v[106:107], v[98:99], -v[40:41]
	v_fmac_f64_e32 v[50:51], v[108:109], v[98:99]
	v_fma_f64 v[44:45], v[106:107], v[102:103], -v[82:83]
	v_fmac_f64_e32 v[96:97], v[108:109], v[102:103]
	v_fma_f64 v[46:47], v[114:115], v[98:99], -v[46:47]
	v_add_f64_e32 v[16:17], v[158:159], v[16:17]
	v_mul_f64_e32 v[38:39], v[140:141], v[132:133]
	v_mul_f64_e32 v[42:43], v[138:139], v[132:133]
	;; [unrolled: 1-line block ×5, first 2 shown]
	v_fmac_f64_e32 v[100:101], v[112:113], v[126:127]
	v_fmac_f64_e32 v[28:29], v[120:121], v[122:123]
	v_fma_f64 v[32:33], v[118:119], v[126:127], -v[32:33]
	v_fmac_f64_e32 v[54:55], v[152:153], v[134:135]
	v_fmac_f64_e32 v[72:73], v[156:157], v[146:147]
	v_add_f64_e32 v[6:7], v[6:7], v[22:23]
	v_add_f64_e32 v[2:3], v[68:69], v[2:3]
	v_mul_f64_e32 v[22:23], v[138:139], v[136:137]
	v_add_f64_e32 v[0:1], v[0:1], v[36:37]
	v_add_f64_e32 v[10:11], v[92:93], v[10:11]
	;; [unrolled: 1-line block ×3, first 2 shown]
	v_mul_f64_e32 v[36:37], v[152:153], v[132:133]
	v_fma_f64 v[26:27], v[118:119], v[122:123], -v[26:27]
	v_mul_f64_e32 v[68:69], v[156:157], v[148:149]
	v_add_f64_e32 v[4:5], v[4:5], v[44:45]
	v_add_f64_e32 v[12:13], v[96:97], v[12:13]
	v_mul_f64_e32 v[44:45], v[142:143], v[148:149]
	v_add_f64_e32 v[16:17], v[50:51], v[16:17]
	v_fma_f64 v[38:39], v[138:139], v[130:131], -v[38:39]
	v_fmac_f64_e32 v[42:43], v[140:141], v[130:131]
	v_fma_f64 v[20:21], v[138:139], v[134:135], -v[20:21]
	v_fmac_f64_e32 v[48:49], v[152:153], v[130:131]
	v_fma_f64 v[52:53], v[150:151], v[134:135], -v[52:53]
	v_add_f64_e32 v[6:7], v[6:7], v[46:47]
	v_fmac_f64_e32 v[22:23], v[140:141], v[134:135]
	v_add_f64_e32 v[14:15], v[0:1], v[14:15]
	v_add_f64_e32 v[10:11], v[18:19], v[10:11]
	;; [unrolled: 1-line block ×4, first 2 shown]
	ds_load_b128 v[0:3], v86 offset:3840
	v_mul_f64_e32 v[18:19], v[144:145], v[148:149]
	v_fma_f64 v[36:37], v[150:151], v[130:131], -v[36:37]
	v_add_f64_e32 v[4:5], v[4:5], v[66:67]
	v_add_f64_e32 v[12:13], v[100:101], v[12:13]
	;; [unrolled: 1-line block ×3, first 2 shown]
	v_fmac_f64_e32 v[44:45], v[144:145], v[146:147]
	s_wait_dscnt 0x0
	s_barrier_signal -1
	s_barrier_wait -1
	v_mul_f64_e32 v[46:47], v[144:145], v[2:3]
	v_mul_f64_e32 v[50:51], v[142:143], v[2:3]
	;; [unrolled: 1-line block ×4, first 2 shown]
	v_add_f64_e32 v[6:7], v[6:7], v[26:27]
	v_add_f64_e32 v[14:15], v[14:15], v[32:33]
	;; [unrolled: 1-line block ×5, first 2 shown]
	v_fma_f64 v[28:29], v[154:155], v[146:147], -v[68:69]
	v_fma_f64 v[18:19], v[142:143], v[146:147], -v[18:19]
	v_add_f64_e32 v[4:5], v[4:5], v[20:21]
	v_add_f64_e32 v[12:13], v[22:23], v[12:13]
	v_fma_f64 v[26:27], v[142:143], v[0:1], -v[46:47]
	v_fmac_f64_e32 v[50:51], v[144:145], v[0:1]
	v_fma_f64 v[30:31], v[154:155], v[0:1], -v[70:71]
	v_fmac_f64_e32 v[2:3], v[156:157], v[0:1]
	v_add_f64_e32 v[6:7], v[6:7], v[36:37]
	v_add_f64_e32 v[14:15], v[14:15], v[52:53]
	;; [unrolled: 1-line block ×14, first 2 shown]
	s_cbranch_vccnz .LBB539_5
	s_branch .LBB539_7
.LBB539_6:                              ;   in Loop: Header=BB539_3 Depth=1
	v_mov_b64_e32 v[82:83], 0
	v_mov_b64_e32 v[84:85], 0
	;; [unrolled: 1-line block ×8, first 2 shown]
.LBB539_7:                              ;   in Loop: Header=BB539_3 Depth=1
	s_wait_kmcnt 0x0
	s_mul_u64 s[20:21], s[12:13], s[2:3]
	s_and_not1_b32 vcc_lo, exec_lo, s1
	s_lshl_b64 s[20:21], s[20:21], 4
	s_mov_b32 s23, -1
	s_add_nc_u64 s[20:21], s[48:49], s[20:21]
                                        ; implicit-def: $vgpr0_vgpr1
                                        ; implicit-def: $vgpr2_vgpr3
	s_cbranch_vccz .LBB539_9
; %bb.8:                                ;   in Loop: Header=BB539_3 Depth=1
	s_and_not1_b32 vcc_lo, exec_lo, s23
	s_cbranch_vccnz .LBB539_2
	s_branch .LBB539_10
.LBB539_9:                              ;   in Loop: Header=BB539_3 Depth=1
	s_wait_xcnt 0x0
	s_delay_alu instid0(VALU_DEP_2) | instskip(SKIP_1) | instid1(VALU_DEP_3)
	v_mul_f64_e32 v[2:3], s[8:9], v[84:85]
	v_mul_f64_e32 v[6:7], s[6:7], v[84:85]
	;; [unrolled: 1-line block ×8, first 2 shown]
	v_lshlrev_b64_e32 v[18:19], 4, v[58:59]
	v_fma_f64 v[4:5], s[6:7], v[82:83], -v[2:3]
	v_fmac_f64_e32 v[6:7], s[8:9], v[82:83]
	v_fmac_f64_e32 v[0:1], s[8:9], v[66:67]
	v_fma_f64 v[8:9], s[6:7], v[74:75], -v[8:9]
	v_fmac_f64_e32 v[10:11], s[8:9], v[74:75]
	v_fma_f64 v[12:13], s[6:7], v[70:71], -v[12:13]
	v_fmac_f64_e32 v[14:15], s[8:9], v[70:71]
	v_fma_f64 v[16:17], s[6:7], v[66:67], -v[16:17]
	v_lshl_add_u64 v[2:3], v[56:57], 4, s[20:21]
	s_delay_alu instid0(VALU_DEP_1) | instskip(NEXT) | instid1(VALU_DEP_1)
	v_lshl_add_u64 v[20:21], s[18:19], 4, v[2:3]
	v_add_nc_u64_e32 v[20:21], v[20:21], v[18:19]
	v_add_nc_u64_e32 v[18:19], v[2:3], v[18:19]
	s_clause 0x3
	global_store_b128 v[18:19], v[4:7], off
	global_store_b128 v[18:19], v[8:11], off offset:256
	global_store_b128 v[20:21], v[12:15], off
	global_store_b64 v[20:21], v[16:17], off offset:256
	v_add_nc_u64_e32 v[2:3], 0x100, v[20:21]
	s_cbranch_execnz .LBB539_2
.LBB539_10:                             ;   in Loop: Header=BB539_3 Depth=1
	s_mul_u64 s[24:25], s[46:47], s[2:3]
	s_wait_xcnt 0x1
	v_lshlrev_b64_e32 v[4:5], 4, v[58:59]
	v_lshl_add_u64 v[6:7], s[24:25], 4, v[64:65]
	s_wait_xcnt 0x2
	s_delay_alu instid0(VALU_DEP_4) | instskip(SKIP_2) | instid1(VALU_DEP_4)
	v_mul_f64_e32 v[10:11], s[8:9], v[84:85]
	s_wait_xcnt 0x1
	v_mul_f64_e32 v[12:13], s[6:7], v[84:85]
	v_add_nc_u64_e32 v[8:9], v[6:7], v[4:5]
	v_lshl_add_u64 v[6:7], s[10:11], 4, v[6:7]
	s_delay_alu instid0(VALU_DEP_1)
	v_add_nc_u64_e32 v[6:7], v[6:7], v[4:5]
	global_load_b128 v[0:3], v[8:9], off
	v_fma_f64 v[10:11], s[6:7], v[82:83], -v[10:11]
	v_fmac_f64_e32 v[12:13], s[8:9], v[82:83]
	s_wait_loadcnt 0x0
	v_mul_f64_e32 v[14:15], s[40:41], v[2:3]
	v_mul_f64_e32 v[2:3], s[38:39], v[2:3]
	s_delay_alu instid0(VALU_DEP_2) | instskip(NEXT) | instid1(VALU_DEP_2)
	v_fma_f64 v[14:15], s[38:39], v[0:1], -v[14:15]
	v_fmac_f64_e32 v[2:3], s[40:41], v[0:1]
	s_delay_alu instid0(VALU_DEP_2) | instskip(NEXT) | instid1(VALU_DEP_2)
	v_add_f64_e32 v[0:1], v[10:11], v[14:15]
	v_add_f64_e32 v[2:3], v[12:13], v[2:3]
	v_lshl_add_u64 v[10:11], v[56:57], 4, s[20:21]
	v_mul_f64_e32 v[14:15], s[6:7], v[76:77]
	s_delay_alu instid0(VALU_DEP_2)
	v_add_nc_u64_e32 v[12:13], v[10:11], v[4:5]
	global_store_b128 v[12:13], v[0:3], off
	global_load_b128 v[0:3], v[8:9], off offset:256
	s_wait_xcnt 0x0
	v_mul_f64_e32 v[8:9], s[8:9], v[76:77]
	v_fmac_f64_e32 v[14:15], s[8:9], v[74:75]
	s_delay_alu instid0(VALU_DEP_2) | instskip(SKIP_3) | instid1(VALU_DEP_2)
	v_fma_f64 v[8:9], s[6:7], v[74:75], -v[8:9]
	s_wait_loadcnt 0x0
	v_mul_f64_e32 v[16:17], s[40:41], v[2:3]
	v_mul_f64_e32 v[2:3], s[38:39], v[2:3]
	v_fma_f64 v[16:17], s[38:39], v[0:1], -v[16:17]
	s_delay_alu instid0(VALU_DEP_2) | instskip(NEXT) | instid1(VALU_DEP_2)
	v_fmac_f64_e32 v[2:3], s[40:41], v[0:1]
	v_add_f64_e32 v[0:1], v[8:9], v[16:17]
	s_delay_alu instid0(VALU_DEP_2)
	v_add_f64_e32 v[2:3], v[14:15], v[2:3]
	v_mul_f64_e32 v[8:9], s[8:9], v[72:73]
	global_store_b128 v[12:13], v[0:3], off offset:256
	global_load_b128 v[0:3], v[6:7], off
	v_mul_f64_e32 v[12:13], s[6:7], v[72:73]
	v_fma_f64 v[8:9], s[6:7], v[70:71], -v[8:9]
	s_delay_alu instid0(VALU_DEP_2) | instskip(SKIP_3) | instid1(VALU_DEP_2)
	v_fmac_f64_e32 v[12:13], s[8:9], v[70:71]
	s_wait_loadcnt 0x0
	v_mul_f64_e32 v[14:15], s[40:41], v[2:3]
	v_mul_f64_e32 v[2:3], s[38:39], v[2:3]
	v_fma_f64 v[14:15], s[38:39], v[0:1], -v[14:15]
	s_delay_alu instid0(VALU_DEP_2) | instskip(NEXT) | instid1(VALU_DEP_2)
	v_fmac_f64_e32 v[2:3], s[40:41], v[0:1]
	v_add_f64_e32 v[0:1], v[8:9], v[14:15]
	s_delay_alu instid0(VALU_DEP_2) | instskip(SKIP_1) | instid1(VALU_DEP_1)
	v_add_f64_e32 v[2:3], v[12:13], v[2:3]
	v_lshl_add_u64 v[8:9], s[18:19], 4, v[10:11]
	v_add_nc_u64_e32 v[4:5], v[8:9], v[4:5]
	v_mul_f64_e32 v[8:9], s[6:7], v[68:69]
	global_store_b128 v[4:5], v[0:3], off
	global_load_b128 v[0:3], v[6:7], off offset:256
	s_wait_xcnt 0x0
	v_mul_f64_e32 v[6:7], s[8:9], v[68:69]
	v_fmac_f64_e32 v[8:9], s[8:9], v[66:67]
	s_delay_alu instid0(VALU_DEP_2) | instskip(SKIP_3) | instid1(VALU_DEP_2)
	v_fma_f64 v[6:7], s[6:7], v[66:67], -v[6:7]
	s_wait_loadcnt 0x0
	v_mul_f64_e32 v[10:11], s[40:41], v[2:3]
	v_mul_f64_e32 v[2:3], s[38:39], v[2:3]
	v_fma_f64 v[10:11], s[38:39], v[0:1], -v[10:11]
	s_delay_alu instid0(VALU_DEP_2) | instskip(NEXT) | instid1(VALU_DEP_2)
	v_fmac_f64_e32 v[2:3], s[40:41], v[0:1]
	v_add_f64_e32 v[6:7], v[6:7], v[10:11]
	s_delay_alu instid0(VALU_DEP_2)
	v_add_f64_e32 v[0:1], v[8:9], v[2:3]
	v_add_nc_u64_e32 v[2:3], 0x100, v[4:5]
	global_store_b64 v[4:5], v[6:7], off offset:256
	s_branch .LBB539_2
.LBB539_11:
	s_sendmsg sendmsg(MSG_DEALLOC_VGPRS)
	s_endpgm
	.section	.rodata,"a",@progbits
	.p2align	6, 0x0
	.amdhsa_kernel _ZN12_GLOBAL__N_127rocblas_gemm_batched_kernelI19rocblas_complex_numIdELi16ELi16ELi32ELi32ELi8ELi32ELi8ELi8ELi32ELc84ELc78EKS2_S3_S2_EEvlllT_PT11_llS6_llS4_PT12_llPT13_lli
		.amdhsa_group_segment_fixed_size 8192
		.amdhsa_private_segment_fixed_size 0
		.amdhsa_kernarg_size 156
		.amdhsa_user_sgpr_count 2
		.amdhsa_user_sgpr_dispatch_ptr 0
		.amdhsa_user_sgpr_queue_ptr 0
		.amdhsa_user_sgpr_kernarg_segment_ptr 1
		.amdhsa_user_sgpr_dispatch_id 0
		.amdhsa_user_sgpr_kernarg_preload_length 0
		.amdhsa_user_sgpr_kernarg_preload_offset 0
		.amdhsa_user_sgpr_private_segment_size 0
		.amdhsa_wavefront_size32 1
		.amdhsa_uses_dynamic_stack 0
		.amdhsa_enable_private_segment 0
		.amdhsa_system_sgpr_workgroup_id_x 1
		.amdhsa_system_sgpr_workgroup_id_y 1
		.amdhsa_system_sgpr_workgroup_id_z 1
		.amdhsa_system_sgpr_workgroup_info 0
		.amdhsa_system_vgpr_workitem_id 1
		.amdhsa_next_free_vgpr 166
		.amdhsa_next_free_sgpr 52
		.amdhsa_named_barrier_count 0
		.amdhsa_reserve_vcc 1
		.amdhsa_float_round_mode_32 0
		.amdhsa_float_round_mode_16_64 0
		.amdhsa_float_denorm_mode_32 3
		.amdhsa_float_denorm_mode_16_64 3
		.amdhsa_fp16_overflow 0
		.amdhsa_memory_ordered 1
		.amdhsa_forward_progress 1
		.amdhsa_inst_pref_size 21
		.amdhsa_round_robin_scheduling 0
		.amdhsa_exception_fp_ieee_invalid_op 0
		.amdhsa_exception_fp_denorm_src 0
		.amdhsa_exception_fp_ieee_div_zero 0
		.amdhsa_exception_fp_ieee_overflow 0
		.amdhsa_exception_fp_ieee_underflow 0
		.amdhsa_exception_fp_ieee_inexact 0
		.amdhsa_exception_int_div_zero 0
	.end_amdhsa_kernel
	.section	.text._ZN12_GLOBAL__N_127rocblas_gemm_batched_kernelI19rocblas_complex_numIdELi16ELi16ELi32ELi32ELi8ELi32ELi8ELi8ELi32ELc84ELc78EKS2_S3_S2_EEvlllT_PT11_llS6_llS4_PT12_llPT13_lli,"axG",@progbits,_ZN12_GLOBAL__N_127rocblas_gemm_batched_kernelI19rocblas_complex_numIdELi16ELi16ELi32ELi32ELi8ELi32ELi8ELi8ELi32ELc84ELc78EKS2_S3_S2_EEvlllT_PT11_llS6_llS4_PT12_llPT13_lli,comdat
.Lfunc_end539:
	.size	_ZN12_GLOBAL__N_127rocblas_gemm_batched_kernelI19rocblas_complex_numIdELi16ELi16ELi32ELi32ELi8ELi32ELi8ELi8ELi32ELc84ELc78EKS2_S3_S2_EEvlllT_PT11_llS6_llS4_PT12_llPT13_lli, .Lfunc_end539-_ZN12_GLOBAL__N_127rocblas_gemm_batched_kernelI19rocblas_complex_numIdELi16ELi16ELi32ELi32ELi8ELi32ELi8ELi8ELi32ELc84ELc78EKS2_S3_S2_EEvlllT_PT11_llS6_llS4_PT12_llPT13_lli
                                        ; -- End function
	.set _ZN12_GLOBAL__N_127rocblas_gemm_batched_kernelI19rocblas_complex_numIdELi16ELi16ELi32ELi32ELi8ELi32ELi8ELi8ELi32ELc84ELc78EKS2_S3_S2_EEvlllT_PT11_llS6_llS4_PT12_llPT13_lli.num_vgpr, 166
	.set _ZN12_GLOBAL__N_127rocblas_gemm_batched_kernelI19rocblas_complex_numIdELi16ELi16ELi32ELi32ELi8ELi32ELi8ELi8ELi32ELc84ELc78EKS2_S3_S2_EEvlllT_PT11_llS6_llS4_PT12_llPT13_lli.num_agpr, 0
	.set _ZN12_GLOBAL__N_127rocblas_gemm_batched_kernelI19rocblas_complex_numIdELi16ELi16ELi32ELi32ELi8ELi32ELi8ELi8ELi32ELc84ELc78EKS2_S3_S2_EEvlllT_PT11_llS6_llS4_PT12_llPT13_lli.numbered_sgpr, 52
	.set _ZN12_GLOBAL__N_127rocblas_gemm_batched_kernelI19rocblas_complex_numIdELi16ELi16ELi32ELi32ELi8ELi32ELi8ELi8ELi32ELc84ELc78EKS2_S3_S2_EEvlllT_PT11_llS6_llS4_PT12_llPT13_lli.num_named_barrier, 0
	.set _ZN12_GLOBAL__N_127rocblas_gemm_batched_kernelI19rocblas_complex_numIdELi16ELi16ELi32ELi32ELi8ELi32ELi8ELi8ELi32ELc84ELc78EKS2_S3_S2_EEvlllT_PT11_llS6_llS4_PT12_llPT13_lli.private_seg_size, 0
	.set _ZN12_GLOBAL__N_127rocblas_gemm_batched_kernelI19rocblas_complex_numIdELi16ELi16ELi32ELi32ELi8ELi32ELi8ELi8ELi32ELc84ELc78EKS2_S3_S2_EEvlllT_PT11_llS6_llS4_PT12_llPT13_lli.uses_vcc, 1
	.set _ZN12_GLOBAL__N_127rocblas_gemm_batched_kernelI19rocblas_complex_numIdELi16ELi16ELi32ELi32ELi8ELi32ELi8ELi8ELi32ELc84ELc78EKS2_S3_S2_EEvlllT_PT11_llS6_llS4_PT12_llPT13_lli.uses_flat_scratch, 0
	.set _ZN12_GLOBAL__N_127rocblas_gemm_batched_kernelI19rocblas_complex_numIdELi16ELi16ELi32ELi32ELi8ELi32ELi8ELi8ELi32ELc84ELc78EKS2_S3_S2_EEvlllT_PT11_llS6_llS4_PT12_llPT13_lli.has_dyn_sized_stack, 0
	.set _ZN12_GLOBAL__N_127rocblas_gemm_batched_kernelI19rocblas_complex_numIdELi16ELi16ELi32ELi32ELi8ELi32ELi8ELi8ELi32ELc84ELc78EKS2_S3_S2_EEvlllT_PT11_llS6_llS4_PT12_llPT13_lli.has_recursion, 0
	.set _ZN12_GLOBAL__N_127rocblas_gemm_batched_kernelI19rocblas_complex_numIdELi16ELi16ELi32ELi32ELi8ELi32ELi8ELi8ELi32ELc84ELc78EKS2_S3_S2_EEvlllT_PT11_llS6_llS4_PT12_llPT13_lli.has_indirect_call, 0
	.section	.AMDGPU.csdata,"",@progbits
; Kernel info:
; codeLenInByte = 2584
; TotalNumSgprs: 54
; NumVgprs: 166
; ScratchSize: 0
; MemoryBound: 0
; FloatMode: 240
; IeeeMode: 1
; LDSByteSize: 8192 bytes/workgroup (compile time only)
; SGPRBlocks: 0
; VGPRBlocks: 10
; NumSGPRsForWavesPerEU: 54
; NumVGPRsForWavesPerEU: 166
; NamedBarCnt: 0
; Occupancy: 5
; WaveLimiterHint : 1
; COMPUTE_PGM_RSRC2:SCRATCH_EN: 0
; COMPUTE_PGM_RSRC2:USER_SGPR: 2
; COMPUTE_PGM_RSRC2:TRAP_HANDLER: 0
; COMPUTE_PGM_RSRC2:TGID_X_EN: 1
; COMPUTE_PGM_RSRC2:TGID_Y_EN: 1
; COMPUTE_PGM_RSRC2:TGID_Z_EN: 1
; COMPUTE_PGM_RSRC2:TIDIG_COMP_CNT: 1
	.section	.text._ZN12_GLOBAL__N_127rocblas_gemm_batched_kernelI19rocblas_complex_numIdELi16ELi16ELi32ELi32ELi8ELi32ELi8ELi8ELi32ELc78ELc84EKS2_S3_S2_EEvlllT_PT11_llS6_llS4_PT12_llPT13_lli,"axG",@progbits,_ZN12_GLOBAL__N_127rocblas_gemm_batched_kernelI19rocblas_complex_numIdELi16ELi16ELi32ELi32ELi8ELi32ELi8ELi8ELi32ELc78ELc84EKS2_S3_S2_EEvlllT_PT11_llS6_llS4_PT12_llPT13_lli,comdat
	.globl	_ZN12_GLOBAL__N_127rocblas_gemm_batched_kernelI19rocblas_complex_numIdELi16ELi16ELi32ELi32ELi8ELi32ELi8ELi8ELi32ELc78ELc84EKS2_S3_S2_EEvlllT_PT11_llS6_llS4_PT12_llPT13_lli ; -- Begin function _ZN12_GLOBAL__N_127rocblas_gemm_batched_kernelI19rocblas_complex_numIdELi16ELi16ELi32ELi32ELi8ELi32ELi8ELi8ELi32ELc78ELc84EKS2_S3_S2_EEvlllT_PT11_llS6_llS4_PT12_llPT13_lli
	.p2align	8
	.type	_ZN12_GLOBAL__N_127rocblas_gemm_batched_kernelI19rocblas_complex_numIdELi16ELi16ELi32ELi32ELi8ELi32ELi8ELi8ELi32ELc78ELc84EKS2_S3_S2_EEvlllT_PT11_llS6_llS4_PT12_llPT13_lli,@function
_ZN12_GLOBAL__N_127rocblas_gemm_batched_kernelI19rocblas_complex_numIdELi16ELi16ELi32ELi32ELi8ELi32ELi8ELi8ELi32ELc78ELc84EKS2_S3_S2_EEvlllT_PT11_llS6_llS4_PT12_llPT13_lli: ; @_ZN12_GLOBAL__N_127rocblas_gemm_batched_kernelI19rocblas_complex_numIdELi16ELi16ELi32ELi32ELi8ELi32ELi8ELi8ELi32ELc78ELc84EKS2_S3_S2_EEvlllT_PT11_llS6_llS4_PT12_llPT13_lli
; %bb.0:
	s_load_b32 s26, s[0:1], 0x98
	s_bfe_u32 s2, ttmp6, 0x40014
	s_lshr_b32 s3, ttmp7, 16
	s_add_co_i32 s2, s2, 1
	s_bfe_u32 s4, ttmp6, 0x40008
	s_mul_i32 s2, s3, s2
	s_getreg_b32 s20, hwreg(HW_REG_IB_STS2, 6, 4)
	s_add_co_i32 s4, s4, s2
	s_cmp_eq_u32 s20, 0
	s_cselect_b32 s2, s3, s4
	s_mov_b32 s3, 0
	s_wait_kmcnt 0x0
	s_cmp_ge_i32 s2, s26
	s_cbranch_scc1 .LBB540_11
; %bb.1:
	s_clause 0x1
	s_load_b512 s[4:19], s[0:1], 0x10
	s_load_b512 s[36:51], s[0:1], 0x50
	s_bfe_u32 s21, ttmp6, 0x4000c
	s_bfe_u32 s23, ttmp6, 0x40010
	s_add_co_i32 s21, s21, 1
	s_and_b32 s24, ttmp7, 0xffff
	s_add_co_i32 s23, s23, 1
	v_bfe_u32 v2, v0, 10, 10
	v_and_b32_e32 v4, 0x3ff, v0
	s_and_b32 s22, ttmp6, 15
	s_mul_i32 s21, ttmp9, s21
	s_mul_i32 s23, s24, s23
	s_bfe_u32 s25, ttmp6, 0x40004
	s_add_co_i32 s22, s22, s21
	s_add_co_i32 s25, s25, s23
	s_cmp_eq_u32 s20, 0
	v_lshl_add_u32 v1, v2, 4, v4
	v_mov_b32_e32 v3, 0
	s_cselect_b32 s21, s24, s25
	s_cselect_b32 s20, ttmp9, s22
	s_lshl_b32 s22, s21, 5
	s_mov_b32 s23, s3
	v_lshrrev_b32_e32 v16, 5, v1
	v_add_nc_u64_e32 v[6:7], s[22:23], v[2:3]
	v_dual_mov_b32 v9, v3 :: v_dual_lshrrev_b32 v8, 3, v1
	s_ashr_i32 s21, s20, 31
	s_wait_kmcnt 0x0
	v_cmp_eq_f64_e64 s27, s[38:39], 0
	s_lshl_b64 s[24:25], s[20:21], 5
	v_cmp_eq_f64_e64 s28, s[40:41], 0
	v_mul_u64_e32 v[10:11], s[44:45], v[6:7]
	v_mad_nc_u64_u32 v[12:13], s12, v16, s[24:25]
	v_add_nc_u64_e32 v[14:15], s[22:23], v[8:9]
	v_dual_mov_b32 v5, v3 :: v_dual_bitop2_b32 v9, 7, v0 bitop3:0x40
	v_mul_u64_e32 v[56:57], s[50:51], v[6:7]
	s_load_b64 s[20:21], s[0:1], 0x90
	v_dual_mov_b32 v1, v3 :: v_dual_bitop2_b32 v0, 31, v1 bitop3:0x40
	s_delay_alu instid0(VALU_DEP_3) | instskip(SKIP_2) | instid1(VALU_DEP_3)
	v_mad_nc_u64_u32 v[6:7], s18, v9, v[14:15]
	s_wait_xcnt 0x0
	v_cmp_gt_i64_e64 s0, s[4:5], 0
	v_dual_lshlrev_b32 v14, 4, v9 :: v_dual_lshlrev_b32 v3, 4, v0
	v_mad_u32 v13, s13, v16, v13
	v_lshl_add_u32 v87, v2, 7, 0x1000
	v_add_nc_u64_e32 v[58:59], s[24:25], v[4:5]
	s_delay_alu instid0(VALU_DEP_4)
	v_lshl_or_b32 v8, v8, 7, v14
	v_cndmask_b32_e64 v2, 0, 1, s0
	v_lshlrev_b32_e32 v86, 4, v4
	v_lshl_or_b32 v88, v16, 9, v3
	v_mad_u32 v7, s19, v9, v7
	v_add_nc_u32_e32 v89, 0x1000, v8
	v_cmp_ne_u32_e64 s0, 1, v2
	s_lshl_b64 s[22:23], s[50:51], 4
	v_add_nc_u64_e32 v[0:1], v[12:13], v[0:1]
	s_lshl_b64 s[24:25], s[44:45], 4
	s_lshl_b64 s[12:13], s[12:13], 7
	s_delay_alu instid0(VALU_DEP_1)
	v_lshl_add_u64 v[62:63], v[0:1], 4, s[10:11]
	v_lshl_add_u64 v[60:61], v[10:11], 4, s[42:43]
	;; [unrolled: 1-line block ×3, first 2 shown]
	s_and_b32 s1, s27, s28
	s_lshl_b64 s[10:11], s[14:15], 4
	s_lshl_b64 s[14:15], s[36:37], 4
	;; [unrolled: 1-line block ×3, first 2 shown]
	s_branch .LBB540_3
.LBB540_2:                              ;   in Loop: Header=BB540_3 Depth=1
	s_add_co_i32 s2, s2, 0x10000
	global_store_b64 v[2:3], v[0:1], off offset:8
	s_cmp_lt_i32 s2, s26
	s_cbranch_scc0 .LBB540_11
.LBB540_3:                              ; =>This Loop Header: Depth=1
                                        ;     Child Loop BB540_5 Depth 2
	s_and_b32 vcc_lo, exec_lo, s0
	s_cbranch_vccnz .LBB540_6
; %bb.4:                                ;   in Loop: Header=BB540_3 Depth=1
	v_mad_nc_u64_u32 v[78:79], s10, s2, v[62:63]
	v_mad_nc_u64_u32 v[80:81], s14, s2, v[64:65]
	v_mov_b64_e32 v[68:69], 0
	v_mov_b64_e32 v[66:67], 0
	v_mov_b64_e32 v[72:73], 0
	v_mov_b64_e32 v[70:71], 0
	v_mov_b64_e32 v[76:77], 0
	v_mov_b64_e32 v[74:75], 0
	v_mov_b64_e32 v[84:85], 0
	v_mov_b64_e32 v[82:83], 0
	s_mov_b64 s[18:19], 0
	v_mad_u32 v79, s11, s2, v79
	v_mad_u32 v81, s15, s2, v81
.LBB540_5:                              ;   Parent Loop BB540_3 Depth=1
                                        ; =>  This Inner Loop Header: Depth=2
	global_load_b128 v[0:3], v[78:79], off
	global_load_b128 v[4:7], v[80:81], off
	s_add_nc_u64 s[18:19], s[18:19], 8
	s_wait_xcnt 0x1
	v_add_nc_u64_e32 v[78:79], s[12:13], v[78:79]
	v_cmp_lt_i64_e64 s27, s[18:19], s[4:5]
	s_wait_xcnt 0x0
	v_add_nc_u64_e32 v[80:81], s[16:17], v[80:81]
	s_wait_loadcnt 0x1
	ds_store_2addr_b64 v88, v[0:1], v[2:3] offset1:1
	s_wait_loadcnt 0x0
	ds_store_2addr_b64 v89, v[4:5], v[6:7] offset1:1
	s_wait_dscnt 0x0
	s_barrier_signal -1
	s_barrier_wait -1
	ds_load_b128 v[0:3], v86
	ds_load_b128 v[8:11], v86 offset:256
	ds_load_b128 v[12:15], v87
	ds_load_b128 v[4:7], v87 offset:16
	ds_load_b128 v[16:19], v87 offset:2048
	;; [unrolled: 1-line block ×28, first 2 shown]
	s_wait_dscnt 0x1c
	v_mul_f64_e32 v[160:161], v[12:13], v[2:3]
	v_mul_f64_e32 v[164:165], v[12:13], v[10:11]
	;; [unrolled: 1-line block ×4, first 2 shown]
	s_and_b32 vcc_lo, exec_lo, s27
	s_delay_alu instid0(VALU_DEP_4) | instskip(NEXT) | instid1(VALU_DEP_4)
	v_fmac_f64_e32 v[160:161], v[14:15], v[0:1]
	v_fmac_f64_e32 v[164:165], v[14:15], v[8:9]
	s_wait_dscnt 0x1a
	v_mul_f64_e32 v[14:15], v[18:19], v[2:3]
	v_mul_f64_e32 v[2:3], v[16:17], v[2:3]
	v_fma_f64 v[158:159], v[12:13], v[0:1], -v[158:159]
	v_fma_f64 v[12:13], v[12:13], v[8:9], -v[162:163]
	s_wait_dscnt 0x17
	v_mul_f64_e32 v[162:163], v[4:5], v[34:35]
	v_add_f64_e32 v[84:85], v[160:161], v[84:85]
	v_add_f64_e32 v[76:77], v[164:165], v[76:77]
	v_fma_f64 v[14:15], v[16:17], v[0:1], -v[14:15]
	v_fmac_f64_e32 v[2:3], v[18:19], v[0:1]
	v_mul_f64_e32 v[0:1], v[18:19], v[10:11]
	v_mul_f64_e32 v[10:11], v[16:17], v[10:11]
	v_fmac_f64_e32 v[162:163], v[6:7], v[32:33]
	v_add_f64_e32 v[12:13], v[74:75], v[12:13]
	s_wait_dscnt 0x10
	v_mul_f64_e32 v[74:75], v[22:23], v[92:93]
	v_add_f64_e32 v[14:15], v[70:71], v[14:15]
	v_add_f64_e32 v[2:3], v[2:3], v[72:73]
	v_fma_f64 v[0:1], v[16:17], v[8:9], -v[0:1]
	v_fmac_f64_e32 v[10:11], v[18:19], v[8:9]
	v_mul_f64_e32 v[8:9], v[6:7], v[30:31]
	v_mul_f64_e32 v[16:17], v[4:5], v[30:31]
	;; [unrolled: 1-line block ×3, first 2 shown]
	s_wait_dscnt 0xf
	v_mul_f64_e32 v[70:71], v[22:23], v[96:97]
	v_mul_f64_e32 v[72:73], v[20:21], v[96:97]
	v_fma_f64 v[74:75], v[20:21], v[90:91], -v[74:75]
	v_add_f64_e32 v[0:1], v[66:67], v[0:1]
	v_add_f64_e32 v[10:11], v[10:11], v[68:69]
	v_fma_f64 v[8:9], v[4:5], v[28:29], -v[8:9]
	v_fmac_f64_e32 v[16:17], v[6:7], v[28:29]
	v_fma_f64 v[4:5], v[4:5], v[32:33], -v[18:19]
	v_mul_f64_e32 v[6:7], v[26:27], v[30:31]
	v_mul_f64_e32 v[18:19], v[24:25], v[30:31]
	;; [unrolled: 1-line block ×5, first 2 shown]
	v_fmac_f64_e32 v[72:73], v[22:23], v[94:95]
	v_add_f64_e32 v[16:17], v[16:17], v[84:85]
	v_add_f64_e32 v[4:5], v[12:13], v[4:5]
	v_fma_f64 v[6:7], v[24:25], v[28:29], -v[6:7]
	v_fmac_f64_e32 v[18:19], v[26:27], v[28:29]
	v_mul_f64_e32 v[28:29], v[26:27], v[34:35]
	v_fmac_f64_e32 v[30:31], v[26:27], v[32:33]
	v_mul_f64_e32 v[26:27], v[46:47], v[38:39]
	v_mul_f64_e32 v[34:35], v[44:45], v[42:43]
	v_add_f64_e32 v[12:13], v[162:163], v[76:77]
	s_wait_dscnt 0xa
	v_mul_f64_e32 v[84:85], v[114:115], v[100:101]
	v_fmac_f64_e32 v[68:69], v[54:55], v[90:91]
	s_wait_dscnt 0x7
	v_mul_f64_e32 v[76:77], v[112:113], v[128:129]
	v_add_f64_e32 v[6:7], v[14:15], v[6:7]
	v_add_f64_e32 v[2:3], v[18:19], v[2:3]
	v_fma_f64 v[24:25], v[24:25], v[32:33], -v[28:29]
	v_mul_f64_e32 v[28:29], v[44:45], v[38:39]
	v_mul_f64_e32 v[32:33], v[46:47], v[42:43]
	v_fma_f64 v[26:27], v[44:45], v[36:37], -v[26:27]
	v_fmac_f64_e32 v[34:35], v[46:47], v[40:41]
	v_add_f64_e32 v[10:11], v[30:31], v[10:11]
	v_mul_f64_e32 v[14:15], v[116:117], v[104:105]
	v_mul_f64_e32 v[18:19], v[114:115], v[104:105]
	;; [unrolled: 1-line block ×3, first 2 shown]
	v_fmac_f64_e32 v[84:85], v[116:117], v[98:99]
	v_add_f64_e32 v[0:1], v[0:1], v[24:25]
	v_fmac_f64_e32 v[28:29], v[46:47], v[36:37]
	v_fma_f64 v[32:33], v[44:45], v[40:41], -v[32:33]
	v_mul_f64_e32 v[44:45], v[50:51], v[38:39]
	v_mul_f64_e32 v[38:39], v[48:49], v[38:39]
	v_add_f64_e32 v[46:47], v[82:83], v[158:159]
	v_mul_f64_e32 v[82:83], v[50:51], v[42:43]
	v_mul_f64_e32 v[42:43], v[48:49], v[42:43]
	;; [unrolled: 1-line block ×4, first 2 shown]
	v_fma_f64 v[20:21], v[20:21], v[94:95], -v[70:71]
	v_add_f64_e32 v[12:13], v[34:35], v[12:13]
	v_mul_f64_e32 v[24:25], v[112:113], v[124:125]
	v_mul_f64_e32 v[34:35], v[118:119], v[128:129]
	v_fma_f64 v[14:15], v[114:115], v[102:103], -v[14:15]
	v_fmac_f64_e32 v[18:19], v[116:117], v[102:103]
	v_fmac_f64_e32 v[30:31], v[112:113], v[122:123]
	v_add_f64_e32 v[16:17], v[28:29], v[16:17]
	v_add_f64_e32 v[4:5], v[4:5], v[32:33]
	v_fma_f64 v[44:45], v[48:49], v[36:37], -v[44:45]
	v_fmac_f64_e32 v[38:39], v[50:51], v[36:37]
	v_mul_f64_e32 v[36:37], v[54:55], v[96:97]
	v_fma_f64 v[48:49], v[48:49], v[40:41], -v[82:83]
	v_fmac_f64_e32 v[42:43], v[50:51], v[40:41]
	v_add_f64_e32 v[8:9], v[46:47], v[8:9]
	v_mul_f64_e32 v[40:41], v[108:109], v[100:101]
	v_mul_f64_e32 v[50:51], v[106:107], v[100:101]
	;; [unrolled: 1-line block ×5, first 2 shown]
	v_fmac_f64_e32 v[158:159], v[22:23], v[90:91]
	v_fma_f64 v[22:23], v[52:53], v[90:91], -v[66:67]
	v_fmac_f64_e32 v[92:93], v[54:55], v[94:95]
	v_mul_f64_e32 v[100:101], v[110:111], v[128:129]
	v_mul_f64_e32 v[28:29], v[118:119], v[124:125]
	v_mul_f64_e32 v[32:33], v[120:121], v[128:129]
	v_add_f64_e32 v[12:13], v[72:73], v[12:13]
	s_wait_dscnt 0x1
	v_mul_f64_e32 v[54:55], v[150:151], v[136:137]
	v_fma_f64 v[24:25], v[110:111], v[122:123], -v[24:25]
	v_fma_f64 v[66:67], v[110:111], v[126:127], -v[76:77]
	v_fmac_f64_e32 v[34:35], v[120:121], v[126:127]
	s_wait_dscnt 0x0
	v_mul_f64_e32 v[72:73], v[154:155], v[148:149]
	v_add_f64_e32 v[4:5], v[4:5], v[20:21]
	v_add_f64_e32 v[6:7], v[6:7], v[44:45]
	;; [unrolled: 1-line block ×3, first 2 shown]
	v_fma_f64 v[36:37], v[52:53], v[94:95], -v[36:37]
	v_add_f64_e32 v[0:1], v[0:1], v[48:49]
	v_add_f64_e32 v[10:11], v[42:43], v[10:11]
	;; [unrolled: 1-line block ×3, first 2 shown]
	v_mul_f64_e32 v[26:27], v[120:121], v[124:125]
	v_fma_f64 v[40:41], v[106:107], v[98:99], -v[40:41]
	v_fmac_f64_e32 v[50:51], v[108:109], v[98:99]
	v_fma_f64 v[44:45], v[106:107], v[102:103], -v[82:83]
	v_fmac_f64_e32 v[96:97], v[108:109], v[102:103]
	v_fma_f64 v[46:47], v[114:115], v[98:99], -v[46:47]
	v_add_f64_e32 v[16:17], v[158:159], v[16:17]
	v_mul_f64_e32 v[38:39], v[140:141], v[132:133]
	v_mul_f64_e32 v[42:43], v[138:139], v[132:133]
	;; [unrolled: 1-line block ×5, first 2 shown]
	v_fmac_f64_e32 v[100:101], v[112:113], v[126:127]
	v_fmac_f64_e32 v[28:29], v[120:121], v[122:123]
	v_fma_f64 v[32:33], v[118:119], v[126:127], -v[32:33]
	v_fmac_f64_e32 v[54:55], v[152:153], v[134:135]
	v_fmac_f64_e32 v[72:73], v[156:157], v[146:147]
	v_add_f64_e32 v[6:7], v[6:7], v[22:23]
	v_add_f64_e32 v[2:3], v[68:69], v[2:3]
	v_mul_f64_e32 v[22:23], v[138:139], v[136:137]
	v_add_f64_e32 v[0:1], v[0:1], v[36:37]
	v_add_f64_e32 v[10:11], v[92:93], v[10:11]
	;; [unrolled: 1-line block ×3, first 2 shown]
	v_mul_f64_e32 v[36:37], v[152:153], v[132:133]
	v_fma_f64 v[26:27], v[118:119], v[122:123], -v[26:27]
	v_mul_f64_e32 v[68:69], v[156:157], v[148:149]
	v_add_f64_e32 v[4:5], v[4:5], v[44:45]
	v_add_f64_e32 v[12:13], v[96:97], v[12:13]
	v_mul_f64_e32 v[44:45], v[142:143], v[148:149]
	v_add_f64_e32 v[16:17], v[50:51], v[16:17]
	v_fma_f64 v[38:39], v[138:139], v[130:131], -v[38:39]
	v_fmac_f64_e32 v[42:43], v[140:141], v[130:131]
	v_fma_f64 v[20:21], v[138:139], v[134:135], -v[20:21]
	v_fmac_f64_e32 v[48:49], v[152:153], v[130:131]
	v_fma_f64 v[52:53], v[150:151], v[134:135], -v[52:53]
	v_add_f64_e32 v[6:7], v[6:7], v[46:47]
	v_fmac_f64_e32 v[22:23], v[140:141], v[134:135]
	v_add_f64_e32 v[14:15], v[0:1], v[14:15]
	v_add_f64_e32 v[10:11], v[18:19], v[10:11]
	;; [unrolled: 1-line block ×4, first 2 shown]
	ds_load_b128 v[0:3], v86 offset:3840
	v_mul_f64_e32 v[18:19], v[144:145], v[148:149]
	v_fma_f64 v[36:37], v[150:151], v[130:131], -v[36:37]
	v_add_f64_e32 v[4:5], v[4:5], v[66:67]
	v_add_f64_e32 v[12:13], v[100:101], v[12:13]
	;; [unrolled: 1-line block ×3, first 2 shown]
	v_fmac_f64_e32 v[44:45], v[144:145], v[146:147]
	s_wait_dscnt 0x0
	s_barrier_signal -1
	s_barrier_wait -1
	v_mul_f64_e32 v[46:47], v[144:145], v[2:3]
	v_mul_f64_e32 v[50:51], v[142:143], v[2:3]
	;; [unrolled: 1-line block ×4, first 2 shown]
	v_add_f64_e32 v[6:7], v[6:7], v[26:27]
	v_add_f64_e32 v[14:15], v[14:15], v[32:33]
	;; [unrolled: 1-line block ×5, first 2 shown]
	v_fma_f64 v[28:29], v[154:155], v[146:147], -v[68:69]
	v_fma_f64 v[18:19], v[142:143], v[146:147], -v[18:19]
	v_add_f64_e32 v[4:5], v[4:5], v[20:21]
	v_add_f64_e32 v[12:13], v[22:23], v[12:13]
	v_fma_f64 v[26:27], v[142:143], v[0:1], -v[46:47]
	v_fmac_f64_e32 v[50:51], v[144:145], v[0:1]
	v_fma_f64 v[30:31], v[154:155], v[0:1], -v[70:71]
	v_fmac_f64_e32 v[2:3], v[156:157], v[0:1]
	v_add_f64_e32 v[6:7], v[6:7], v[36:37]
	v_add_f64_e32 v[14:15], v[14:15], v[52:53]
	;; [unrolled: 1-line block ×14, first 2 shown]
	s_cbranch_vccnz .LBB540_5
	s_branch .LBB540_7
.LBB540_6:                              ;   in Loop: Header=BB540_3 Depth=1
	v_mov_b64_e32 v[82:83], 0
	v_mov_b64_e32 v[84:85], 0
	v_mov_b64_e32 v[74:75], 0
	v_mov_b64_e32 v[76:77], 0
	v_mov_b64_e32 v[70:71], 0
	v_mov_b64_e32 v[72:73], 0
	v_mov_b64_e32 v[66:67], 0
	v_mov_b64_e32 v[68:69], 0
.LBB540_7:                              ;   in Loop: Header=BB540_3 Depth=1
	s_wait_kmcnt 0x0
	s_mul_u64 s[18:19], s[20:21], s[2:3]
	s_and_not1_b32 vcc_lo, exec_lo, s1
	s_lshl_b64 s[18:19], s[18:19], 4
	s_mov_b32 s27, -1
	s_add_nc_u64 s[18:19], s[48:49], s[18:19]
                                        ; implicit-def: $vgpr0_vgpr1
                                        ; implicit-def: $vgpr2_vgpr3
	s_cbranch_vccz .LBB540_9
; %bb.8:                                ;   in Loop: Header=BB540_3 Depth=1
	s_and_not1_b32 vcc_lo, exec_lo, s27
	s_cbranch_vccnz .LBB540_2
	s_branch .LBB540_10
.LBB540_9:                              ;   in Loop: Header=BB540_3 Depth=1
	s_wait_xcnt 0x0
	s_delay_alu instid0(VALU_DEP_2) | instskip(SKIP_1) | instid1(VALU_DEP_3)
	v_mul_f64_e32 v[2:3], s[8:9], v[84:85]
	v_mul_f64_e32 v[6:7], s[6:7], v[84:85]
	;; [unrolled: 1-line block ×8, first 2 shown]
	v_lshlrev_b64_e32 v[18:19], 4, v[58:59]
	v_fma_f64 v[4:5], s[6:7], v[82:83], -v[2:3]
	v_fmac_f64_e32 v[6:7], s[8:9], v[82:83]
	v_fmac_f64_e32 v[0:1], s[8:9], v[66:67]
	v_fma_f64 v[8:9], s[6:7], v[74:75], -v[8:9]
	v_fmac_f64_e32 v[10:11], s[8:9], v[74:75]
	v_fma_f64 v[12:13], s[6:7], v[70:71], -v[12:13]
	;; [unrolled: 2-line block ×3, first 2 shown]
	v_lshl_add_u64 v[2:3], v[56:57], 4, s[18:19]
	s_delay_alu instid0(VALU_DEP_1) | instskip(NEXT) | instid1(VALU_DEP_1)
	v_lshl_add_u64 v[20:21], s[22:23], 4, v[2:3]
	v_add_nc_u64_e32 v[20:21], v[20:21], v[18:19]
	v_add_nc_u64_e32 v[18:19], v[2:3], v[18:19]
	s_clause 0x3
	global_store_b128 v[18:19], v[4:7], off
	global_store_b128 v[18:19], v[8:11], off offset:256
	global_store_b128 v[20:21], v[12:15], off
	global_store_b64 v[20:21], v[16:17], off offset:256
	v_add_nc_u64_e32 v[2:3], 0x100, v[20:21]
	s_cbranch_execnz .LBB540_2
.LBB540_10:                             ;   in Loop: Header=BB540_3 Depth=1
	s_mul_u64 s[28:29], s[46:47], s[2:3]
	s_wait_xcnt 0x1
	v_lshlrev_b64_e32 v[4:5], 4, v[58:59]
	v_lshl_add_u64 v[6:7], s[28:29], 4, v[60:61]
	s_wait_xcnt 0x2
	s_delay_alu instid0(VALU_DEP_4) | instskip(SKIP_2) | instid1(VALU_DEP_4)
	v_mul_f64_e32 v[10:11], s[8:9], v[84:85]
	s_wait_xcnt 0x1
	v_mul_f64_e32 v[12:13], s[6:7], v[84:85]
	v_add_nc_u64_e32 v[8:9], v[6:7], v[4:5]
	v_lshl_add_u64 v[6:7], s[24:25], 4, v[6:7]
	s_delay_alu instid0(VALU_DEP_1)
	v_add_nc_u64_e32 v[6:7], v[6:7], v[4:5]
	global_load_b128 v[0:3], v[8:9], off
	v_fma_f64 v[10:11], s[6:7], v[82:83], -v[10:11]
	v_fmac_f64_e32 v[12:13], s[8:9], v[82:83]
	s_wait_loadcnt 0x0
	v_mul_f64_e32 v[14:15], s[40:41], v[2:3]
	v_mul_f64_e32 v[2:3], s[38:39], v[2:3]
	s_delay_alu instid0(VALU_DEP_2) | instskip(NEXT) | instid1(VALU_DEP_2)
	v_fma_f64 v[14:15], s[38:39], v[0:1], -v[14:15]
	v_fmac_f64_e32 v[2:3], s[40:41], v[0:1]
	s_delay_alu instid0(VALU_DEP_2) | instskip(NEXT) | instid1(VALU_DEP_2)
	v_add_f64_e32 v[0:1], v[10:11], v[14:15]
	v_add_f64_e32 v[2:3], v[12:13], v[2:3]
	v_lshl_add_u64 v[10:11], v[56:57], 4, s[18:19]
	v_mul_f64_e32 v[14:15], s[6:7], v[76:77]
	s_delay_alu instid0(VALU_DEP_2)
	v_add_nc_u64_e32 v[12:13], v[10:11], v[4:5]
	global_store_b128 v[12:13], v[0:3], off
	global_load_b128 v[0:3], v[8:9], off offset:256
	s_wait_xcnt 0x0
	v_mul_f64_e32 v[8:9], s[8:9], v[76:77]
	v_fmac_f64_e32 v[14:15], s[8:9], v[74:75]
	s_delay_alu instid0(VALU_DEP_2) | instskip(SKIP_3) | instid1(VALU_DEP_2)
	v_fma_f64 v[8:9], s[6:7], v[74:75], -v[8:9]
	s_wait_loadcnt 0x0
	v_mul_f64_e32 v[16:17], s[40:41], v[2:3]
	v_mul_f64_e32 v[2:3], s[38:39], v[2:3]
	v_fma_f64 v[16:17], s[38:39], v[0:1], -v[16:17]
	s_delay_alu instid0(VALU_DEP_2) | instskip(NEXT) | instid1(VALU_DEP_2)
	v_fmac_f64_e32 v[2:3], s[40:41], v[0:1]
	v_add_f64_e32 v[0:1], v[8:9], v[16:17]
	s_delay_alu instid0(VALU_DEP_2)
	v_add_f64_e32 v[2:3], v[14:15], v[2:3]
	v_mul_f64_e32 v[8:9], s[8:9], v[72:73]
	global_store_b128 v[12:13], v[0:3], off offset:256
	global_load_b128 v[0:3], v[6:7], off
	v_mul_f64_e32 v[12:13], s[6:7], v[72:73]
	v_fma_f64 v[8:9], s[6:7], v[70:71], -v[8:9]
	s_delay_alu instid0(VALU_DEP_2) | instskip(SKIP_3) | instid1(VALU_DEP_2)
	v_fmac_f64_e32 v[12:13], s[8:9], v[70:71]
	s_wait_loadcnt 0x0
	v_mul_f64_e32 v[14:15], s[40:41], v[2:3]
	v_mul_f64_e32 v[2:3], s[38:39], v[2:3]
	v_fma_f64 v[14:15], s[38:39], v[0:1], -v[14:15]
	s_delay_alu instid0(VALU_DEP_2) | instskip(NEXT) | instid1(VALU_DEP_2)
	v_fmac_f64_e32 v[2:3], s[40:41], v[0:1]
	v_add_f64_e32 v[0:1], v[8:9], v[14:15]
	s_delay_alu instid0(VALU_DEP_2) | instskip(SKIP_1) | instid1(VALU_DEP_1)
	v_add_f64_e32 v[2:3], v[12:13], v[2:3]
	v_lshl_add_u64 v[8:9], s[22:23], 4, v[10:11]
	v_add_nc_u64_e32 v[4:5], v[8:9], v[4:5]
	v_mul_f64_e32 v[8:9], s[6:7], v[68:69]
	global_store_b128 v[4:5], v[0:3], off
	global_load_b128 v[0:3], v[6:7], off offset:256
	s_wait_xcnt 0x0
	v_mul_f64_e32 v[6:7], s[8:9], v[68:69]
	v_fmac_f64_e32 v[8:9], s[8:9], v[66:67]
	s_delay_alu instid0(VALU_DEP_2) | instskip(SKIP_3) | instid1(VALU_DEP_2)
	v_fma_f64 v[6:7], s[6:7], v[66:67], -v[6:7]
	s_wait_loadcnt 0x0
	v_mul_f64_e32 v[10:11], s[40:41], v[2:3]
	v_mul_f64_e32 v[2:3], s[38:39], v[2:3]
	v_fma_f64 v[10:11], s[38:39], v[0:1], -v[10:11]
	s_delay_alu instid0(VALU_DEP_2) | instskip(NEXT) | instid1(VALU_DEP_2)
	v_fmac_f64_e32 v[2:3], s[40:41], v[0:1]
	v_add_f64_e32 v[6:7], v[6:7], v[10:11]
	s_delay_alu instid0(VALU_DEP_2)
	v_add_f64_e32 v[0:1], v[8:9], v[2:3]
	v_add_nc_u64_e32 v[2:3], 0x100, v[4:5]
	global_store_b64 v[4:5], v[6:7], off offset:256
	s_branch .LBB540_2
.LBB540_11:
	s_sendmsg sendmsg(MSG_DEALLOC_VGPRS)
	s_endpgm
	.section	.rodata,"a",@progbits
	.p2align	6, 0x0
	.amdhsa_kernel _ZN12_GLOBAL__N_127rocblas_gemm_batched_kernelI19rocblas_complex_numIdELi16ELi16ELi32ELi32ELi8ELi32ELi8ELi8ELi32ELc78ELc84EKS2_S3_S2_EEvlllT_PT11_llS6_llS4_PT12_llPT13_lli
		.amdhsa_group_segment_fixed_size 8192
		.amdhsa_private_segment_fixed_size 0
		.amdhsa_kernarg_size 156
		.amdhsa_user_sgpr_count 2
		.amdhsa_user_sgpr_dispatch_ptr 0
		.amdhsa_user_sgpr_queue_ptr 0
		.amdhsa_user_sgpr_kernarg_segment_ptr 1
		.amdhsa_user_sgpr_dispatch_id 0
		.amdhsa_user_sgpr_kernarg_preload_length 0
		.amdhsa_user_sgpr_kernarg_preload_offset 0
		.amdhsa_user_sgpr_private_segment_size 0
		.amdhsa_wavefront_size32 1
		.amdhsa_uses_dynamic_stack 0
		.amdhsa_enable_private_segment 0
		.amdhsa_system_sgpr_workgroup_id_x 1
		.amdhsa_system_sgpr_workgroup_id_y 1
		.amdhsa_system_sgpr_workgroup_id_z 1
		.amdhsa_system_sgpr_workgroup_info 0
		.amdhsa_system_vgpr_workitem_id 1
		.amdhsa_next_free_vgpr 166
		.amdhsa_next_free_sgpr 52
		.amdhsa_named_barrier_count 0
		.amdhsa_reserve_vcc 1
		.amdhsa_float_round_mode_32 0
		.amdhsa_float_round_mode_16_64 0
		.amdhsa_float_denorm_mode_32 3
		.amdhsa_float_denorm_mode_16_64 3
		.amdhsa_fp16_overflow 0
		.amdhsa_memory_ordered 1
		.amdhsa_forward_progress 1
		.amdhsa_inst_pref_size 21
		.amdhsa_round_robin_scheduling 0
		.amdhsa_exception_fp_ieee_invalid_op 0
		.amdhsa_exception_fp_denorm_src 0
		.amdhsa_exception_fp_ieee_div_zero 0
		.amdhsa_exception_fp_ieee_overflow 0
		.amdhsa_exception_fp_ieee_underflow 0
		.amdhsa_exception_fp_ieee_inexact 0
		.amdhsa_exception_int_div_zero 0
	.end_amdhsa_kernel
	.section	.text._ZN12_GLOBAL__N_127rocblas_gemm_batched_kernelI19rocblas_complex_numIdELi16ELi16ELi32ELi32ELi8ELi32ELi8ELi8ELi32ELc78ELc84EKS2_S3_S2_EEvlllT_PT11_llS6_llS4_PT12_llPT13_lli,"axG",@progbits,_ZN12_GLOBAL__N_127rocblas_gemm_batched_kernelI19rocblas_complex_numIdELi16ELi16ELi32ELi32ELi8ELi32ELi8ELi8ELi32ELc78ELc84EKS2_S3_S2_EEvlllT_PT11_llS6_llS4_PT12_llPT13_lli,comdat
.Lfunc_end540:
	.size	_ZN12_GLOBAL__N_127rocblas_gemm_batched_kernelI19rocblas_complex_numIdELi16ELi16ELi32ELi32ELi8ELi32ELi8ELi8ELi32ELc78ELc84EKS2_S3_S2_EEvlllT_PT11_llS6_llS4_PT12_llPT13_lli, .Lfunc_end540-_ZN12_GLOBAL__N_127rocblas_gemm_batched_kernelI19rocblas_complex_numIdELi16ELi16ELi32ELi32ELi8ELi32ELi8ELi8ELi32ELc78ELc84EKS2_S3_S2_EEvlllT_PT11_llS6_llS4_PT12_llPT13_lli
                                        ; -- End function
	.set _ZN12_GLOBAL__N_127rocblas_gemm_batched_kernelI19rocblas_complex_numIdELi16ELi16ELi32ELi32ELi8ELi32ELi8ELi8ELi32ELc78ELc84EKS2_S3_S2_EEvlllT_PT11_llS6_llS4_PT12_llPT13_lli.num_vgpr, 166
	.set _ZN12_GLOBAL__N_127rocblas_gemm_batched_kernelI19rocblas_complex_numIdELi16ELi16ELi32ELi32ELi8ELi32ELi8ELi8ELi32ELc78ELc84EKS2_S3_S2_EEvlllT_PT11_llS6_llS4_PT12_llPT13_lli.num_agpr, 0
	.set _ZN12_GLOBAL__N_127rocblas_gemm_batched_kernelI19rocblas_complex_numIdELi16ELi16ELi32ELi32ELi8ELi32ELi8ELi8ELi32ELc78ELc84EKS2_S3_S2_EEvlllT_PT11_llS6_llS4_PT12_llPT13_lli.numbered_sgpr, 52
	.set _ZN12_GLOBAL__N_127rocblas_gemm_batched_kernelI19rocblas_complex_numIdELi16ELi16ELi32ELi32ELi8ELi32ELi8ELi8ELi32ELc78ELc84EKS2_S3_S2_EEvlllT_PT11_llS6_llS4_PT12_llPT13_lli.num_named_barrier, 0
	.set _ZN12_GLOBAL__N_127rocblas_gemm_batched_kernelI19rocblas_complex_numIdELi16ELi16ELi32ELi32ELi8ELi32ELi8ELi8ELi32ELc78ELc84EKS2_S3_S2_EEvlllT_PT11_llS6_llS4_PT12_llPT13_lli.private_seg_size, 0
	.set _ZN12_GLOBAL__N_127rocblas_gemm_batched_kernelI19rocblas_complex_numIdELi16ELi16ELi32ELi32ELi8ELi32ELi8ELi8ELi32ELc78ELc84EKS2_S3_S2_EEvlllT_PT11_llS6_llS4_PT12_llPT13_lli.uses_vcc, 1
	.set _ZN12_GLOBAL__N_127rocblas_gemm_batched_kernelI19rocblas_complex_numIdELi16ELi16ELi32ELi32ELi8ELi32ELi8ELi8ELi32ELc78ELc84EKS2_S3_S2_EEvlllT_PT11_llS6_llS4_PT12_llPT13_lli.uses_flat_scratch, 0
	.set _ZN12_GLOBAL__N_127rocblas_gemm_batched_kernelI19rocblas_complex_numIdELi16ELi16ELi32ELi32ELi8ELi32ELi8ELi8ELi32ELc78ELc84EKS2_S3_S2_EEvlllT_PT11_llS6_llS4_PT12_llPT13_lli.has_dyn_sized_stack, 0
	.set _ZN12_GLOBAL__N_127rocblas_gemm_batched_kernelI19rocblas_complex_numIdELi16ELi16ELi32ELi32ELi8ELi32ELi8ELi8ELi32ELc78ELc84EKS2_S3_S2_EEvlllT_PT11_llS6_llS4_PT12_llPT13_lli.has_recursion, 0
	.set _ZN12_GLOBAL__N_127rocblas_gemm_batched_kernelI19rocblas_complex_numIdELi16ELi16ELi32ELi32ELi8ELi32ELi8ELi8ELi32ELc78ELc84EKS2_S3_S2_EEvlllT_PT11_llS6_llS4_PT12_llPT13_lli.has_indirect_call, 0
	.section	.AMDGPU.csdata,"",@progbits
; Kernel info:
; codeLenInByte = 2592
; TotalNumSgprs: 54
; NumVgprs: 166
; ScratchSize: 0
; MemoryBound: 0
; FloatMode: 240
; IeeeMode: 1
; LDSByteSize: 8192 bytes/workgroup (compile time only)
; SGPRBlocks: 0
; VGPRBlocks: 10
; NumSGPRsForWavesPerEU: 54
; NumVGPRsForWavesPerEU: 166
; NamedBarCnt: 0
; Occupancy: 5
; WaveLimiterHint : 1
; COMPUTE_PGM_RSRC2:SCRATCH_EN: 0
; COMPUTE_PGM_RSRC2:USER_SGPR: 2
; COMPUTE_PGM_RSRC2:TRAP_HANDLER: 0
; COMPUTE_PGM_RSRC2:TGID_X_EN: 1
; COMPUTE_PGM_RSRC2:TGID_Y_EN: 1
; COMPUTE_PGM_RSRC2:TGID_Z_EN: 1
; COMPUTE_PGM_RSRC2:TIDIG_COMP_CNT: 1
	.section	.text._ZN12_GLOBAL__N_127rocblas_gemm_batched_kernelI19rocblas_complex_numIdELi16ELi16ELi32ELi32ELi8ELi32ELi8ELi8ELi32ELc84ELc84EKS2_S3_S2_EEvlllT_PT11_llS6_llS4_PT12_llPT13_lli,"axG",@progbits,_ZN12_GLOBAL__N_127rocblas_gemm_batched_kernelI19rocblas_complex_numIdELi16ELi16ELi32ELi32ELi8ELi32ELi8ELi8ELi32ELc84ELc84EKS2_S3_S2_EEvlllT_PT11_llS6_llS4_PT12_llPT13_lli,comdat
	.globl	_ZN12_GLOBAL__N_127rocblas_gemm_batched_kernelI19rocblas_complex_numIdELi16ELi16ELi32ELi32ELi8ELi32ELi8ELi8ELi32ELc84ELc84EKS2_S3_S2_EEvlllT_PT11_llS6_llS4_PT12_llPT13_lli ; -- Begin function _ZN12_GLOBAL__N_127rocblas_gemm_batched_kernelI19rocblas_complex_numIdELi16ELi16ELi32ELi32ELi8ELi32ELi8ELi8ELi32ELc84ELc84EKS2_S3_S2_EEvlllT_PT11_llS6_llS4_PT12_llPT13_lli
	.p2align	8
	.type	_ZN12_GLOBAL__N_127rocblas_gemm_batched_kernelI19rocblas_complex_numIdELi16ELi16ELi32ELi32ELi8ELi32ELi8ELi8ELi32ELc84ELc84EKS2_S3_S2_EEvlllT_PT11_llS6_llS4_PT12_llPT13_lli,@function
_ZN12_GLOBAL__N_127rocblas_gemm_batched_kernelI19rocblas_complex_numIdELi16ELi16ELi32ELi32ELi8ELi32ELi8ELi8ELi32ELc84ELc84EKS2_S3_S2_EEvlllT_PT11_llS6_llS4_PT12_llPT13_lli: ; @_ZN12_GLOBAL__N_127rocblas_gemm_batched_kernelI19rocblas_complex_numIdELi16ELi16ELi32ELi32ELi8ELi32ELi8ELi8ELi32ELc84ELc84EKS2_S3_S2_EEvlllT_PT11_llS6_llS4_PT12_llPT13_lli
; %bb.0:
	s_load_b32 s24, s[0:1], 0x98
	s_bfe_u32 s2, ttmp6, 0x40014
	s_lshr_b32 s3, ttmp7, 16
	s_add_co_i32 s2, s2, 1
	s_bfe_u32 s4, ttmp6, 0x40008
	s_mul_i32 s2, s3, s2
	s_getreg_b32 s20, hwreg(HW_REG_IB_STS2, 6, 4)
	s_add_co_i32 s4, s4, s2
	s_cmp_eq_u32 s20, 0
	s_cselect_b32 s2, s3, s4
	s_mov_b32 s3, 0
	s_wait_kmcnt 0x0
	s_cmp_ge_i32 s2, s24
	s_cbranch_scc1 .LBB541_11
; %bb.1:
	v_bfe_u32 v2, v0, 10, 10
	v_and_b32_e32 v4, 0x3ff, v0
	s_bfe_u32 s21, ttmp6, 0x4000c
	s_bfe_u32 s23, ttmp6, 0x40010
	s_clause 0x1
	s_load_b512 s[4:19], s[0:1], 0x10
	s_load_b512 s[36:51], s[0:1], 0x50
	s_add_co_i32 s21, s21, 1
	s_and_b32 s25, ttmp7, 0xffff
	s_add_co_i32 s23, s23, 1
	s_and_b32 s22, ttmp6, 15
	s_mul_i32 s21, ttmp9, s21
	s_mul_i32 s23, s25, s23
	s_bfe_u32 s26, ttmp6, 0x40004
	v_lshl_add_u32 v16, v2, 4, v4
	s_add_co_i32 s22, s22, s21
	s_add_co_i32 s26, s26, s23
	s_cmp_eq_u32 s20, 0
	s_delay_alu instid0(VALU_DEP_1)
	v_dual_mov_b32 v3, 0 :: v_dual_bitop2_b32 v17, 31, v16 bitop3:0x40
	s_cselect_b32 s20, ttmp9, s22
	s_cselect_b32 s22, s25, s26
	s_ashr_i32 s21, s20, 31
	s_lshl_b32 s22, s22, 5
	s_lshl_b64 s[20:21], s[20:21], 5
	s_mov_b32 s23, s3
	v_dual_mov_b32 v7, s21 :: v_dual_bitop2_b32 v6, s20, v17 bitop3:0x54
	v_add_nc_u64_e32 v[8:9], s[22:23], v[2:3]
	v_dual_mov_b32 v11, v3 :: v_dual_lshrrev_b32 v10, 3, v16
	s_wait_kmcnt 0x0
	v_cmp_eq_f64_e64 s25, s[38:39], 0
	v_mul_u64_e32 v[6:7], s[12:13], v[6:7]
	v_cmp_eq_f64_e64 s26, s[40:41], 0
	v_mov_b32_e32 v5, v3
	v_mul_u64_e32 v[12:13], s[44:45], v[8:9]
	v_add_nc_u64_e32 v[14:15], s[22:23], v[10:11]
	v_and_b32_e32 v11, 7, v0
	v_mul_u64_e32 v[56:57], s[50:51], v[8:9]
	v_lshrrev_b32_e32 v9, 5, v16
	s_load_b64 s[12:13], s[0:1], 0x90
	v_lshl_add_u32 v87, v2, 7, 0x1000
	s_wait_xcnt 0x0
	v_cmp_gt_i64_e64 s0, s[4:5], 0
	v_mad_nc_u64_u32 v[0:1], s18, v11, v[14:15]
	v_lshlrev_b32_e32 v14, 4, v17
	v_dual_lshlrev_b32 v2, 4, v9 :: v_dual_lshlrev_b32 v8, 4, v11
	v_lshlrev_b32_e32 v86, 4, v4
	v_add_nc_u64_e32 v[58:59], s[20:21], v[4:5]
	v_cndmask_b32_e64 v4, 0, 1, s0
	v_lshl_or_b32 v88, v9, 9, v14
	v_lshl_or_b32 v8, v10, 7, v8
	s_lshl_b64 s[20:21], s[50:51], 4
	s_lshl_b64 s[22:23], s[44:45], 4
	v_mad_u32 v1, s19, v11, v1
	v_cmp_ne_u32_e64 s0, 1, v4
	v_add_nc_u32_e32 v89, 0x1000, v8
	v_lshl_add_u64 v[2:3], v[6:7], 4, v[2:3]
	s_delay_alu instid0(VALU_DEP_4)
	v_lshl_add_u64 v[64:65], v[0:1], 4, s[16:17]
	s_and_b32 s1, s25, s26
	v_lshl_add_u64 v[60:61], v[12:13], 4, s[42:43]
	s_lshl_b64 s[16:17], s[18:19], 7
	v_add_nc_u64_e32 v[62:63], s[10:11], v[2:3]
	s_lshl_b64 s[10:11], s[14:15], 4
	s_lshl_b64 s[14:15], s[36:37], 4
	s_branch .LBB541_3
.LBB541_2:                              ;   in Loop: Header=BB541_3 Depth=1
	s_add_co_i32 s2, s2, 0x10000
	global_store_b64 v[2:3], v[0:1], off offset:8
	s_cmp_lt_i32 s2, s24
	s_cbranch_scc0 .LBB541_11
.LBB541_3:                              ; =>This Loop Header: Depth=1
                                        ;     Child Loop BB541_5 Depth 2
	s_and_b32 vcc_lo, exec_lo, s0
	s_cbranch_vccnz .LBB541_6
; %bb.4:                                ;   in Loop: Header=BB541_3 Depth=1
	s_delay_alu instid0(VALU_DEP_1)
	v_mad_nc_u64_u32 v[78:79], s10, s2, v[62:63]
	v_mad_nc_u64_u32 v[80:81], s14, s2, v[64:65]
	v_mov_b64_e32 v[68:69], 0
	v_mov_b64_e32 v[66:67], 0
	;; [unrolled: 1-line block ×8, first 2 shown]
	s_mov_b64 s[18:19], 0
	v_mad_u32 v79, s11, s2, v79
	v_mad_u32 v81, s15, s2, v81
.LBB541_5:                              ;   Parent Loop BB541_3 Depth=1
                                        ; =>  This Inner Loop Header: Depth=2
	global_load_b128 v[0:3], v[78:79], off
	global_load_b128 v[4:7], v[80:81], off
	s_add_nc_u64 s[18:19], s[18:19], 8
	s_wait_xcnt 0x1
	v_add_nc_u64_e32 v[78:79], 0x80, v[78:79]
	v_cmp_lt_i64_e64 s25, s[18:19], s[4:5]
	s_wait_xcnt 0x0
	v_add_nc_u64_e32 v[80:81], s[16:17], v[80:81]
	s_wait_loadcnt 0x1
	ds_store_2addr_b64 v88, v[0:1], v[2:3] offset1:1
	s_wait_loadcnt 0x0
	ds_store_2addr_b64 v89, v[4:5], v[6:7] offset1:1
	s_wait_dscnt 0x0
	s_barrier_signal -1
	s_barrier_wait -1
	ds_load_b128 v[0:3], v86
	ds_load_b128 v[8:11], v86 offset:256
	ds_load_b128 v[12:15], v87
	ds_load_b128 v[4:7], v87 offset:16
	ds_load_b128 v[16:19], v87 offset:2048
	;; [unrolled: 1-line block ×28, first 2 shown]
	s_wait_dscnt 0x1c
	v_mul_f64_e32 v[160:161], v[12:13], v[2:3]
	v_mul_f64_e32 v[164:165], v[12:13], v[10:11]
	;; [unrolled: 1-line block ×4, first 2 shown]
	s_and_b32 vcc_lo, exec_lo, s25
	s_delay_alu instid0(VALU_DEP_4) | instskip(NEXT) | instid1(VALU_DEP_4)
	v_fmac_f64_e32 v[160:161], v[14:15], v[0:1]
	v_fmac_f64_e32 v[164:165], v[14:15], v[8:9]
	s_wait_dscnt 0x1a
	v_mul_f64_e32 v[14:15], v[18:19], v[2:3]
	v_mul_f64_e32 v[2:3], v[16:17], v[2:3]
	v_fma_f64 v[158:159], v[12:13], v[0:1], -v[158:159]
	v_fma_f64 v[12:13], v[12:13], v[8:9], -v[162:163]
	s_wait_dscnt 0x17
	v_mul_f64_e32 v[162:163], v[4:5], v[34:35]
	v_add_f64_e32 v[84:85], v[160:161], v[84:85]
	v_add_f64_e32 v[76:77], v[164:165], v[76:77]
	v_fma_f64 v[14:15], v[16:17], v[0:1], -v[14:15]
	v_fmac_f64_e32 v[2:3], v[18:19], v[0:1]
	v_mul_f64_e32 v[0:1], v[18:19], v[10:11]
	v_mul_f64_e32 v[10:11], v[16:17], v[10:11]
	v_fmac_f64_e32 v[162:163], v[6:7], v[32:33]
	v_add_f64_e32 v[12:13], v[74:75], v[12:13]
	s_wait_dscnt 0x10
	v_mul_f64_e32 v[74:75], v[22:23], v[92:93]
	v_add_f64_e32 v[14:15], v[70:71], v[14:15]
	v_add_f64_e32 v[2:3], v[2:3], v[72:73]
	v_fma_f64 v[0:1], v[16:17], v[8:9], -v[0:1]
	v_fmac_f64_e32 v[10:11], v[18:19], v[8:9]
	v_mul_f64_e32 v[8:9], v[6:7], v[30:31]
	v_mul_f64_e32 v[16:17], v[4:5], v[30:31]
	;; [unrolled: 1-line block ×3, first 2 shown]
	s_wait_dscnt 0xf
	v_mul_f64_e32 v[70:71], v[22:23], v[96:97]
	v_mul_f64_e32 v[72:73], v[20:21], v[96:97]
	v_fma_f64 v[74:75], v[20:21], v[90:91], -v[74:75]
	v_add_f64_e32 v[0:1], v[66:67], v[0:1]
	v_add_f64_e32 v[10:11], v[10:11], v[68:69]
	v_fma_f64 v[8:9], v[4:5], v[28:29], -v[8:9]
	v_fmac_f64_e32 v[16:17], v[6:7], v[28:29]
	v_fma_f64 v[4:5], v[4:5], v[32:33], -v[18:19]
	v_mul_f64_e32 v[6:7], v[26:27], v[30:31]
	v_mul_f64_e32 v[18:19], v[24:25], v[30:31]
	;; [unrolled: 1-line block ×5, first 2 shown]
	v_fmac_f64_e32 v[72:73], v[22:23], v[94:95]
	v_add_f64_e32 v[16:17], v[16:17], v[84:85]
	v_add_f64_e32 v[4:5], v[12:13], v[4:5]
	v_fma_f64 v[6:7], v[24:25], v[28:29], -v[6:7]
	v_fmac_f64_e32 v[18:19], v[26:27], v[28:29]
	v_mul_f64_e32 v[28:29], v[26:27], v[34:35]
	v_fmac_f64_e32 v[30:31], v[26:27], v[32:33]
	v_mul_f64_e32 v[26:27], v[46:47], v[38:39]
	v_mul_f64_e32 v[34:35], v[44:45], v[42:43]
	v_add_f64_e32 v[12:13], v[162:163], v[76:77]
	s_wait_dscnt 0xa
	v_mul_f64_e32 v[84:85], v[114:115], v[100:101]
	v_fmac_f64_e32 v[68:69], v[54:55], v[90:91]
	s_wait_dscnt 0x7
	v_mul_f64_e32 v[76:77], v[112:113], v[128:129]
	v_add_f64_e32 v[6:7], v[14:15], v[6:7]
	v_add_f64_e32 v[2:3], v[18:19], v[2:3]
	v_fma_f64 v[24:25], v[24:25], v[32:33], -v[28:29]
	v_mul_f64_e32 v[28:29], v[44:45], v[38:39]
	v_mul_f64_e32 v[32:33], v[46:47], v[42:43]
	v_fma_f64 v[26:27], v[44:45], v[36:37], -v[26:27]
	v_fmac_f64_e32 v[34:35], v[46:47], v[40:41]
	v_add_f64_e32 v[10:11], v[30:31], v[10:11]
	v_mul_f64_e32 v[14:15], v[116:117], v[104:105]
	v_mul_f64_e32 v[18:19], v[114:115], v[104:105]
	;; [unrolled: 1-line block ×3, first 2 shown]
	v_fmac_f64_e32 v[84:85], v[116:117], v[98:99]
	v_add_f64_e32 v[0:1], v[0:1], v[24:25]
	v_fmac_f64_e32 v[28:29], v[46:47], v[36:37]
	v_fma_f64 v[32:33], v[44:45], v[40:41], -v[32:33]
	v_mul_f64_e32 v[44:45], v[50:51], v[38:39]
	v_mul_f64_e32 v[38:39], v[48:49], v[38:39]
	v_add_f64_e32 v[46:47], v[82:83], v[158:159]
	v_mul_f64_e32 v[82:83], v[50:51], v[42:43]
	v_mul_f64_e32 v[42:43], v[48:49], v[42:43]
	;; [unrolled: 1-line block ×4, first 2 shown]
	v_fma_f64 v[20:21], v[20:21], v[94:95], -v[70:71]
	v_add_f64_e32 v[12:13], v[34:35], v[12:13]
	v_mul_f64_e32 v[24:25], v[112:113], v[124:125]
	v_mul_f64_e32 v[34:35], v[118:119], v[128:129]
	v_fma_f64 v[14:15], v[114:115], v[102:103], -v[14:15]
	v_fmac_f64_e32 v[18:19], v[116:117], v[102:103]
	v_fmac_f64_e32 v[30:31], v[112:113], v[122:123]
	v_add_f64_e32 v[16:17], v[28:29], v[16:17]
	v_add_f64_e32 v[4:5], v[4:5], v[32:33]
	v_fma_f64 v[44:45], v[48:49], v[36:37], -v[44:45]
	v_fmac_f64_e32 v[38:39], v[50:51], v[36:37]
	v_mul_f64_e32 v[36:37], v[54:55], v[96:97]
	v_fma_f64 v[48:49], v[48:49], v[40:41], -v[82:83]
	v_fmac_f64_e32 v[42:43], v[50:51], v[40:41]
	v_add_f64_e32 v[8:9], v[46:47], v[8:9]
	v_mul_f64_e32 v[40:41], v[108:109], v[100:101]
	v_mul_f64_e32 v[50:51], v[106:107], v[100:101]
	;; [unrolled: 1-line block ×5, first 2 shown]
	v_fmac_f64_e32 v[158:159], v[22:23], v[90:91]
	v_fma_f64 v[22:23], v[52:53], v[90:91], -v[66:67]
	v_fmac_f64_e32 v[92:93], v[54:55], v[94:95]
	v_mul_f64_e32 v[100:101], v[110:111], v[128:129]
	v_mul_f64_e32 v[28:29], v[118:119], v[124:125]
	;; [unrolled: 1-line block ×3, first 2 shown]
	v_add_f64_e32 v[12:13], v[72:73], v[12:13]
	s_wait_dscnt 0x1
	v_mul_f64_e32 v[54:55], v[150:151], v[136:137]
	v_fma_f64 v[24:25], v[110:111], v[122:123], -v[24:25]
	v_fma_f64 v[66:67], v[110:111], v[126:127], -v[76:77]
	v_fmac_f64_e32 v[34:35], v[120:121], v[126:127]
	s_wait_dscnt 0x0
	v_mul_f64_e32 v[72:73], v[154:155], v[148:149]
	v_add_f64_e32 v[4:5], v[4:5], v[20:21]
	v_add_f64_e32 v[6:7], v[6:7], v[44:45]
	;; [unrolled: 1-line block ×3, first 2 shown]
	v_fma_f64 v[36:37], v[52:53], v[94:95], -v[36:37]
	v_add_f64_e32 v[0:1], v[0:1], v[48:49]
	v_add_f64_e32 v[10:11], v[42:43], v[10:11]
	;; [unrolled: 1-line block ×3, first 2 shown]
	v_mul_f64_e32 v[26:27], v[120:121], v[124:125]
	v_fma_f64 v[40:41], v[106:107], v[98:99], -v[40:41]
	v_fmac_f64_e32 v[50:51], v[108:109], v[98:99]
	v_fma_f64 v[44:45], v[106:107], v[102:103], -v[82:83]
	v_fmac_f64_e32 v[96:97], v[108:109], v[102:103]
	v_fma_f64 v[46:47], v[114:115], v[98:99], -v[46:47]
	v_add_f64_e32 v[16:17], v[158:159], v[16:17]
	v_mul_f64_e32 v[38:39], v[140:141], v[132:133]
	v_mul_f64_e32 v[42:43], v[138:139], v[132:133]
	;; [unrolled: 1-line block ×5, first 2 shown]
	v_fmac_f64_e32 v[100:101], v[112:113], v[126:127]
	v_fmac_f64_e32 v[28:29], v[120:121], v[122:123]
	v_fma_f64 v[32:33], v[118:119], v[126:127], -v[32:33]
	v_fmac_f64_e32 v[54:55], v[152:153], v[134:135]
	v_fmac_f64_e32 v[72:73], v[156:157], v[146:147]
	v_add_f64_e32 v[6:7], v[6:7], v[22:23]
	v_add_f64_e32 v[2:3], v[68:69], v[2:3]
	v_mul_f64_e32 v[22:23], v[138:139], v[136:137]
	v_add_f64_e32 v[0:1], v[0:1], v[36:37]
	v_add_f64_e32 v[10:11], v[92:93], v[10:11]
	;; [unrolled: 1-line block ×3, first 2 shown]
	v_mul_f64_e32 v[36:37], v[152:153], v[132:133]
	v_fma_f64 v[26:27], v[118:119], v[122:123], -v[26:27]
	v_mul_f64_e32 v[68:69], v[156:157], v[148:149]
	v_add_f64_e32 v[4:5], v[4:5], v[44:45]
	v_add_f64_e32 v[12:13], v[96:97], v[12:13]
	v_mul_f64_e32 v[44:45], v[142:143], v[148:149]
	v_add_f64_e32 v[16:17], v[50:51], v[16:17]
	v_fma_f64 v[38:39], v[138:139], v[130:131], -v[38:39]
	v_fmac_f64_e32 v[42:43], v[140:141], v[130:131]
	v_fma_f64 v[20:21], v[138:139], v[134:135], -v[20:21]
	v_fmac_f64_e32 v[48:49], v[152:153], v[130:131]
	v_fma_f64 v[52:53], v[150:151], v[134:135], -v[52:53]
	v_add_f64_e32 v[6:7], v[6:7], v[46:47]
	v_fmac_f64_e32 v[22:23], v[140:141], v[134:135]
	v_add_f64_e32 v[14:15], v[0:1], v[14:15]
	v_add_f64_e32 v[10:11], v[18:19], v[10:11]
	;; [unrolled: 1-line block ×4, first 2 shown]
	ds_load_b128 v[0:3], v86 offset:3840
	v_mul_f64_e32 v[18:19], v[144:145], v[148:149]
	v_fma_f64 v[36:37], v[150:151], v[130:131], -v[36:37]
	v_add_f64_e32 v[4:5], v[4:5], v[66:67]
	v_add_f64_e32 v[12:13], v[100:101], v[12:13]
	;; [unrolled: 1-line block ×3, first 2 shown]
	v_fmac_f64_e32 v[44:45], v[144:145], v[146:147]
	s_wait_dscnt 0x0
	s_barrier_signal -1
	s_barrier_wait -1
	v_mul_f64_e32 v[46:47], v[144:145], v[2:3]
	v_mul_f64_e32 v[50:51], v[142:143], v[2:3]
	;; [unrolled: 1-line block ×4, first 2 shown]
	v_add_f64_e32 v[6:7], v[6:7], v[26:27]
	v_add_f64_e32 v[14:15], v[14:15], v[32:33]
	;; [unrolled: 1-line block ×5, first 2 shown]
	v_fma_f64 v[28:29], v[154:155], v[146:147], -v[68:69]
	v_fma_f64 v[18:19], v[142:143], v[146:147], -v[18:19]
	v_add_f64_e32 v[4:5], v[4:5], v[20:21]
	v_add_f64_e32 v[12:13], v[22:23], v[12:13]
	v_fma_f64 v[26:27], v[142:143], v[0:1], -v[46:47]
	v_fmac_f64_e32 v[50:51], v[144:145], v[0:1]
	v_fma_f64 v[30:31], v[154:155], v[0:1], -v[70:71]
	v_fmac_f64_e32 v[2:3], v[156:157], v[0:1]
	v_add_f64_e32 v[6:7], v[6:7], v[36:37]
	v_add_f64_e32 v[14:15], v[14:15], v[52:53]
	;; [unrolled: 1-line block ×14, first 2 shown]
	s_cbranch_vccnz .LBB541_5
	s_branch .LBB541_7
.LBB541_6:                              ;   in Loop: Header=BB541_3 Depth=1
	v_mov_b64_e32 v[82:83], 0
	v_mov_b64_e32 v[84:85], 0
	;; [unrolled: 1-line block ×8, first 2 shown]
.LBB541_7:                              ;   in Loop: Header=BB541_3 Depth=1
	s_wait_kmcnt 0x0
	s_mul_u64 s[18:19], s[12:13], s[2:3]
	s_and_not1_b32 vcc_lo, exec_lo, s1
	s_lshl_b64 s[18:19], s[18:19], 4
	s_mov_b32 s25, -1
	s_add_nc_u64 s[18:19], s[48:49], s[18:19]
                                        ; implicit-def: $vgpr0_vgpr1
                                        ; implicit-def: $vgpr2_vgpr3
	s_cbranch_vccz .LBB541_9
; %bb.8:                                ;   in Loop: Header=BB541_3 Depth=1
	s_and_not1_b32 vcc_lo, exec_lo, s25
	s_cbranch_vccnz .LBB541_2
	s_branch .LBB541_10
.LBB541_9:                              ;   in Loop: Header=BB541_3 Depth=1
	s_wait_xcnt 0x0
	s_delay_alu instid0(VALU_DEP_2) | instskip(SKIP_1) | instid1(VALU_DEP_3)
	v_mul_f64_e32 v[2:3], s[8:9], v[84:85]
	v_mul_f64_e32 v[6:7], s[6:7], v[84:85]
	v_mul_f64_e32 v[0:1], s[6:7], v[68:69]
	v_mul_f64_e32 v[8:9], s[8:9], v[76:77]
	v_mul_f64_e32 v[10:11], s[6:7], v[76:77]
	v_mul_f64_e32 v[12:13], s[8:9], v[72:73]
	v_mul_f64_e32 v[14:15], s[6:7], v[72:73]
	v_mul_f64_e32 v[16:17], s[8:9], v[68:69]
	v_lshlrev_b64_e32 v[18:19], 4, v[58:59]
	v_fma_f64 v[4:5], s[6:7], v[82:83], -v[2:3]
	v_fmac_f64_e32 v[6:7], s[8:9], v[82:83]
	v_fmac_f64_e32 v[0:1], s[8:9], v[66:67]
	v_fma_f64 v[8:9], s[6:7], v[74:75], -v[8:9]
	v_fmac_f64_e32 v[10:11], s[8:9], v[74:75]
	v_fma_f64 v[12:13], s[6:7], v[70:71], -v[12:13]
	;; [unrolled: 2-line block ×3, first 2 shown]
	v_lshl_add_u64 v[2:3], v[56:57], 4, s[18:19]
	s_delay_alu instid0(VALU_DEP_1) | instskip(NEXT) | instid1(VALU_DEP_1)
	v_lshl_add_u64 v[20:21], s[20:21], 4, v[2:3]
	v_add_nc_u64_e32 v[20:21], v[20:21], v[18:19]
	v_add_nc_u64_e32 v[18:19], v[2:3], v[18:19]
	s_clause 0x3
	global_store_b128 v[18:19], v[4:7], off
	global_store_b128 v[18:19], v[8:11], off offset:256
	global_store_b128 v[20:21], v[12:15], off
	global_store_b64 v[20:21], v[16:17], off offset:256
	v_add_nc_u64_e32 v[2:3], 0x100, v[20:21]
	s_cbranch_execnz .LBB541_2
.LBB541_10:                             ;   in Loop: Header=BB541_3 Depth=1
	s_mul_u64 s[26:27], s[46:47], s[2:3]
	s_wait_xcnt 0x1
	v_lshlrev_b64_e32 v[4:5], 4, v[58:59]
	v_lshl_add_u64 v[6:7], s[26:27], 4, v[60:61]
	s_wait_xcnt 0x2
	s_delay_alu instid0(VALU_DEP_4) | instskip(SKIP_2) | instid1(VALU_DEP_4)
	v_mul_f64_e32 v[10:11], s[8:9], v[84:85]
	s_wait_xcnt 0x1
	v_mul_f64_e32 v[12:13], s[6:7], v[84:85]
	v_add_nc_u64_e32 v[8:9], v[6:7], v[4:5]
	v_lshl_add_u64 v[6:7], s[22:23], 4, v[6:7]
	s_delay_alu instid0(VALU_DEP_1)
	v_add_nc_u64_e32 v[6:7], v[6:7], v[4:5]
	global_load_b128 v[0:3], v[8:9], off
	v_fma_f64 v[10:11], s[6:7], v[82:83], -v[10:11]
	v_fmac_f64_e32 v[12:13], s[8:9], v[82:83]
	s_wait_loadcnt 0x0
	v_mul_f64_e32 v[14:15], s[40:41], v[2:3]
	v_mul_f64_e32 v[2:3], s[38:39], v[2:3]
	s_delay_alu instid0(VALU_DEP_2) | instskip(NEXT) | instid1(VALU_DEP_2)
	v_fma_f64 v[14:15], s[38:39], v[0:1], -v[14:15]
	v_fmac_f64_e32 v[2:3], s[40:41], v[0:1]
	s_delay_alu instid0(VALU_DEP_2) | instskip(NEXT) | instid1(VALU_DEP_2)
	v_add_f64_e32 v[0:1], v[10:11], v[14:15]
	v_add_f64_e32 v[2:3], v[12:13], v[2:3]
	v_lshl_add_u64 v[10:11], v[56:57], 4, s[18:19]
	v_mul_f64_e32 v[14:15], s[6:7], v[76:77]
	s_delay_alu instid0(VALU_DEP_2)
	v_add_nc_u64_e32 v[12:13], v[10:11], v[4:5]
	global_store_b128 v[12:13], v[0:3], off
	global_load_b128 v[0:3], v[8:9], off offset:256
	s_wait_xcnt 0x0
	v_mul_f64_e32 v[8:9], s[8:9], v[76:77]
	v_fmac_f64_e32 v[14:15], s[8:9], v[74:75]
	s_delay_alu instid0(VALU_DEP_2) | instskip(SKIP_3) | instid1(VALU_DEP_2)
	v_fma_f64 v[8:9], s[6:7], v[74:75], -v[8:9]
	s_wait_loadcnt 0x0
	v_mul_f64_e32 v[16:17], s[40:41], v[2:3]
	v_mul_f64_e32 v[2:3], s[38:39], v[2:3]
	v_fma_f64 v[16:17], s[38:39], v[0:1], -v[16:17]
	s_delay_alu instid0(VALU_DEP_2) | instskip(NEXT) | instid1(VALU_DEP_2)
	v_fmac_f64_e32 v[2:3], s[40:41], v[0:1]
	v_add_f64_e32 v[0:1], v[8:9], v[16:17]
	s_delay_alu instid0(VALU_DEP_2)
	v_add_f64_e32 v[2:3], v[14:15], v[2:3]
	v_mul_f64_e32 v[8:9], s[8:9], v[72:73]
	global_store_b128 v[12:13], v[0:3], off offset:256
	global_load_b128 v[0:3], v[6:7], off
	v_mul_f64_e32 v[12:13], s[6:7], v[72:73]
	v_fma_f64 v[8:9], s[6:7], v[70:71], -v[8:9]
	s_delay_alu instid0(VALU_DEP_2) | instskip(SKIP_3) | instid1(VALU_DEP_2)
	v_fmac_f64_e32 v[12:13], s[8:9], v[70:71]
	s_wait_loadcnt 0x0
	v_mul_f64_e32 v[14:15], s[40:41], v[2:3]
	v_mul_f64_e32 v[2:3], s[38:39], v[2:3]
	v_fma_f64 v[14:15], s[38:39], v[0:1], -v[14:15]
	s_delay_alu instid0(VALU_DEP_2) | instskip(NEXT) | instid1(VALU_DEP_2)
	v_fmac_f64_e32 v[2:3], s[40:41], v[0:1]
	v_add_f64_e32 v[0:1], v[8:9], v[14:15]
	s_delay_alu instid0(VALU_DEP_2) | instskip(SKIP_1) | instid1(VALU_DEP_1)
	v_add_f64_e32 v[2:3], v[12:13], v[2:3]
	v_lshl_add_u64 v[8:9], s[20:21], 4, v[10:11]
	v_add_nc_u64_e32 v[4:5], v[8:9], v[4:5]
	v_mul_f64_e32 v[8:9], s[6:7], v[68:69]
	global_store_b128 v[4:5], v[0:3], off
	global_load_b128 v[0:3], v[6:7], off offset:256
	s_wait_xcnt 0x0
	v_mul_f64_e32 v[6:7], s[8:9], v[68:69]
	v_fmac_f64_e32 v[8:9], s[8:9], v[66:67]
	s_delay_alu instid0(VALU_DEP_2) | instskip(SKIP_3) | instid1(VALU_DEP_2)
	v_fma_f64 v[6:7], s[6:7], v[66:67], -v[6:7]
	s_wait_loadcnt 0x0
	v_mul_f64_e32 v[10:11], s[40:41], v[2:3]
	v_mul_f64_e32 v[2:3], s[38:39], v[2:3]
	v_fma_f64 v[10:11], s[38:39], v[0:1], -v[10:11]
	s_delay_alu instid0(VALU_DEP_2) | instskip(NEXT) | instid1(VALU_DEP_2)
	v_fmac_f64_e32 v[2:3], s[40:41], v[0:1]
	v_add_f64_e32 v[6:7], v[6:7], v[10:11]
	s_delay_alu instid0(VALU_DEP_2)
	v_add_f64_e32 v[0:1], v[8:9], v[2:3]
	v_add_nc_u64_e32 v[2:3], 0x100, v[4:5]
	global_store_b64 v[4:5], v[6:7], off offset:256
	s_branch .LBB541_2
.LBB541_11:
	s_sendmsg sendmsg(MSG_DEALLOC_VGPRS)
	s_endpgm
	.section	.rodata,"a",@progbits
	.p2align	6, 0x0
	.amdhsa_kernel _ZN12_GLOBAL__N_127rocblas_gemm_batched_kernelI19rocblas_complex_numIdELi16ELi16ELi32ELi32ELi8ELi32ELi8ELi8ELi32ELc84ELc84EKS2_S3_S2_EEvlllT_PT11_llS6_llS4_PT12_llPT13_lli
		.amdhsa_group_segment_fixed_size 8192
		.amdhsa_private_segment_fixed_size 0
		.amdhsa_kernarg_size 156
		.amdhsa_user_sgpr_count 2
		.amdhsa_user_sgpr_dispatch_ptr 0
		.amdhsa_user_sgpr_queue_ptr 0
		.amdhsa_user_sgpr_kernarg_segment_ptr 1
		.amdhsa_user_sgpr_dispatch_id 0
		.amdhsa_user_sgpr_kernarg_preload_length 0
		.amdhsa_user_sgpr_kernarg_preload_offset 0
		.amdhsa_user_sgpr_private_segment_size 0
		.amdhsa_wavefront_size32 1
		.amdhsa_uses_dynamic_stack 0
		.amdhsa_enable_private_segment 0
		.amdhsa_system_sgpr_workgroup_id_x 1
		.amdhsa_system_sgpr_workgroup_id_y 1
		.amdhsa_system_sgpr_workgroup_id_z 1
		.amdhsa_system_sgpr_workgroup_info 0
		.amdhsa_system_vgpr_workitem_id 1
		.amdhsa_next_free_vgpr 166
		.amdhsa_next_free_sgpr 52
		.amdhsa_named_barrier_count 0
		.amdhsa_reserve_vcc 1
		.amdhsa_float_round_mode_32 0
		.amdhsa_float_round_mode_16_64 0
		.amdhsa_float_denorm_mode_32 3
		.amdhsa_float_denorm_mode_16_64 3
		.amdhsa_fp16_overflow 0
		.amdhsa_memory_ordered 1
		.amdhsa_forward_progress 1
		.amdhsa_inst_pref_size 21
		.amdhsa_round_robin_scheduling 0
		.amdhsa_exception_fp_ieee_invalid_op 0
		.amdhsa_exception_fp_denorm_src 0
		.amdhsa_exception_fp_ieee_div_zero 0
		.amdhsa_exception_fp_ieee_overflow 0
		.amdhsa_exception_fp_ieee_underflow 0
		.amdhsa_exception_fp_ieee_inexact 0
		.amdhsa_exception_int_div_zero 0
	.end_amdhsa_kernel
	.section	.text._ZN12_GLOBAL__N_127rocblas_gemm_batched_kernelI19rocblas_complex_numIdELi16ELi16ELi32ELi32ELi8ELi32ELi8ELi8ELi32ELc84ELc84EKS2_S3_S2_EEvlllT_PT11_llS6_llS4_PT12_llPT13_lli,"axG",@progbits,_ZN12_GLOBAL__N_127rocblas_gemm_batched_kernelI19rocblas_complex_numIdELi16ELi16ELi32ELi32ELi8ELi32ELi8ELi8ELi32ELc84ELc84EKS2_S3_S2_EEvlllT_PT11_llS6_llS4_PT12_llPT13_lli,comdat
.Lfunc_end541:
	.size	_ZN12_GLOBAL__N_127rocblas_gemm_batched_kernelI19rocblas_complex_numIdELi16ELi16ELi32ELi32ELi8ELi32ELi8ELi8ELi32ELc84ELc84EKS2_S3_S2_EEvlllT_PT11_llS6_llS4_PT12_llPT13_lli, .Lfunc_end541-_ZN12_GLOBAL__N_127rocblas_gemm_batched_kernelI19rocblas_complex_numIdELi16ELi16ELi32ELi32ELi8ELi32ELi8ELi8ELi32ELc84ELc84EKS2_S3_S2_EEvlllT_PT11_llS6_llS4_PT12_llPT13_lli
                                        ; -- End function
	.set _ZN12_GLOBAL__N_127rocblas_gemm_batched_kernelI19rocblas_complex_numIdELi16ELi16ELi32ELi32ELi8ELi32ELi8ELi8ELi32ELc84ELc84EKS2_S3_S2_EEvlllT_PT11_llS6_llS4_PT12_llPT13_lli.num_vgpr, 166
	.set _ZN12_GLOBAL__N_127rocblas_gemm_batched_kernelI19rocblas_complex_numIdELi16ELi16ELi32ELi32ELi8ELi32ELi8ELi8ELi32ELc84ELc84EKS2_S3_S2_EEvlllT_PT11_llS6_llS4_PT12_llPT13_lli.num_agpr, 0
	.set _ZN12_GLOBAL__N_127rocblas_gemm_batched_kernelI19rocblas_complex_numIdELi16ELi16ELi32ELi32ELi8ELi32ELi8ELi8ELi32ELc84ELc84EKS2_S3_S2_EEvlllT_PT11_llS6_llS4_PT12_llPT13_lli.numbered_sgpr, 52
	.set _ZN12_GLOBAL__N_127rocblas_gemm_batched_kernelI19rocblas_complex_numIdELi16ELi16ELi32ELi32ELi8ELi32ELi8ELi8ELi32ELc84ELc84EKS2_S3_S2_EEvlllT_PT11_llS6_llS4_PT12_llPT13_lli.num_named_barrier, 0
	.set _ZN12_GLOBAL__N_127rocblas_gemm_batched_kernelI19rocblas_complex_numIdELi16ELi16ELi32ELi32ELi8ELi32ELi8ELi8ELi32ELc84ELc84EKS2_S3_S2_EEvlllT_PT11_llS6_llS4_PT12_llPT13_lli.private_seg_size, 0
	.set _ZN12_GLOBAL__N_127rocblas_gemm_batched_kernelI19rocblas_complex_numIdELi16ELi16ELi32ELi32ELi8ELi32ELi8ELi8ELi32ELc84ELc84EKS2_S3_S2_EEvlllT_PT11_llS6_llS4_PT12_llPT13_lli.uses_vcc, 1
	.set _ZN12_GLOBAL__N_127rocblas_gemm_batched_kernelI19rocblas_complex_numIdELi16ELi16ELi32ELi32ELi8ELi32ELi8ELi8ELi32ELc84ELc84EKS2_S3_S2_EEvlllT_PT11_llS6_llS4_PT12_llPT13_lli.uses_flat_scratch, 0
	.set _ZN12_GLOBAL__N_127rocblas_gemm_batched_kernelI19rocblas_complex_numIdELi16ELi16ELi32ELi32ELi8ELi32ELi8ELi8ELi32ELc84ELc84EKS2_S3_S2_EEvlllT_PT11_llS6_llS4_PT12_llPT13_lli.has_dyn_sized_stack, 0
	.set _ZN12_GLOBAL__N_127rocblas_gemm_batched_kernelI19rocblas_complex_numIdELi16ELi16ELi32ELi32ELi8ELi32ELi8ELi8ELi32ELc84ELc84EKS2_S3_S2_EEvlllT_PT11_llS6_llS4_PT12_llPT13_lli.has_recursion, 0
	.set _ZN12_GLOBAL__N_127rocblas_gemm_batched_kernelI19rocblas_complex_numIdELi16ELi16ELi32ELi32ELi8ELi32ELi8ELi8ELi32ELc84ELc84EKS2_S3_S2_EEvlllT_PT11_llS6_llS4_PT12_llPT13_lli.has_indirect_call, 0
	.section	.AMDGPU.csdata,"",@progbits
; Kernel info:
; codeLenInByte = 2588
; TotalNumSgprs: 54
; NumVgprs: 166
; ScratchSize: 0
; MemoryBound: 0
; FloatMode: 240
; IeeeMode: 1
; LDSByteSize: 8192 bytes/workgroup (compile time only)
; SGPRBlocks: 0
; VGPRBlocks: 10
; NumSGPRsForWavesPerEU: 54
; NumVGPRsForWavesPerEU: 166
; NamedBarCnt: 0
; Occupancy: 5
; WaveLimiterHint : 1
; COMPUTE_PGM_RSRC2:SCRATCH_EN: 0
; COMPUTE_PGM_RSRC2:USER_SGPR: 2
; COMPUTE_PGM_RSRC2:TRAP_HANDLER: 0
; COMPUTE_PGM_RSRC2:TGID_X_EN: 1
; COMPUTE_PGM_RSRC2:TGID_Y_EN: 1
; COMPUTE_PGM_RSRC2:TGID_Z_EN: 1
; COMPUTE_PGM_RSRC2:TIDIG_COMP_CNT: 1
	.section	.text._ZN12_GLOBAL__N_127rocblas_gemm_batched_kernelI19rocblas_complex_numIdELi16ELi16ELi32ELi32ELi8ELi32ELi8ELi8ELi32ELc67ELc67EKS2_S3_S2_EEvlllT_PT11_llS6_llS4_PT12_llPT13_lli,"axG",@progbits,_ZN12_GLOBAL__N_127rocblas_gemm_batched_kernelI19rocblas_complex_numIdELi16ELi16ELi32ELi32ELi8ELi32ELi8ELi8ELi32ELc67ELc67EKS2_S3_S2_EEvlllT_PT11_llS6_llS4_PT12_llPT13_lli,comdat
	.globl	_ZN12_GLOBAL__N_127rocblas_gemm_batched_kernelI19rocblas_complex_numIdELi16ELi16ELi32ELi32ELi8ELi32ELi8ELi8ELi32ELc67ELc67EKS2_S3_S2_EEvlllT_PT11_llS6_llS4_PT12_llPT13_lli ; -- Begin function _ZN12_GLOBAL__N_127rocblas_gemm_batched_kernelI19rocblas_complex_numIdELi16ELi16ELi32ELi32ELi8ELi32ELi8ELi8ELi32ELc67ELc67EKS2_S3_S2_EEvlllT_PT11_llS6_llS4_PT12_llPT13_lli
	.p2align	8
	.type	_ZN12_GLOBAL__N_127rocblas_gemm_batched_kernelI19rocblas_complex_numIdELi16ELi16ELi32ELi32ELi8ELi32ELi8ELi8ELi32ELc67ELc67EKS2_S3_S2_EEvlllT_PT11_llS6_llS4_PT12_llPT13_lli,@function
_ZN12_GLOBAL__N_127rocblas_gemm_batched_kernelI19rocblas_complex_numIdELi16ELi16ELi32ELi32ELi8ELi32ELi8ELi8ELi32ELc67ELc67EKS2_S3_S2_EEvlllT_PT11_llS6_llS4_PT12_llPT13_lli: ; @_ZN12_GLOBAL__N_127rocblas_gemm_batched_kernelI19rocblas_complex_numIdELi16ELi16ELi32ELi32ELi8ELi32ELi8ELi8ELi32ELc67ELc67EKS2_S3_S2_EEvlllT_PT11_llS6_llS4_PT12_llPT13_lli
; %bb.0:
	s_load_b32 s24, s[0:1], 0x98
	s_bfe_u32 s2, ttmp6, 0x40014
	s_lshr_b32 s3, ttmp7, 16
	s_add_co_i32 s2, s2, 1
	s_bfe_u32 s4, ttmp6, 0x40008
	s_mul_i32 s2, s3, s2
	s_getreg_b32 s20, hwreg(HW_REG_IB_STS2, 6, 4)
	s_add_co_i32 s4, s4, s2
	s_cmp_eq_u32 s20, 0
	s_cselect_b32 s2, s3, s4
	s_mov_b32 s3, 0
	s_wait_kmcnt 0x0
	s_cmp_ge_i32 s2, s24
	s_cbranch_scc1 .LBB542_11
; %bb.1:
	s_bfe_u32 s21, ttmp6, 0x4000c
	s_bfe_u32 s23, ttmp6, 0x40010
	s_add_co_i32 s21, s21, 1
	s_and_b32 s25, ttmp7, 0xffff
	s_add_co_i32 s23, s23, 1
	v_bfe_u32 v2, v0, 10, 10
	v_and_b32_e32 v4, 0x3ff, v0
	s_clause 0x1
	s_load_b512 s[4:19], s[0:1], 0x10
	s_load_b512 s[36:51], s[0:1], 0x50
	s_and_b32 s22, ttmp6, 15
	s_mul_i32 s21, ttmp9, s21
	s_mul_i32 s23, s25, s23
	s_bfe_u32 s26, ttmp6, 0x40004
	s_add_co_i32 s22, s22, s21
	s_add_co_i32 s26, s26, s23
	s_cmp_eq_u32 s20, 0
	v_lshl_add_u32 v5, v2, 4, v4
	s_cselect_b32 s20, ttmp9, s22
	s_cselect_b32 s22, s25, s26
	s_ashr_i32 s21, s20, 31
	v_mov_b32_e32 v3, 0
	s_lshl_b64 s[20:21], s[20:21], 5
	s_delay_alu instid0(SALU_CYCLE_1) | instskip(NEXT) | instid1(VALU_DEP_2)
	v_dual_mov_b32 v7, s21 :: v_dual_bitop2_b32 v14, 31, v5 bitop3:0x40
	v_dual_mov_b32 v9, v3 :: v_dual_lshrrev_b32 v8, 3, v5
	v_lshl_add_u32 v86, v2, 7, 0x1000
	s_delay_alu instid0(VALU_DEP_3)
	v_or_b32_e32 v6, s20, v14
	s_wait_kmcnt 0x0
	v_cmp_eq_f64_e64 s23, s[40:41], 0
	v_lshlrev_b32_e32 v87, 4, v4
	s_lshl_b64 s[14:15], s[14:15], 4
	v_mul_u64_e32 v[6:7], s[12:13], v[6:7]
	s_lshl_b32 s12, s22, 5
	s_mov_b32 s13, s3
	v_cmp_eq_f64_e64 s22, s[38:39], 0
	v_add_nc_u64_e32 v[10:11], s[12:13], v[2:3]
	v_add_nc_u64_e32 v[12:13], s[12:13], v[8:9]
	v_and_b32_e32 v9, 7, v0
	s_load_b64 s[12:13], s[0:1], 0x90
	s_wait_xcnt 0x0
	v_cmp_gt_i64_e64 s0, s[4:5], 0
	s_delay_alu instid0(VALU_DEP_4) | instskip(SKIP_4) | instid1(VALU_DEP_3)
	v_mul_u64_e32 v[0:1], s[44:45], v[10:11]
	v_mul_u64_e32 v[56:57], s[50:51], v[10:11]
	v_lshrrev_b32_e32 v10, 5, v5
	v_mad_nc_u64_u32 v[12:13], s18, v9, v[12:13]
	v_dual_lshlrev_b32 v11, 4, v9 :: v_dual_mov_b32 v5, v3
	v_lshlrev_b32_e32 v2, 4, v10
	s_delay_alu instid0(VALU_DEP_2) | instskip(NEXT) | instid1(VALU_DEP_4)
	v_lshl_or_b32 v8, v8, 7, v11
	v_mad_u32 v13, s19, v9, v13
	v_lshlrev_b32_e32 v9, 4, v14
	v_add_nc_u64_e32 v[58:59], s[20:21], v[4:5]
	s_delay_alu instid0(VALU_DEP_4)
	v_add_nc_u32_e32 v89, 0x1000, v8
	s_lshl_b64 s[20:21], s[44:45], 4
	s_lshl_b64 s[18:19], s[18:19], 7
	v_lshl_or_b32 v88, v10, 9, v9
	v_lshl_add_u64 v[2:3], v[6:7], 4, v[2:3]
	v_cndmask_b32_e64 v6, 0, 1, s0
	s_and_b32 s1, s22, s23
	v_lshl_add_u64 v[4:5], v[12:13], 4, s[16:17]
	s_delay_alu instid0(VALU_DEP_3) | instskip(NEXT) | instid1(VALU_DEP_3)
	v_add_nc_u64_e32 v[2:3], s[10:11], v[2:3]
	v_cmp_ne_u32_e64 s0, 1, v6
	s_lshl_b64 s[10:11], s[50:51], 4
	s_lshl_b64 s[16:17], s[36:37], 4
	v_add_nc_u64_e32 v[62:63], 8, v[4:5]
	v_lshl_add_u64 v[64:65], v[0:1], 4, s[42:43]
	v_add_nc_u64_e32 v[60:61], 8, v[2:3]
	s_branch .LBB542_3
.LBB542_2:                              ;   in Loop: Header=BB542_3 Depth=1
	s_add_co_i32 s2, s2, 0x10000
	global_store_b64 v[2:3], v[0:1], off offset:8
	s_cmp_lt_i32 s2, s24
	s_cbranch_scc0 .LBB542_11
.LBB542_3:                              ; =>This Loop Header: Depth=1
                                        ;     Child Loop BB542_5 Depth 2
	s_and_b32 vcc_lo, exec_lo, s0
	s_cbranch_vccnz .LBB542_6
; %bb.4:                                ;   in Loop: Header=BB542_3 Depth=1
	s_delay_alu instid0(VALU_DEP_1)
	v_mad_nc_u64_u32 v[78:79], s14, s2, v[60:61]
	v_mad_nc_u64_u32 v[80:81], s16, s2, v[62:63]
	v_mov_b64_e32 v[68:69], 0
	v_mov_b64_e32 v[66:67], 0
	;; [unrolled: 1-line block ×8, first 2 shown]
	s_mov_b64 s[22:23], 0
	v_mad_u32 v79, s15, s2, v79
	v_mad_u32 v81, s17, s2, v81
.LBB542_5:                              ;   Parent Loop BB542_3 Depth=1
                                        ; =>  This Inner Loop Header: Depth=2
	global_load_b128 v[0:3], v[78:79], off offset:-8
	global_load_b128 v[4:7], v[80:81], off offset:-8
	s_add_nc_u64 s[22:23], s[22:23], 8
	s_wait_xcnt 0x1
	v_add_nc_u64_e32 v[78:79], 0x80, v[78:79]
	v_cmp_lt_i64_e64 s25, s[22:23], s[4:5]
	s_wait_xcnt 0x0
	v_add_nc_u64_e32 v[80:81], s[18:19], v[80:81]
	s_and_b32 vcc_lo, exec_lo, s25
	s_wait_loadcnt 0x1
	v_xor_b32_e32 v3, 0x80000000, v3
	s_wait_loadcnt 0x0
	v_xor_b32_e32 v7, 0x80000000, v7
	ds_store_b128 v88, v[0:3]
	ds_store_b128 v89, v[4:7]
	s_wait_dscnt 0x0
	s_barrier_signal -1
	s_barrier_wait -1
	ds_load_b128 v[0:3], v87
	ds_load_b128 v[8:11], v87 offset:256
	ds_load_b128 v[12:15], v86
	ds_load_b128 v[4:7], v86 offset:16
	ds_load_b128 v[16:19], v86 offset:2048
	;; [unrolled: 1-line block ×28, first 2 shown]
	s_wait_dscnt 0x1c
	v_mul_f64_e32 v[160:161], v[12:13], v[2:3]
	v_mul_f64_e32 v[164:165], v[12:13], v[10:11]
	;; [unrolled: 1-line block ×4, first 2 shown]
	s_delay_alu instid0(VALU_DEP_4) | instskip(NEXT) | instid1(VALU_DEP_4)
	v_fmac_f64_e32 v[160:161], v[14:15], v[0:1]
	v_fmac_f64_e32 v[164:165], v[14:15], v[8:9]
	s_wait_dscnt 0x1a
	v_mul_f64_e32 v[14:15], v[18:19], v[2:3]
	v_mul_f64_e32 v[2:3], v[16:17], v[2:3]
	v_fma_f64 v[158:159], v[12:13], v[0:1], -v[158:159]
	v_fma_f64 v[12:13], v[12:13], v[8:9], -v[162:163]
	s_wait_dscnt 0x17
	v_mul_f64_e32 v[162:163], v[4:5], v[34:35]
	v_add_f64_e32 v[84:85], v[160:161], v[84:85]
	v_add_f64_e32 v[76:77], v[164:165], v[76:77]
	v_fma_f64 v[14:15], v[16:17], v[0:1], -v[14:15]
	v_fmac_f64_e32 v[2:3], v[18:19], v[0:1]
	v_mul_f64_e32 v[0:1], v[18:19], v[10:11]
	v_mul_f64_e32 v[10:11], v[16:17], v[10:11]
	v_fmac_f64_e32 v[162:163], v[6:7], v[32:33]
	v_add_f64_e32 v[12:13], v[74:75], v[12:13]
	s_wait_dscnt 0x10
	v_mul_f64_e32 v[74:75], v[22:23], v[92:93]
	v_add_f64_e32 v[14:15], v[70:71], v[14:15]
	v_add_f64_e32 v[2:3], v[2:3], v[72:73]
	v_fma_f64 v[0:1], v[16:17], v[8:9], -v[0:1]
	v_fmac_f64_e32 v[10:11], v[18:19], v[8:9]
	v_mul_f64_e32 v[8:9], v[6:7], v[30:31]
	v_mul_f64_e32 v[16:17], v[4:5], v[30:31]
	;; [unrolled: 1-line block ×3, first 2 shown]
	s_wait_dscnt 0xf
	v_mul_f64_e32 v[70:71], v[22:23], v[96:97]
	v_mul_f64_e32 v[72:73], v[20:21], v[96:97]
	v_fma_f64 v[74:75], v[20:21], v[90:91], -v[74:75]
	v_add_f64_e32 v[0:1], v[66:67], v[0:1]
	v_add_f64_e32 v[10:11], v[10:11], v[68:69]
	v_fma_f64 v[8:9], v[4:5], v[28:29], -v[8:9]
	v_fmac_f64_e32 v[16:17], v[6:7], v[28:29]
	v_fma_f64 v[4:5], v[4:5], v[32:33], -v[18:19]
	v_mul_f64_e32 v[6:7], v[26:27], v[30:31]
	v_mul_f64_e32 v[18:19], v[24:25], v[30:31]
	;; [unrolled: 1-line block ×5, first 2 shown]
	v_fmac_f64_e32 v[72:73], v[22:23], v[94:95]
	v_add_f64_e32 v[16:17], v[16:17], v[84:85]
	v_add_f64_e32 v[4:5], v[12:13], v[4:5]
	v_fma_f64 v[6:7], v[24:25], v[28:29], -v[6:7]
	v_fmac_f64_e32 v[18:19], v[26:27], v[28:29]
	v_mul_f64_e32 v[28:29], v[26:27], v[34:35]
	v_fmac_f64_e32 v[30:31], v[26:27], v[32:33]
	v_mul_f64_e32 v[26:27], v[46:47], v[38:39]
	v_mul_f64_e32 v[34:35], v[44:45], v[42:43]
	v_add_f64_e32 v[12:13], v[162:163], v[76:77]
	s_wait_dscnt 0xa
	v_mul_f64_e32 v[84:85], v[114:115], v[100:101]
	v_fmac_f64_e32 v[68:69], v[54:55], v[90:91]
	s_wait_dscnt 0x7
	v_mul_f64_e32 v[76:77], v[112:113], v[128:129]
	v_add_f64_e32 v[6:7], v[14:15], v[6:7]
	v_add_f64_e32 v[2:3], v[18:19], v[2:3]
	v_fma_f64 v[24:25], v[24:25], v[32:33], -v[28:29]
	v_mul_f64_e32 v[28:29], v[44:45], v[38:39]
	v_mul_f64_e32 v[32:33], v[46:47], v[42:43]
	v_fma_f64 v[26:27], v[44:45], v[36:37], -v[26:27]
	v_fmac_f64_e32 v[34:35], v[46:47], v[40:41]
	v_add_f64_e32 v[10:11], v[30:31], v[10:11]
	v_mul_f64_e32 v[14:15], v[116:117], v[104:105]
	v_mul_f64_e32 v[18:19], v[114:115], v[104:105]
	;; [unrolled: 1-line block ×3, first 2 shown]
	v_fmac_f64_e32 v[84:85], v[116:117], v[98:99]
	v_add_f64_e32 v[0:1], v[0:1], v[24:25]
	v_fmac_f64_e32 v[28:29], v[46:47], v[36:37]
	v_fma_f64 v[32:33], v[44:45], v[40:41], -v[32:33]
	v_mul_f64_e32 v[44:45], v[50:51], v[38:39]
	v_mul_f64_e32 v[38:39], v[48:49], v[38:39]
	v_add_f64_e32 v[46:47], v[82:83], v[158:159]
	v_mul_f64_e32 v[82:83], v[50:51], v[42:43]
	v_mul_f64_e32 v[42:43], v[48:49], v[42:43]
	;; [unrolled: 1-line block ×4, first 2 shown]
	v_fma_f64 v[20:21], v[20:21], v[94:95], -v[70:71]
	v_add_f64_e32 v[12:13], v[34:35], v[12:13]
	v_mul_f64_e32 v[24:25], v[112:113], v[124:125]
	v_mul_f64_e32 v[34:35], v[118:119], v[128:129]
	v_fma_f64 v[14:15], v[114:115], v[102:103], -v[14:15]
	v_fmac_f64_e32 v[18:19], v[116:117], v[102:103]
	v_fmac_f64_e32 v[30:31], v[112:113], v[122:123]
	v_add_f64_e32 v[16:17], v[28:29], v[16:17]
	v_add_f64_e32 v[4:5], v[4:5], v[32:33]
	v_fma_f64 v[44:45], v[48:49], v[36:37], -v[44:45]
	v_fmac_f64_e32 v[38:39], v[50:51], v[36:37]
	v_mul_f64_e32 v[36:37], v[54:55], v[96:97]
	v_fma_f64 v[48:49], v[48:49], v[40:41], -v[82:83]
	v_fmac_f64_e32 v[42:43], v[50:51], v[40:41]
	v_add_f64_e32 v[8:9], v[46:47], v[8:9]
	v_mul_f64_e32 v[40:41], v[108:109], v[100:101]
	v_mul_f64_e32 v[50:51], v[106:107], v[100:101]
	;; [unrolled: 1-line block ×5, first 2 shown]
	v_fmac_f64_e32 v[158:159], v[22:23], v[90:91]
	v_fma_f64 v[22:23], v[52:53], v[90:91], -v[66:67]
	v_fmac_f64_e32 v[92:93], v[54:55], v[94:95]
	v_mul_f64_e32 v[100:101], v[110:111], v[128:129]
	v_mul_f64_e32 v[28:29], v[118:119], v[124:125]
	;; [unrolled: 1-line block ×3, first 2 shown]
	v_add_f64_e32 v[12:13], v[72:73], v[12:13]
	s_wait_dscnt 0x1
	v_mul_f64_e32 v[54:55], v[150:151], v[136:137]
	v_fma_f64 v[24:25], v[110:111], v[122:123], -v[24:25]
	v_fma_f64 v[66:67], v[110:111], v[126:127], -v[76:77]
	v_fmac_f64_e32 v[34:35], v[120:121], v[126:127]
	s_wait_dscnt 0x0
	v_mul_f64_e32 v[72:73], v[154:155], v[148:149]
	v_add_f64_e32 v[4:5], v[4:5], v[20:21]
	v_add_f64_e32 v[6:7], v[6:7], v[44:45]
	;; [unrolled: 1-line block ×3, first 2 shown]
	v_fma_f64 v[36:37], v[52:53], v[94:95], -v[36:37]
	v_add_f64_e32 v[0:1], v[0:1], v[48:49]
	v_add_f64_e32 v[10:11], v[42:43], v[10:11]
	;; [unrolled: 1-line block ×3, first 2 shown]
	v_mul_f64_e32 v[26:27], v[120:121], v[124:125]
	v_fma_f64 v[40:41], v[106:107], v[98:99], -v[40:41]
	v_fmac_f64_e32 v[50:51], v[108:109], v[98:99]
	v_fma_f64 v[44:45], v[106:107], v[102:103], -v[82:83]
	v_fmac_f64_e32 v[96:97], v[108:109], v[102:103]
	v_fma_f64 v[46:47], v[114:115], v[98:99], -v[46:47]
	v_add_f64_e32 v[16:17], v[158:159], v[16:17]
	v_mul_f64_e32 v[38:39], v[140:141], v[132:133]
	v_mul_f64_e32 v[42:43], v[138:139], v[132:133]
	;; [unrolled: 1-line block ×5, first 2 shown]
	v_fmac_f64_e32 v[100:101], v[112:113], v[126:127]
	v_fmac_f64_e32 v[28:29], v[120:121], v[122:123]
	v_fma_f64 v[32:33], v[118:119], v[126:127], -v[32:33]
	v_fmac_f64_e32 v[54:55], v[152:153], v[134:135]
	v_fmac_f64_e32 v[72:73], v[156:157], v[146:147]
	v_add_f64_e32 v[6:7], v[6:7], v[22:23]
	v_add_f64_e32 v[2:3], v[68:69], v[2:3]
	v_mul_f64_e32 v[22:23], v[138:139], v[136:137]
	v_add_f64_e32 v[0:1], v[0:1], v[36:37]
	v_add_f64_e32 v[10:11], v[92:93], v[10:11]
	;; [unrolled: 1-line block ×3, first 2 shown]
	v_mul_f64_e32 v[36:37], v[152:153], v[132:133]
	v_fma_f64 v[26:27], v[118:119], v[122:123], -v[26:27]
	v_mul_f64_e32 v[68:69], v[156:157], v[148:149]
	v_add_f64_e32 v[4:5], v[4:5], v[44:45]
	v_add_f64_e32 v[12:13], v[96:97], v[12:13]
	v_mul_f64_e32 v[44:45], v[142:143], v[148:149]
	v_add_f64_e32 v[16:17], v[50:51], v[16:17]
	v_fma_f64 v[38:39], v[138:139], v[130:131], -v[38:39]
	v_fmac_f64_e32 v[42:43], v[140:141], v[130:131]
	v_fma_f64 v[20:21], v[138:139], v[134:135], -v[20:21]
	v_fmac_f64_e32 v[48:49], v[152:153], v[130:131]
	v_fma_f64 v[52:53], v[150:151], v[134:135], -v[52:53]
	v_add_f64_e32 v[6:7], v[6:7], v[46:47]
	v_fmac_f64_e32 v[22:23], v[140:141], v[134:135]
	v_add_f64_e32 v[14:15], v[0:1], v[14:15]
	v_add_f64_e32 v[10:11], v[18:19], v[10:11]
	;; [unrolled: 1-line block ×4, first 2 shown]
	ds_load_b128 v[0:3], v87 offset:3840
	v_mul_f64_e32 v[18:19], v[144:145], v[148:149]
	v_fma_f64 v[36:37], v[150:151], v[130:131], -v[36:37]
	v_add_f64_e32 v[4:5], v[4:5], v[66:67]
	v_add_f64_e32 v[12:13], v[100:101], v[12:13]
	;; [unrolled: 1-line block ×3, first 2 shown]
	v_fmac_f64_e32 v[44:45], v[144:145], v[146:147]
	s_wait_dscnt 0x0
	s_barrier_signal -1
	s_barrier_wait -1
	v_mul_f64_e32 v[46:47], v[144:145], v[2:3]
	v_mul_f64_e32 v[50:51], v[142:143], v[2:3]
	;; [unrolled: 1-line block ×4, first 2 shown]
	v_add_f64_e32 v[6:7], v[6:7], v[26:27]
	v_add_f64_e32 v[14:15], v[14:15], v[32:33]
	;; [unrolled: 1-line block ×5, first 2 shown]
	v_fma_f64 v[28:29], v[154:155], v[146:147], -v[68:69]
	v_fma_f64 v[18:19], v[142:143], v[146:147], -v[18:19]
	v_add_f64_e32 v[4:5], v[4:5], v[20:21]
	v_add_f64_e32 v[12:13], v[22:23], v[12:13]
	v_fma_f64 v[26:27], v[142:143], v[0:1], -v[46:47]
	v_fmac_f64_e32 v[50:51], v[144:145], v[0:1]
	v_fma_f64 v[30:31], v[154:155], v[0:1], -v[70:71]
	v_fmac_f64_e32 v[2:3], v[156:157], v[0:1]
	v_add_f64_e32 v[6:7], v[6:7], v[36:37]
	v_add_f64_e32 v[14:15], v[14:15], v[52:53]
	;; [unrolled: 1-line block ×14, first 2 shown]
	s_cbranch_vccnz .LBB542_5
	s_branch .LBB542_7
.LBB542_6:                              ;   in Loop: Header=BB542_3 Depth=1
	v_mov_b64_e32 v[82:83], 0
	v_mov_b64_e32 v[84:85], 0
	;; [unrolled: 1-line block ×8, first 2 shown]
.LBB542_7:                              ;   in Loop: Header=BB542_3 Depth=1
	s_wait_kmcnt 0x0
	s_mul_u64 s[22:23], s[12:13], s[2:3]
	s_and_not1_b32 vcc_lo, exec_lo, s1
	s_lshl_b64 s[22:23], s[22:23], 4
	s_mov_b32 s25, -1
	s_add_nc_u64 s[22:23], s[48:49], s[22:23]
                                        ; implicit-def: $vgpr0_vgpr1
                                        ; implicit-def: $vgpr2_vgpr3
	s_cbranch_vccz .LBB542_9
; %bb.8:                                ;   in Loop: Header=BB542_3 Depth=1
	s_and_not1_b32 vcc_lo, exec_lo, s25
	s_cbranch_vccnz .LBB542_2
	s_branch .LBB542_10
.LBB542_9:                              ;   in Loop: Header=BB542_3 Depth=1
	s_wait_xcnt 0x0
	s_delay_alu instid0(VALU_DEP_2) | instskip(SKIP_1) | instid1(VALU_DEP_3)
	v_mul_f64_e32 v[2:3], s[8:9], v[84:85]
	v_mul_f64_e32 v[6:7], s[6:7], v[84:85]
	;; [unrolled: 1-line block ×8, first 2 shown]
	v_lshlrev_b64_e32 v[18:19], 4, v[58:59]
	v_fma_f64 v[4:5], s[6:7], v[82:83], -v[2:3]
	v_fmac_f64_e32 v[6:7], s[8:9], v[82:83]
	v_fmac_f64_e32 v[0:1], s[8:9], v[66:67]
	v_fma_f64 v[8:9], s[6:7], v[74:75], -v[8:9]
	v_fmac_f64_e32 v[10:11], s[8:9], v[74:75]
	v_fma_f64 v[12:13], s[6:7], v[70:71], -v[12:13]
	;; [unrolled: 2-line block ×3, first 2 shown]
	v_lshl_add_u64 v[2:3], v[56:57], 4, s[22:23]
	s_delay_alu instid0(VALU_DEP_1) | instskip(NEXT) | instid1(VALU_DEP_1)
	v_lshl_add_u64 v[20:21], s[10:11], 4, v[2:3]
	v_add_nc_u64_e32 v[20:21], v[20:21], v[18:19]
	v_add_nc_u64_e32 v[18:19], v[2:3], v[18:19]
	s_clause 0x3
	global_store_b128 v[18:19], v[4:7], off
	global_store_b128 v[18:19], v[8:11], off offset:256
	global_store_b128 v[20:21], v[12:15], off
	global_store_b64 v[20:21], v[16:17], off offset:256
	v_add_nc_u64_e32 v[2:3], 0x100, v[20:21]
	s_cbranch_execnz .LBB542_2
.LBB542_10:                             ;   in Loop: Header=BB542_3 Depth=1
	s_mul_u64 s[26:27], s[46:47], s[2:3]
	s_wait_xcnt 0x1
	v_lshlrev_b64_e32 v[4:5], 4, v[58:59]
	v_lshl_add_u64 v[6:7], s[26:27], 4, v[64:65]
	s_wait_xcnt 0x2
	s_delay_alu instid0(VALU_DEP_4) | instskip(SKIP_2) | instid1(VALU_DEP_4)
	v_mul_f64_e32 v[10:11], s[8:9], v[84:85]
	s_wait_xcnt 0x1
	v_mul_f64_e32 v[12:13], s[6:7], v[84:85]
	v_add_nc_u64_e32 v[8:9], v[6:7], v[4:5]
	v_lshl_add_u64 v[6:7], s[20:21], 4, v[6:7]
	s_delay_alu instid0(VALU_DEP_1)
	v_add_nc_u64_e32 v[6:7], v[6:7], v[4:5]
	global_load_b128 v[0:3], v[8:9], off
	v_fma_f64 v[10:11], s[6:7], v[82:83], -v[10:11]
	v_fmac_f64_e32 v[12:13], s[8:9], v[82:83]
	s_wait_loadcnt 0x0
	v_mul_f64_e32 v[14:15], s[40:41], v[2:3]
	v_mul_f64_e32 v[2:3], s[38:39], v[2:3]
	s_delay_alu instid0(VALU_DEP_2) | instskip(NEXT) | instid1(VALU_DEP_2)
	v_fma_f64 v[14:15], s[38:39], v[0:1], -v[14:15]
	v_fmac_f64_e32 v[2:3], s[40:41], v[0:1]
	s_delay_alu instid0(VALU_DEP_2) | instskip(NEXT) | instid1(VALU_DEP_2)
	v_add_f64_e32 v[0:1], v[10:11], v[14:15]
	v_add_f64_e32 v[2:3], v[12:13], v[2:3]
	v_lshl_add_u64 v[10:11], v[56:57], 4, s[22:23]
	v_mul_f64_e32 v[14:15], s[6:7], v[76:77]
	s_delay_alu instid0(VALU_DEP_2)
	v_add_nc_u64_e32 v[12:13], v[10:11], v[4:5]
	global_store_b128 v[12:13], v[0:3], off
	global_load_b128 v[0:3], v[8:9], off offset:256
	s_wait_xcnt 0x0
	v_mul_f64_e32 v[8:9], s[8:9], v[76:77]
	v_fmac_f64_e32 v[14:15], s[8:9], v[74:75]
	s_delay_alu instid0(VALU_DEP_2) | instskip(SKIP_3) | instid1(VALU_DEP_2)
	v_fma_f64 v[8:9], s[6:7], v[74:75], -v[8:9]
	s_wait_loadcnt 0x0
	v_mul_f64_e32 v[16:17], s[40:41], v[2:3]
	v_mul_f64_e32 v[2:3], s[38:39], v[2:3]
	v_fma_f64 v[16:17], s[38:39], v[0:1], -v[16:17]
	s_delay_alu instid0(VALU_DEP_2) | instskip(NEXT) | instid1(VALU_DEP_2)
	v_fmac_f64_e32 v[2:3], s[40:41], v[0:1]
	v_add_f64_e32 v[0:1], v[8:9], v[16:17]
	s_delay_alu instid0(VALU_DEP_2)
	v_add_f64_e32 v[2:3], v[14:15], v[2:3]
	v_mul_f64_e32 v[8:9], s[8:9], v[72:73]
	global_store_b128 v[12:13], v[0:3], off offset:256
	global_load_b128 v[0:3], v[6:7], off
	v_mul_f64_e32 v[12:13], s[6:7], v[72:73]
	v_fma_f64 v[8:9], s[6:7], v[70:71], -v[8:9]
	s_delay_alu instid0(VALU_DEP_2) | instskip(SKIP_3) | instid1(VALU_DEP_2)
	v_fmac_f64_e32 v[12:13], s[8:9], v[70:71]
	s_wait_loadcnt 0x0
	v_mul_f64_e32 v[14:15], s[40:41], v[2:3]
	v_mul_f64_e32 v[2:3], s[38:39], v[2:3]
	v_fma_f64 v[14:15], s[38:39], v[0:1], -v[14:15]
	s_delay_alu instid0(VALU_DEP_2) | instskip(NEXT) | instid1(VALU_DEP_2)
	v_fmac_f64_e32 v[2:3], s[40:41], v[0:1]
	v_add_f64_e32 v[0:1], v[8:9], v[14:15]
	s_delay_alu instid0(VALU_DEP_2) | instskip(SKIP_1) | instid1(VALU_DEP_1)
	v_add_f64_e32 v[2:3], v[12:13], v[2:3]
	v_lshl_add_u64 v[8:9], s[10:11], 4, v[10:11]
	v_add_nc_u64_e32 v[4:5], v[8:9], v[4:5]
	v_mul_f64_e32 v[8:9], s[6:7], v[68:69]
	global_store_b128 v[4:5], v[0:3], off
	global_load_b128 v[0:3], v[6:7], off offset:256
	s_wait_xcnt 0x0
	v_mul_f64_e32 v[6:7], s[8:9], v[68:69]
	v_fmac_f64_e32 v[8:9], s[8:9], v[66:67]
	s_delay_alu instid0(VALU_DEP_2) | instskip(SKIP_3) | instid1(VALU_DEP_2)
	v_fma_f64 v[6:7], s[6:7], v[66:67], -v[6:7]
	s_wait_loadcnt 0x0
	v_mul_f64_e32 v[10:11], s[40:41], v[2:3]
	v_mul_f64_e32 v[2:3], s[38:39], v[2:3]
	v_fma_f64 v[10:11], s[38:39], v[0:1], -v[10:11]
	s_delay_alu instid0(VALU_DEP_2) | instskip(NEXT) | instid1(VALU_DEP_2)
	v_fmac_f64_e32 v[2:3], s[40:41], v[0:1]
	v_add_f64_e32 v[6:7], v[6:7], v[10:11]
	s_delay_alu instid0(VALU_DEP_2)
	v_add_f64_e32 v[0:1], v[8:9], v[2:3]
	v_add_nc_u64_e32 v[2:3], 0x100, v[4:5]
	global_store_b64 v[4:5], v[6:7], off offset:256
	s_branch .LBB542_2
.LBB542_11:
	s_sendmsg sendmsg(MSG_DEALLOC_VGPRS)
	s_endpgm
	.section	.rodata,"a",@progbits
	.p2align	6, 0x0
	.amdhsa_kernel _ZN12_GLOBAL__N_127rocblas_gemm_batched_kernelI19rocblas_complex_numIdELi16ELi16ELi32ELi32ELi8ELi32ELi8ELi8ELi32ELc67ELc67EKS2_S3_S2_EEvlllT_PT11_llS6_llS4_PT12_llPT13_lli
		.amdhsa_group_segment_fixed_size 8192
		.amdhsa_private_segment_fixed_size 0
		.amdhsa_kernarg_size 156
		.amdhsa_user_sgpr_count 2
		.amdhsa_user_sgpr_dispatch_ptr 0
		.amdhsa_user_sgpr_queue_ptr 0
		.amdhsa_user_sgpr_kernarg_segment_ptr 1
		.amdhsa_user_sgpr_dispatch_id 0
		.amdhsa_user_sgpr_kernarg_preload_length 0
		.amdhsa_user_sgpr_kernarg_preload_offset 0
		.amdhsa_user_sgpr_private_segment_size 0
		.amdhsa_wavefront_size32 1
		.amdhsa_uses_dynamic_stack 0
		.amdhsa_enable_private_segment 0
		.amdhsa_system_sgpr_workgroup_id_x 1
		.amdhsa_system_sgpr_workgroup_id_y 1
		.amdhsa_system_sgpr_workgroup_id_z 1
		.amdhsa_system_sgpr_workgroup_info 0
		.amdhsa_system_vgpr_workitem_id 1
		.amdhsa_next_free_vgpr 166
		.amdhsa_next_free_sgpr 52
		.amdhsa_named_barrier_count 0
		.amdhsa_reserve_vcc 1
		.amdhsa_float_round_mode_32 0
		.amdhsa_float_round_mode_16_64 0
		.amdhsa_float_denorm_mode_32 3
		.amdhsa_float_denorm_mode_16_64 3
		.amdhsa_fp16_overflow 0
		.amdhsa_memory_ordered 1
		.amdhsa_forward_progress 1
		.amdhsa_inst_pref_size 21
		.amdhsa_round_robin_scheduling 0
		.amdhsa_exception_fp_ieee_invalid_op 0
		.amdhsa_exception_fp_denorm_src 0
		.amdhsa_exception_fp_ieee_div_zero 0
		.amdhsa_exception_fp_ieee_overflow 0
		.amdhsa_exception_fp_ieee_underflow 0
		.amdhsa_exception_fp_ieee_inexact 0
		.amdhsa_exception_int_div_zero 0
	.end_amdhsa_kernel
	.section	.text._ZN12_GLOBAL__N_127rocblas_gemm_batched_kernelI19rocblas_complex_numIdELi16ELi16ELi32ELi32ELi8ELi32ELi8ELi8ELi32ELc67ELc67EKS2_S3_S2_EEvlllT_PT11_llS6_llS4_PT12_llPT13_lli,"axG",@progbits,_ZN12_GLOBAL__N_127rocblas_gemm_batched_kernelI19rocblas_complex_numIdELi16ELi16ELi32ELi32ELi8ELi32ELi8ELi8ELi32ELc67ELc67EKS2_S3_S2_EEvlllT_PT11_llS6_llS4_PT12_llPT13_lli,comdat
.Lfunc_end542:
	.size	_ZN12_GLOBAL__N_127rocblas_gemm_batched_kernelI19rocblas_complex_numIdELi16ELi16ELi32ELi32ELi8ELi32ELi8ELi8ELi32ELc67ELc67EKS2_S3_S2_EEvlllT_PT11_llS6_llS4_PT12_llPT13_lli, .Lfunc_end542-_ZN12_GLOBAL__N_127rocblas_gemm_batched_kernelI19rocblas_complex_numIdELi16ELi16ELi32ELi32ELi8ELi32ELi8ELi8ELi32ELc67ELc67EKS2_S3_S2_EEvlllT_PT11_llS6_llS4_PT12_llPT13_lli
                                        ; -- End function
	.set _ZN12_GLOBAL__N_127rocblas_gemm_batched_kernelI19rocblas_complex_numIdELi16ELi16ELi32ELi32ELi8ELi32ELi8ELi8ELi32ELc67ELc67EKS2_S3_S2_EEvlllT_PT11_llS6_llS4_PT12_llPT13_lli.num_vgpr, 166
	.set _ZN12_GLOBAL__N_127rocblas_gemm_batched_kernelI19rocblas_complex_numIdELi16ELi16ELi32ELi32ELi8ELi32ELi8ELi8ELi32ELc67ELc67EKS2_S3_S2_EEvlllT_PT11_llS6_llS4_PT12_llPT13_lli.num_agpr, 0
	.set _ZN12_GLOBAL__N_127rocblas_gemm_batched_kernelI19rocblas_complex_numIdELi16ELi16ELi32ELi32ELi8ELi32ELi8ELi8ELi32ELc67ELc67EKS2_S3_S2_EEvlllT_PT11_llS6_llS4_PT12_llPT13_lli.numbered_sgpr, 52
	.set _ZN12_GLOBAL__N_127rocblas_gemm_batched_kernelI19rocblas_complex_numIdELi16ELi16ELi32ELi32ELi8ELi32ELi8ELi8ELi32ELc67ELc67EKS2_S3_S2_EEvlllT_PT11_llS6_llS4_PT12_llPT13_lli.num_named_barrier, 0
	.set _ZN12_GLOBAL__N_127rocblas_gemm_batched_kernelI19rocblas_complex_numIdELi16ELi16ELi32ELi32ELi8ELi32ELi8ELi8ELi32ELc67ELc67EKS2_S3_S2_EEvlllT_PT11_llS6_llS4_PT12_llPT13_lli.private_seg_size, 0
	.set _ZN12_GLOBAL__N_127rocblas_gemm_batched_kernelI19rocblas_complex_numIdELi16ELi16ELi32ELi32ELi8ELi32ELi8ELi8ELi32ELc67ELc67EKS2_S3_S2_EEvlllT_PT11_llS6_llS4_PT12_llPT13_lli.uses_vcc, 1
	.set _ZN12_GLOBAL__N_127rocblas_gemm_batched_kernelI19rocblas_complex_numIdELi16ELi16ELi32ELi32ELi8ELi32ELi8ELi8ELi32ELc67ELc67EKS2_S3_S2_EEvlllT_PT11_llS6_llS4_PT12_llPT13_lli.uses_flat_scratch, 0
	.set _ZN12_GLOBAL__N_127rocblas_gemm_batched_kernelI19rocblas_complex_numIdELi16ELi16ELi32ELi32ELi8ELi32ELi8ELi8ELi32ELc67ELc67EKS2_S3_S2_EEvlllT_PT11_llS6_llS4_PT12_llPT13_lli.has_dyn_sized_stack, 0
	.set _ZN12_GLOBAL__N_127rocblas_gemm_batched_kernelI19rocblas_complex_numIdELi16ELi16ELi32ELi32ELi8ELi32ELi8ELi8ELi32ELc67ELc67EKS2_S3_S2_EEvlllT_PT11_llS6_llS4_PT12_llPT13_lli.has_recursion, 0
	.set _ZN12_GLOBAL__N_127rocblas_gemm_batched_kernelI19rocblas_complex_numIdELi16ELi16ELi32ELi32ELi8ELi32ELi8ELi8ELi32ELc67ELc67EKS2_S3_S2_EEvlllT_PT11_llS6_llS4_PT12_llPT13_lli.has_indirect_call, 0
	.section	.AMDGPU.csdata,"",@progbits
; Kernel info:
; codeLenInByte = 2624
; TotalNumSgprs: 54
; NumVgprs: 166
; ScratchSize: 0
; MemoryBound: 0
; FloatMode: 240
; IeeeMode: 1
; LDSByteSize: 8192 bytes/workgroup (compile time only)
; SGPRBlocks: 0
; VGPRBlocks: 10
; NumSGPRsForWavesPerEU: 54
; NumVGPRsForWavesPerEU: 166
; NamedBarCnt: 0
; Occupancy: 5
; WaveLimiterHint : 1
; COMPUTE_PGM_RSRC2:SCRATCH_EN: 0
; COMPUTE_PGM_RSRC2:USER_SGPR: 2
; COMPUTE_PGM_RSRC2:TRAP_HANDLER: 0
; COMPUTE_PGM_RSRC2:TGID_X_EN: 1
; COMPUTE_PGM_RSRC2:TGID_Y_EN: 1
; COMPUTE_PGM_RSRC2:TGID_Z_EN: 1
; COMPUTE_PGM_RSRC2:TIDIG_COMP_CNT: 1
	.section	.text._ZN12_GLOBAL__N_127rocblas_gemm_batched_kernelI19rocblas_complex_numIdELi16ELi16ELi32ELi32ELi8ELi32ELi8ELi8ELi32ELc67ELc78EKS2_S3_S2_EEvlllT_PT11_llS6_llS4_PT12_llPT13_lli,"axG",@progbits,_ZN12_GLOBAL__N_127rocblas_gemm_batched_kernelI19rocblas_complex_numIdELi16ELi16ELi32ELi32ELi8ELi32ELi8ELi8ELi32ELc67ELc78EKS2_S3_S2_EEvlllT_PT11_llS6_llS4_PT12_llPT13_lli,comdat
	.globl	_ZN12_GLOBAL__N_127rocblas_gemm_batched_kernelI19rocblas_complex_numIdELi16ELi16ELi32ELi32ELi8ELi32ELi8ELi8ELi32ELc67ELc78EKS2_S3_S2_EEvlllT_PT11_llS6_llS4_PT12_llPT13_lli ; -- Begin function _ZN12_GLOBAL__N_127rocblas_gemm_batched_kernelI19rocblas_complex_numIdELi16ELi16ELi32ELi32ELi8ELi32ELi8ELi8ELi32ELc67ELc78EKS2_S3_S2_EEvlllT_PT11_llS6_llS4_PT12_llPT13_lli
	.p2align	8
	.type	_ZN12_GLOBAL__N_127rocblas_gemm_batched_kernelI19rocblas_complex_numIdELi16ELi16ELi32ELi32ELi8ELi32ELi8ELi8ELi32ELc67ELc78EKS2_S3_S2_EEvlllT_PT11_llS6_llS4_PT12_llPT13_lli,@function
_ZN12_GLOBAL__N_127rocblas_gemm_batched_kernelI19rocblas_complex_numIdELi16ELi16ELi32ELi32ELi8ELi32ELi8ELi8ELi32ELc67ELc78EKS2_S3_S2_EEvlllT_PT11_llS6_llS4_PT12_llPT13_lli: ; @_ZN12_GLOBAL__N_127rocblas_gemm_batched_kernelI19rocblas_complex_numIdELi16ELi16ELi32ELi32ELi8ELi32ELi8ELi8ELi32ELc67ELc78EKS2_S3_S2_EEvlllT_PT11_llS6_llS4_PT12_llPT13_lli
; %bb.0:
	s_load_b32 s22, s[0:1], 0x98
	s_bfe_u32 s2, ttmp6, 0x40014
	s_lshr_b32 s3, ttmp7, 16
	s_add_co_i32 s2, s2, 1
	s_bfe_u32 s4, ttmp6, 0x40008
	s_mul_i32 s2, s3, s2
	s_getreg_b32 s20, hwreg(HW_REG_IB_STS2, 6, 4)
	s_add_co_i32 s4, s4, s2
	s_cmp_eq_u32 s20, 0
	s_cselect_b32 s2, s3, s4
	s_mov_b32 s3, 0
	s_wait_kmcnt 0x0
	s_cmp_ge_i32 s2, s22
	s_cbranch_scc1 .LBB543_11
; %bb.1:
	v_bfe_u32 v2, v0, 10, 10
	v_and_b32_e32 v4, 0x3ff, v0
	s_bfe_u32 s21, ttmp6, 0x4000c
	s_bfe_u32 s24, ttmp6, 0x40010
	s_clause 0x1
	s_load_b512 s[4:19], s[0:1], 0x10
	s_load_b512 s[36:51], s[0:1], 0x50
	s_add_co_i32 s21, s21, 1
	s_and_b32 s25, ttmp7, 0xffff
	s_add_co_i32 s24, s24, 1
	s_and_b32 s23, ttmp6, 15
	s_mul_i32 s21, ttmp9, s21
	s_mul_i32 s24, s25, s24
	s_bfe_u32 s26, ttmp6, 0x40004
	v_lshl_add_u32 v1, v2, 4, v4
	s_add_co_i32 s23, s23, s21
	s_add_co_i32 s26, s26, s24
	s_cmp_eq_u32 s20, 0
	s_delay_alu instid0(VALU_DEP_1) | instskip(SKIP_3) | instid1(VALU_DEP_1)
	v_dual_mov_b32 v3, 0 :: v_dual_bitop2_b32 v16, 31, v1 bitop3:0x40
	s_cselect_b32 s20, ttmp9, s23
	s_cselect_b32 s23, s25, s26
	s_ashr_i32 s21, s20, 31
	v_mov_b32_e32 v7, v3
	s_lshl_b64 s[20:21], s[20:21], 5
	s_delay_alu instid0(SALU_CYCLE_1)
	v_dual_lshrrev_b32 v6, 3, v1 :: v_dual_bitop2_b32 v8, s20, v16 bitop3:0x54
	v_mov_b32_e32 v9, s21
	s_lshl_b32 s24, s23, 5
	s_mov_b32 s25, s3
	v_lshlrev_b32_e32 v0, 4, v0
	v_add_nc_u64_e32 v[10:11], s[24:25], v[6:7]
	s_wait_kmcnt 0x0
	v_mul_u64_e32 v[8:9], s[12:13], v[8:9]
	v_add_nc_u64_e32 v[12:13], s[24:25], v[2:3]
	v_lshrrev_b32_e32 v7, 5, v1
	v_lshl_add_u32 v86, v2, 7, 0x1000
	s_load_b64 s[12:13], s[0:1], 0x90
	v_mov_b32_e32 v5, v3
	v_mul_u64_e32 v[10:11], s[18:19], v[10:11]
	v_cmp_eq_f64_e64 s18, s[38:39], 0
	v_mul_u64_e32 v[14:15], s[44:45], v[12:13]
	v_cmp_eq_f64_e64 s19, s[40:41], 0
	v_mul_u64_e32 v[56:57], s[50:51], v[12:13]
	v_lshlrev_b32_e32 v2, 4, v7
	v_and_b32_e32 v0, 0x70, v0
	v_dual_lshlrev_b32 v87, 4, v4 :: v_dual_mov_b32 v1, v3
	s_wait_xcnt 0x0
	v_cmp_gt_i64_e64 s0, s[4:5], 0
	v_lshlrev_b32_e32 v12, 4, v16
	v_lshl_or_b32 v6, v6, 7, v0
	v_add_nc_u64_e32 v[58:59], s[20:21], v[4:5]
	s_lshl_b64 s[14:15], s[14:15], 4
	s_delay_alu instid0(VALU_DEP_3) | instskip(SKIP_2) | instid1(VALU_DEP_2)
	v_lshl_or_b32 v88, v7, 9, v12
	v_cndmask_b32_e64 v4, 0, 1, s0
	v_add_nc_u32_e32 v89, 0x1000, v6
	v_cmp_ne_u32_e64 s0, 1, v4
	v_lshl_add_u64 v[8:9], v[8:9], 4, v[2:3]
	s_delay_alu instid0(VALU_DEP_1)
	v_add_nc_u64_e32 v[2:3], s[10:11], v[8:9]
	v_lshl_add_u64 v[0:1], v[10:11], 4, v[0:1]
	s_lshl_b64 s[10:11], s[50:51], 4
	v_lshl_add_u64 v[64:65], v[14:15], 4, s[42:43]
	s_and_b32 s1, s18, s19
	s_lshl_b64 s[18:19], s[36:37], 4
	v_add_nc_u64_e32 v[62:63], s[16:17], v[0:1]
	v_add_nc_u64_e32 v[60:61], 8, v[2:3]
	s_lshl_b64 s[16:17], s[44:45], 4
	s_branch .LBB543_3
.LBB543_2:                              ;   in Loop: Header=BB543_3 Depth=1
	s_add_co_i32 s2, s2, 0x10000
	global_store_b64 v[2:3], v[0:1], off offset:8
	s_cmp_lt_i32 s2, s22
	s_cbranch_scc0 .LBB543_11
.LBB543_3:                              ; =>This Loop Header: Depth=1
                                        ;     Child Loop BB543_5 Depth 2
	s_and_b32 vcc_lo, exec_lo, s0
	s_cbranch_vccnz .LBB543_6
; %bb.4:                                ;   in Loop: Header=BB543_3 Depth=1
	s_delay_alu instid0(VALU_DEP_1)
	v_mad_nc_u64_u32 v[78:79], s14, s2, v[60:61]
	v_mad_nc_u64_u32 v[80:81], s18, s2, v[62:63]
	v_mov_b64_e32 v[68:69], 0
	v_mov_b64_e32 v[66:67], 0
	;; [unrolled: 1-line block ×8, first 2 shown]
	s_mov_b64 s[20:21], 0
	v_mad_u32 v79, s15, s2, v79
	v_mad_u32 v81, s19, s2, v81
.LBB543_5:                              ;   Parent Loop BB543_3 Depth=1
                                        ; =>  This Inner Loop Header: Depth=2
	global_load_b128 v[0:3], v[78:79], off offset:-8
	global_load_b128 v[4:7], v[80:81], off
	s_add_nc_u64 s[20:21], s[20:21], 8
	s_wait_xcnt 0x1
	v_add_nc_u64_e32 v[78:79], 0x80, v[78:79]
	v_cmp_lt_i64_e64 s23, s[20:21], s[4:5]
	s_wait_xcnt 0x0
	v_add_nc_u64_e32 v[80:81], 0x80, v[80:81]
	s_and_b32 vcc_lo, exec_lo, s23
	s_wait_loadcnt 0x1
	v_xor_b32_e32 v3, 0x80000000, v3
	s_wait_loadcnt 0x0
	ds_store_2addr_b64 v89, v[4:5], v[6:7] offset1:1
	ds_store_b128 v88, v[0:3]
	s_wait_dscnt 0x0
	s_barrier_signal -1
	s_barrier_wait -1
	ds_load_b128 v[0:3], v87
	ds_load_b128 v[8:11], v87 offset:256
	ds_load_b128 v[12:15], v86
	ds_load_b128 v[4:7], v86 offset:16
	ds_load_b128 v[16:19], v86 offset:2048
	;; [unrolled: 1-line block ×28, first 2 shown]
	s_wait_dscnt 0x1c
	v_mul_f64_e32 v[160:161], v[12:13], v[2:3]
	v_mul_f64_e32 v[164:165], v[12:13], v[10:11]
	;; [unrolled: 1-line block ×4, first 2 shown]
	s_delay_alu instid0(VALU_DEP_4) | instskip(NEXT) | instid1(VALU_DEP_4)
	v_fmac_f64_e32 v[160:161], v[14:15], v[0:1]
	v_fmac_f64_e32 v[164:165], v[14:15], v[8:9]
	s_wait_dscnt 0x1a
	v_mul_f64_e32 v[14:15], v[18:19], v[2:3]
	v_mul_f64_e32 v[2:3], v[16:17], v[2:3]
	v_fma_f64 v[158:159], v[12:13], v[0:1], -v[158:159]
	v_fma_f64 v[12:13], v[12:13], v[8:9], -v[162:163]
	s_wait_dscnt 0x17
	v_mul_f64_e32 v[162:163], v[4:5], v[34:35]
	v_add_f64_e32 v[84:85], v[160:161], v[84:85]
	v_add_f64_e32 v[76:77], v[164:165], v[76:77]
	v_fma_f64 v[14:15], v[16:17], v[0:1], -v[14:15]
	v_fmac_f64_e32 v[2:3], v[18:19], v[0:1]
	v_mul_f64_e32 v[0:1], v[18:19], v[10:11]
	v_mul_f64_e32 v[10:11], v[16:17], v[10:11]
	v_fmac_f64_e32 v[162:163], v[6:7], v[32:33]
	v_add_f64_e32 v[12:13], v[74:75], v[12:13]
	s_wait_dscnt 0x10
	v_mul_f64_e32 v[74:75], v[22:23], v[92:93]
	v_add_f64_e32 v[14:15], v[70:71], v[14:15]
	v_add_f64_e32 v[2:3], v[2:3], v[72:73]
	v_fma_f64 v[0:1], v[16:17], v[8:9], -v[0:1]
	v_fmac_f64_e32 v[10:11], v[18:19], v[8:9]
	v_mul_f64_e32 v[8:9], v[6:7], v[30:31]
	v_mul_f64_e32 v[16:17], v[4:5], v[30:31]
	;; [unrolled: 1-line block ×3, first 2 shown]
	s_wait_dscnt 0xf
	v_mul_f64_e32 v[70:71], v[22:23], v[96:97]
	v_mul_f64_e32 v[72:73], v[20:21], v[96:97]
	v_fma_f64 v[74:75], v[20:21], v[90:91], -v[74:75]
	v_add_f64_e32 v[0:1], v[66:67], v[0:1]
	v_add_f64_e32 v[10:11], v[10:11], v[68:69]
	v_fma_f64 v[8:9], v[4:5], v[28:29], -v[8:9]
	v_fmac_f64_e32 v[16:17], v[6:7], v[28:29]
	v_fma_f64 v[4:5], v[4:5], v[32:33], -v[18:19]
	v_mul_f64_e32 v[6:7], v[26:27], v[30:31]
	v_mul_f64_e32 v[18:19], v[24:25], v[30:31]
	;; [unrolled: 1-line block ×5, first 2 shown]
	v_fmac_f64_e32 v[72:73], v[22:23], v[94:95]
	v_add_f64_e32 v[16:17], v[16:17], v[84:85]
	v_add_f64_e32 v[4:5], v[12:13], v[4:5]
	v_fma_f64 v[6:7], v[24:25], v[28:29], -v[6:7]
	v_fmac_f64_e32 v[18:19], v[26:27], v[28:29]
	v_mul_f64_e32 v[28:29], v[26:27], v[34:35]
	v_fmac_f64_e32 v[30:31], v[26:27], v[32:33]
	v_mul_f64_e32 v[26:27], v[46:47], v[38:39]
	v_mul_f64_e32 v[34:35], v[44:45], v[42:43]
	v_add_f64_e32 v[12:13], v[162:163], v[76:77]
	s_wait_dscnt 0xa
	v_mul_f64_e32 v[84:85], v[114:115], v[100:101]
	v_fmac_f64_e32 v[68:69], v[54:55], v[90:91]
	s_wait_dscnt 0x7
	v_mul_f64_e32 v[76:77], v[112:113], v[128:129]
	v_add_f64_e32 v[6:7], v[14:15], v[6:7]
	v_add_f64_e32 v[2:3], v[18:19], v[2:3]
	v_fma_f64 v[24:25], v[24:25], v[32:33], -v[28:29]
	v_mul_f64_e32 v[28:29], v[44:45], v[38:39]
	v_mul_f64_e32 v[32:33], v[46:47], v[42:43]
	v_fma_f64 v[26:27], v[44:45], v[36:37], -v[26:27]
	v_fmac_f64_e32 v[34:35], v[46:47], v[40:41]
	v_add_f64_e32 v[10:11], v[30:31], v[10:11]
	v_mul_f64_e32 v[14:15], v[116:117], v[104:105]
	v_mul_f64_e32 v[18:19], v[114:115], v[104:105]
	;; [unrolled: 1-line block ×3, first 2 shown]
	v_fmac_f64_e32 v[84:85], v[116:117], v[98:99]
	v_add_f64_e32 v[0:1], v[0:1], v[24:25]
	v_fmac_f64_e32 v[28:29], v[46:47], v[36:37]
	v_fma_f64 v[32:33], v[44:45], v[40:41], -v[32:33]
	v_mul_f64_e32 v[44:45], v[50:51], v[38:39]
	v_mul_f64_e32 v[38:39], v[48:49], v[38:39]
	v_add_f64_e32 v[46:47], v[82:83], v[158:159]
	v_mul_f64_e32 v[82:83], v[50:51], v[42:43]
	v_mul_f64_e32 v[42:43], v[48:49], v[42:43]
	;; [unrolled: 1-line block ×4, first 2 shown]
	v_fma_f64 v[20:21], v[20:21], v[94:95], -v[70:71]
	v_add_f64_e32 v[12:13], v[34:35], v[12:13]
	v_mul_f64_e32 v[24:25], v[112:113], v[124:125]
	v_mul_f64_e32 v[34:35], v[118:119], v[128:129]
	v_fma_f64 v[14:15], v[114:115], v[102:103], -v[14:15]
	v_fmac_f64_e32 v[18:19], v[116:117], v[102:103]
	v_fmac_f64_e32 v[30:31], v[112:113], v[122:123]
	v_add_f64_e32 v[16:17], v[28:29], v[16:17]
	v_add_f64_e32 v[4:5], v[4:5], v[32:33]
	v_fma_f64 v[44:45], v[48:49], v[36:37], -v[44:45]
	v_fmac_f64_e32 v[38:39], v[50:51], v[36:37]
	v_mul_f64_e32 v[36:37], v[54:55], v[96:97]
	v_fma_f64 v[48:49], v[48:49], v[40:41], -v[82:83]
	v_fmac_f64_e32 v[42:43], v[50:51], v[40:41]
	v_add_f64_e32 v[8:9], v[46:47], v[8:9]
	v_mul_f64_e32 v[40:41], v[108:109], v[100:101]
	v_mul_f64_e32 v[50:51], v[106:107], v[100:101]
	;; [unrolled: 1-line block ×5, first 2 shown]
	v_fmac_f64_e32 v[158:159], v[22:23], v[90:91]
	v_fma_f64 v[22:23], v[52:53], v[90:91], -v[66:67]
	v_fmac_f64_e32 v[92:93], v[54:55], v[94:95]
	v_mul_f64_e32 v[100:101], v[110:111], v[128:129]
	v_mul_f64_e32 v[28:29], v[118:119], v[124:125]
	;; [unrolled: 1-line block ×3, first 2 shown]
	v_add_f64_e32 v[12:13], v[72:73], v[12:13]
	s_wait_dscnt 0x1
	v_mul_f64_e32 v[54:55], v[150:151], v[136:137]
	v_fma_f64 v[24:25], v[110:111], v[122:123], -v[24:25]
	v_fma_f64 v[66:67], v[110:111], v[126:127], -v[76:77]
	v_fmac_f64_e32 v[34:35], v[120:121], v[126:127]
	s_wait_dscnt 0x0
	v_mul_f64_e32 v[72:73], v[154:155], v[148:149]
	v_add_f64_e32 v[4:5], v[4:5], v[20:21]
	v_add_f64_e32 v[6:7], v[6:7], v[44:45]
	;; [unrolled: 1-line block ×3, first 2 shown]
	v_fma_f64 v[36:37], v[52:53], v[94:95], -v[36:37]
	v_add_f64_e32 v[0:1], v[0:1], v[48:49]
	v_add_f64_e32 v[10:11], v[42:43], v[10:11]
	v_add_f64_e32 v[8:9], v[8:9], v[26:27]
	v_mul_f64_e32 v[26:27], v[120:121], v[124:125]
	v_fma_f64 v[40:41], v[106:107], v[98:99], -v[40:41]
	v_fmac_f64_e32 v[50:51], v[108:109], v[98:99]
	v_fma_f64 v[44:45], v[106:107], v[102:103], -v[82:83]
	v_fmac_f64_e32 v[96:97], v[108:109], v[102:103]
	v_fma_f64 v[46:47], v[114:115], v[98:99], -v[46:47]
	v_add_f64_e32 v[16:17], v[158:159], v[16:17]
	v_mul_f64_e32 v[38:39], v[140:141], v[132:133]
	v_mul_f64_e32 v[42:43], v[138:139], v[132:133]
	;; [unrolled: 1-line block ×5, first 2 shown]
	v_fmac_f64_e32 v[100:101], v[112:113], v[126:127]
	v_fmac_f64_e32 v[28:29], v[120:121], v[122:123]
	v_fma_f64 v[32:33], v[118:119], v[126:127], -v[32:33]
	v_fmac_f64_e32 v[54:55], v[152:153], v[134:135]
	v_fmac_f64_e32 v[72:73], v[156:157], v[146:147]
	v_add_f64_e32 v[6:7], v[6:7], v[22:23]
	v_add_f64_e32 v[2:3], v[68:69], v[2:3]
	v_mul_f64_e32 v[22:23], v[138:139], v[136:137]
	v_add_f64_e32 v[0:1], v[0:1], v[36:37]
	v_add_f64_e32 v[10:11], v[92:93], v[10:11]
	;; [unrolled: 1-line block ×3, first 2 shown]
	v_mul_f64_e32 v[36:37], v[152:153], v[132:133]
	v_fma_f64 v[26:27], v[118:119], v[122:123], -v[26:27]
	v_mul_f64_e32 v[68:69], v[156:157], v[148:149]
	v_add_f64_e32 v[4:5], v[4:5], v[44:45]
	v_add_f64_e32 v[12:13], v[96:97], v[12:13]
	v_mul_f64_e32 v[44:45], v[142:143], v[148:149]
	v_add_f64_e32 v[16:17], v[50:51], v[16:17]
	v_fma_f64 v[38:39], v[138:139], v[130:131], -v[38:39]
	v_fmac_f64_e32 v[42:43], v[140:141], v[130:131]
	v_fma_f64 v[20:21], v[138:139], v[134:135], -v[20:21]
	v_fmac_f64_e32 v[48:49], v[152:153], v[130:131]
	v_fma_f64 v[52:53], v[150:151], v[134:135], -v[52:53]
	v_add_f64_e32 v[6:7], v[6:7], v[46:47]
	v_fmac_f64_e32 v[22:23], v[140:141], v[134:135]
	v_add_f64_e32 v[14:15], v[0:1], v[14:15]
	v_add_f64_e32 v[10:11], v[18:19], v[10:11]
	;; [unrolled: 1-line block ×4, first 2 shown]
	ds_load_b128 v[0:3], v87 offset:3840
	v_mul_f64_e32 v[18:19], v[144:145], v[148:149]
	v_fma_f64 v[36:37], v[150:151], v[130:131], -v[36:37]
	v_add_f64_e32 v[4:5], v[4:5], v[66:67]
	v_add_f64_e32 v[12:13], v[100:101], v[12:13]
	v_add_f64_e32 v[16:17], v[30:31], v[16:17]
	v_fmac_f64_e32 v[44:45], v[144:145], v[146:147]
	s_wait_dscnt 0x0
	s_barrier_signal -1
	s_barrier_wait -1
	v_mul_f64_e32 v[46:47], v[144:145], v[2:3]
	v_mul_f64_e32 v[50:51], v[142:143], v[2:3]
	;; [unrolled: 1-line block ×4, first 2 shown]
	v_add_f64_e32 v[6:7], v[6:7], v[26:27]
	v_add_f64_e32 v[14:15], v[14:15], v[32:33]
	;; [unrolled: 1-line block ×5, first 2 shown]
	v_fma_f64 v[28:29], v[154:155], v[146:147], -v[68:69]
	v_fma_f64 v[18:19], v[142:143], v[146:147], -v[18:19]
	v_add_f64_e32 v[4:5], v[4:5], v[20:21]
	v_add_f64_e32 v[12:13], v[22:23], v[12:13]
	v_fma_f64 v[26:27], v[142:143], v[0:1], -v[46:47]
	v_fmac_f64_e32 v[50:51], v[144:145], v[0:1]
	v_fma_f64 v[30:31], v[154:155], v[0:1], -v[70:71]
	v_fmac_f64_e32 v[2:3], v[156:157], v[0:1]
	v_add_f64_e32 v[6:7], v[6:7], v[36:37]
	v_add_f64_e32 v[14:15], v[14:15], v[52:53]
	;; [unrolled: 1-line block ×14, first 2 shown]
	s_cbranch_vccnz .LBB543_5
	s_branch .LBB543_7
.LBB543_6:                              ;   in Loop: Header=BB543_3 Depth=1
	v_mov_b64_e32 v[82:83], 0
	v_mov_b64_e32 v[84:85], 0
	;; [unrolled: 1-line block ×8, first 2 shown]
.LBB543_7:                              ;   in Loop: Header=BB543_3 Depth=1
	s_wait_kmcnt 0x0
	s_mul_u64 s[20:21], s[12:13], s[2:3]
	s_and_not1_b32 vcc_lo, exec_lo, s1
	s_lshl_b64 s[20:21], s[20:21], 4
	s_mov_b32 s23, -1
	s_add_nc_u64 s[20:21], s[48:49], s[20:21]
                                        ; implicit-def: $vgpr0_vgpr1
                                        ; implicit-def: $vgpr2_vgpr3
	s_cbranch_vccz .LBB543_9
; %bb.8:                                ;   in Loop: Header=BB543_3 Depth=1
	s_and_not1_b32 vcc_lo, exec_lo, s23
	s_cbranch_vccnz .LBB543_2
	s_branch .LBB543_10
.LBB543_9:                              ;   in Loop: Header=BB543_3 Depth=1
	s_wait_xcnt 0x0
	s_delay_alu instid0(VALU_DEP_2) | instskip(SKIP_1) | instid1(VALU_DEP_3)
	v_mul_f64_e32 v[2:3], s[8:9], v[84:85]
	v_mul_f64_e32 v[6:7], s[6:7], v[84:85]
	;; [unrolled: 1-line block ×8, first 2 shown]
	v_lshlrev_b64_e32 v[18:19], 4, v[58:59]
	v_fma_f64 v[4:5], s[6:7], v[82:83], -v[2:3]
	v_fmac_f64_e32 v[6:7], s[8:9], v[82:83]
	v_fmac_f64_e32 v[0:1], s[8:9], v[66:67]
	v_fma_f64 v[8:9], s[6:7], v[74:75], -v[8:9]
	v_fmac_f64_e32 v[10:11], s[8:9], v[74:75]
	v_fma_f64 v[12:13], s[6:7], v[70:71], -v[12:13]
	;; [unrolled: 2-line block ×3, first 2 shown]
	v_lshl_add_u64 v[2:3], v[56:57], 4, s[20:21]
	s_delay_alu instid0(VALU_DEP_1) | instskip(NEXT) | instid1(VALU_DEP_1)
	v_lshl_add_u64 v[20:21], s[10:11], 4, v[2:3]
	v_add_nc_u64_e32 v[20:21], v[20:21], v[18:19]
	v_add_nc_u64_e32 v[18:19], v[2:3], v[18:19]
	s_clause 0x3
	global_store_b128 v[18:19], v[4:7], off
	global_store_b128 v[18:19], v[8:11], off offset:256
	global_store_b128 v[20:21], v[12:15], off
	global_store_b64 v[20:21], v[16:17], off offset:256
	v_add_nc_u64_e32 v[2:3], 0x100, v[20:21]
	s_cbranch_execnz .LBB543_2
.LBB543_10:                             ;   in Loop: Header=BB543_3 Depth=1
	s_mul_u64 s[24:25], s[46:47], s[2:3]
	s_wait_xcnt 0x1
	v_lshlrev_b64_e32 v[4:5], 4, v[58:59]
	v_lshl_add_u64 v[6:7], s[24:25], 4, v[64:65]
	s_wait_xcnt 0x2
	s_delay_alu instid0(VALU_DEP_4) | instskip(SKIP_2) | instid1(VALU_DEP_4)
	v_mul_f64_e32 v[10:11], s[8:9], v[84:85]
	s_wait_xcnt 0x1
	v_mul_f64_e32 v[12:13], s[6:7], v[84:85]
	v_add_nc_u64_e32 v[8:9], v[6:7], v[4:5]
	v_lshl_add_u64 v[6:7], s[16:17], 4, v[6:7]
	s_delay_alu instid0(VALU_DEP_1)
	v_add_nc_u64_e32 v[6:7], v[6:7], v[4:5]
	global_load_b128 v[0:3], v[8:9], off
	v_fma_f64 v[10:11], s[6:7], v[82:83], -v[10:11]
	v_fmac_f64_e32 v[12:13], s[8:9], v[82:83]
	s_wait_loadcnt 0x0
	v_mul_f64_e32 v[14:15], s[40:41], v[2:3]
	v_mul_f64_e32 v[2:3], s[38:39], v[2:3]
	s_delay_alu instid0(VALU_DEP_2) | instskip(NEXT) | instid1(VALU_DEP_2)
	v_fma_f64 v[14:15], s[38:39], v[0:1], -v[14:15]
	v_fmac_f64_e32 v[2:3], s[40:41], v[0:1]
	s_delay_alu instid0(VALU_DEP_2) | instskip(NEXT) | instid1(VALU_DEP_2)
	v_add_f64_e32 v[0:1], v[10:11], v[14:15]
	v_add_f64_e32 v[2:3], v[12:13], v[2:3]
	v_lshl_add_u64 v[10:11], v[56:57], 4, s[20:21]
	v_mul_f64_e32 v[14:15], s[6:7], v[76:77]
	s_delay_alu instid0(VALU_DEP_2)
	v_add_nc_u64_e32 v[12:13], v[10:11], v[4:5]
	global_store_b128 v[12:13], v[0:3], off
	global_load_b128 v[0:3], v[8:9], off offset:256
	s_wait_xcnt 0x0
	v_mul_f64_e32 v[8:9], s[8:9], v[76:77]
	v_fmac_f64_e32 v[14:15], s[8:9], v[74:75]
	s_delay_alu instid0(VALU_DEP_2) | instskip(SKIP_3) | instid1(VALU_DEP_2)
	v_fma_f64 v[8:9], s[6:7], v[74:75], -v[8:9]
	s_wait_loadcnt 0x0
	v_mul_f64_e32 v[16:17], s[40:41], v[2:3]
	v_mul_f64_e32 v[2:3], s[38:39], v[2:3]
	v_fma_f64 v[16:17], s[38:39], v[0:1], -v[16:17]
	s_delay_alu instid0(VALU_DEP_2) | instskip(NEXT) | instid1(VALU_DEP_2)
	v_fmac_f64_e32 v[2:3], s[40:41], v[0:1]
	v_add_f64_e32 v[0:1], v[8:9], v[16:17]
	s_delay_alu instid0(VALU_DEP_2)
	v_add_f64_e32 v[2:3], v[14:15], v[2:3]
	v_mul_f64_e32 v[8:9], s[8:9], v[72:73]
	global_store_b128 v[12:13], v[0:3], off offset:256
	global_load_b128 v[0:3], v[6:7], off
	v_mul_f64_e32 v[12:13], s[6:7], v[72:73]
	v_fma_f64 v[8:9], s[6:7], v[70:71], -v[8:9]
	s_delay_alu instid0(VALU_DEP_2) | instskip(SKIP_3) | instid1(VALU_DEP_2)
	v_fmac_f64_e32 v[12:13], s[8:9], v[70:71]
	s_wait_loadcnt 0x0
	v_mul_f64_e32 v[14:15], s[40:41], v[2:3]
	v_mul_f64_e32 v[2:3], s[38:39], v[2:3]
	v_fma_f64 v[14:15], s[38:39], v[0:1], -v[14:15]
	s_delay_alu instid0(VALU_DEP_2) | instskip(NEXT) | instid1(VALU_DEP_2)
	v_fmac_f64_e32 v[2:3], s[40:41], v[0:1]
	v_add_f64_e32 v[0:1], v[8:9], v[14:15]
	s_delay_alu instid0(VALU_DEP_2) | instskip(SKIP_1) | instid1(VALU_DEP_1)
	v_add_f64_e32 v[2:3], v[12:13], v[2:3]
	v_lshl_add_u64 v[8:9], s[10:11], 4, v[10:11]
	v_add_nc_u64_e32 v[4:5], v[8:9], v[4:5]
	v_mul_f64_e32 v[8:9], s[6:7], v[68:69]
	global_store_b128 v[4:5], v[0:3], off
	global_load_b128 v[0:3], v[6:7], off offset:256
	s_wait_xcnt 0x0
	v_mul_f64_e32 v[6:7], s[8:9], v[68:69]
	v_fmac_f64_e32 v[8:9], s[8:9], v[66:67]
	s_delay_alu instid0(VALU_DEP_2) | instskip(SKIP_3) | instid1(VALU_DEP_2)
	v_fma_f64 v[6:7], s[6:7], v[66:67], -v[6:7]
	s_wait_loadcnt 0x0
	v_mul_f64_e32 v[10:11], s[40:41], v[2:3]
	v_mul_f64_e32 v[2:3], s[38:39], v[2:3]
	v_fma_f64 v[10:11], s[38:39], v[0:1], -v[10:11]
	s_delay_alu instid0(VALU_DEP_2) | instskip(NEXT) | instid1(VALU_DEP_2)
	v_fmac_f64_e32 v[2:3], s[40:41], v[0:1]
	v_add_f64_e32 v[6:7], v[6:7], v[10:11]
	s_delay_alu instid0(VALU_DEP_2)
	v_add_f64_e32 v[0:1], v[8:9], v[2:3]
	v_add_nc_u64_e32 v[2:3], 0x100, v[4:5]
	global_store_b64 v[4:5], v[6:7], off offset:256
	s_branch .LBB543_2
.LBB543_11:
	s_sendmsg sendmsg(MSG_DEALLOC_VGPRS)
	s_endpgm
	.section	.rodata,"a",@progbits
	.p2align	6, 0x0
	.amdhsa_kernel _ZN12_GLOBAL__N_127rocblas_gemm_batched_kernelI19rocblas_complex_numIdELi16ELi16ELi32ELi32ELi8ELi32ELi8ELi8ELi32ELc67ELc78EKS2_S3_S2_EEvlllT_PT11_llS6_llS4_PT12_llPT13_lli
		.amdhsa_group_segment_fixed_size 8192
		.amdhsa_private_segment_fixed_size 0
		.amdhsa_kernarg_size 156
		.amdhsa_user_sgpr_count 2
		.amdhsa_user_sgpr_dispatch_ptr 0
		.amdhsa_user_sgpr_queue_ptr 0
		.amdhsa_user_sgpr_kernarg_segment_ptr 1
		.amdhsa_user_sgpr_dispatch_id 0
		.amdhsa_user_sgpr_kernarg_preload_length 0
		.amdhsa_user_sgpr_kernarg_preload_offset 0
		.amdhsa_user_sgpr_private_segment_size 0
		.amdhsa_wavefront_size32 1
		.amdhsa_uses_dynamic_stack 0
		.amdhsa_enable_private_segment 0
		.amdhsa_system_sgpr_workgroup_id_x 1
		.amdhsa_system_sgpr_workgroup_id_y 1
		.amdhsa_system_sgpr_workgroup_id_z 1
		.amdhsa_system_sgpr_workgroup_info 0
		.amdhsa_system_vgpr_workitem_id 1
		.amdhsa_next_free_vgpr 166
		.amdhsa_next_free_sgpr 52
		.amdhsa_named_barrier_count 0
		.amdhsa_reserve_vcc 1
		.amdhsa_float_round_mode_32 0
		.amdhsa_float_round_mode_16_64 0
		.amdhsa_float_denorm_mode_32 3
		.amdhsa_float_denorm_mode_16_64 3
		.amdhsa_fp16_overflow 0
		.amdhsa_memory_ordered 1
		.amdhsa_forward_progress 1
		.amdhsa_inst_pref_size 21
		.amdhsa_round_robin_scheduling 0
		.amdhsa_exception_fp_ieee_invalid_op 0
		.amdhsa_exception_fp_denorm_src 0
		.amdhsa_exception_fp_ieee_div_zero 0
		.amdhsa_exception_fp_ieee_overflow 0
		.amdhsa_exception_fp_ieee_underflow 0
		.amdhsa_exception_fp_ieee_inexact 0
		.amdhsa_exception_int_div_zero 0
	.end_amdhsa_kernel
	.section	.text._ZN12_GLOBAL__N_127rocblas_gemm_batched_kernelI19rocblas_complex_numIdELi16ELi16ELi32ELi32ELi8ELi32ELi8ELi8ELi32ELc67ELc78EKS2_S3_S2_EEvlllT_PT11_llS6_llS4_PT12_llPT13_lli,"axG",@progbits,_ZN12_GLOBAL__N_127rocblas_gemm_batched_kernelI19rocblas_complex_numIdELi16ELi16ELi32ELi32ELi8ELi32ELi8ELi8ELi32ELc67ELc78EKS2_S3_S2_EEvlllT_PT11_llS6_llS4_PT12_llPT13_lli,comdat
.Lfunc_end543:
	.size	_ZN12_GLOBAL__N_127rocblas_gemm_batched_kernelI19rocblas_complex_numIdELi16ELi16ELi32ELi32ELi8ELi32ELi8ELi8ELi32ELc67ELc78EKS2_S3_S2_EEvlllT_PT11_llS6_llS4_PT12_llPT13_lli, .Lfunc_end543-_ZN12_GLOBAL__N_127rocblas_gemm_batched_kernelI19rocblas_complex_numIdELi16ELi16ELi32ELi32ELi8ELi32ELi8ELi8ELi32ELc67ELc78EKS2_S3_S2_EEvlllT_PT11_llS6_llS4_PT12_llPT13_lli
                                        ; -- End function
	.set _ZN12_GLOBAL__N_127rocblas_gemm_batched_kernelI19rocblas_complex_numIdELi16ELi16ELi32ELi32ELi8ELi32ELi8ELi8ELi32ELc67ELc78EKS2_S3_S2_EEvlllT_PT11_llS6_llS4_PT12_llPT13_lli.num_vgpr, 166
	.set _ZN12_GLOBAL__N_127rocblas_gemm_batched_kernelI19rocblas_complex_numIdELi16ELi16ELi32ELi32ELi8ELi32ELi8ELi8ELi32ELc67ELc78EKS2_S3_S2_EEvlllT_PT11_llS6_llS4_PT12_llPT13_lli.num_agpr, 0
	.set _ZN12_GLOBAL__N_127rocblas_gemm_batched_kernelI19rocblas_complex_numIdELi16ELi16ELi32ELi32ELi8ELi32ELi8ELi8ELi32ELc67ELc78EKS2_S3_S2_EEvlllT_PT11_llS6_llS4_PT12_llPT13_lli.numbered_sgpr, 52
	.set _ZN12_GLOBAL__N_127rocblas_gemm_batched_kernelI19rocblas_complex_numIdELi16ELi16ELi32ELi32ELi8ELi32ELi8ELi8ELi32ELc67ELc78EKS2_S3_S2_EEvlllT_PT11_llS6_llS4_PT12_llPT13_lli.num_named_barrier, 0
	.set _ZN12_GLOBAL__N_127rocblas_gemm_batched_kernelI19rocblas_complex_numIdELi16ELi16ELi32ELi32ELi8ELi32ELi8ELi8ELi32ELc67ELc78EKS2_S3_S2_EEvlllT_PT11_llS6_llS4_PT12_llPT13_lli.private_seg_size, 0
	.set _ZN12_GLOBAL__N_127rocblas_gemm_batched_kernelI19rocblas_complex_numIdELi16ELi16ELi32ELi32ELi8ELi32ELi8ELi8ELi32ELc67ELc78EKS2_S3_S2_EEvlllT_PT11_llS6_llS4_PT12_llPT13_lli.uses_vcc, 1
	.set _ZN12_GLOBAL__N_127rocblas_gemm_batched_kernelI19rocblas_complex_numIdELi16ELi16ELi32ELi32ELi8ELi32ELi8ELi8ELi32ELc67ELc78EKS2_S3_S2_EEvlllT_PT11_llS6_llS4_PT12_llPT13_lli.uses_flat_scratch, 0
	.set _ZN12_GLOBAL__N_127rocblas_gemm_batched_kernelI19rocblas_complex_numIdELi16ELi16ELi32ELi32ELi8ELi32ELi8ELi8ELi32ELc67ELc78EKS2_S3_S2_EEvlllT_PT11_llS6_llS4_PT12_llPT13_lli.has_dyn_sized_stack, 0
	.set _ZN12_GLOBAL__N_127rocblas_gemm_batched_kernelI19rocblas_complex_numIdELi16ELi16ELi32ELi32ELi8ELi32ELi8ELi8ELi32ELc67ELc78EKS2_S3_S2_EEvlllT_PT11_llS6_llS4_PT12_llPT13_lli.has_recursion, 0
	.set _ZN12_GLOBAL__N_127rocblas_gemm_batched_kernelI19rocblas_complex_numIdELi16ELi16ELi32ELi32ELi8ELi32ELi8ELi8ELi32ELc67ELc78EKS2_S3_S2_EEvlllT_PT11_llS6_llS4_PT12_llPT13_lli.has_indirect_call, 0
	.section	.AMDGPU.csdata,"",@progbits
; Kernel info:
; codeLenInByte = 2608
; TotalNumSgprs: 54
; NumVgprs: 166
; ScratchSize: 0
; MemoryBound: 0
; FloatMode: 240
; IeeeMode: 1
; LDSByteSize: 8192 bytes/workgroup (compile time only)
; SGPRBlocks: 0
; VGPRBlocks: 10
; NumSGPRsForWavesPerEU: 54
; NumVGPRsForWavesPerEU: 166
; NamedBarCnt: 0
; Occupancy: 5
; WaveLimiterHint : 1
; COMPUTE_PGM_RSRC2:SCRATCH_EN: 0
; COMPUTE_PGM_RSRC2:USER_SGPR: 2
; COMPUTE_PGM_RSRC2:TRAP_HANDLER: 0
; COMPUTE_PGM_RSRC2:TGID_X_EN: 1
; COMPUTE_PGM_RSRC2:TGID_Y_EN: 1
; COMPUTE_PGM_RSRC2:TGID_Z_EN: 1
; COMPUTE_PGM_RSRC2:TIDIG_COMP_CNT: 1
	.section	.text._ZN12_GLOBAL__N_127rocblas_gemm_batched_kernelI19rocblas_complex_numIdELi16ELi16ELi32ELi32ELi8ELi32ELi8ELi8ELi32ELc67ELc84EKS2_S3_S2_EEvlllT_PT11_llS6_llS4_PT12_llPT13_lli,"axG",@progbits,_ZN12_GLOBAL__N_127rocblas_gemm_batched_kernelI19rocblas_complex_numIdELi16ELi16ELi32ELi32ELi8ELi32ELi8ELi8ELi32ELc67ELc84EKS2_S3_S2_EEvlllT_PT11_llS6_llS4_PT12_llPT13_lli,comdat
	.globl	_ZN12_GLOBAL__N_127rocblas_gemm_batched_kernelI19rocblas_complex_numIdELi16ELi16ELi32ELi32ELi8ELi32ELi8ELi8ELi32ELc67ELc84EKS2_S3_S2_EEvlllT_PT11_llS6_llS4_PT12_llPT13_lli ; -- Begin function _ZN12_GLOBAL__N_127rocblas_gemm_batched_kernelI19rocblas_complex_numIdELi16ELi16ELi32ELi32ELi8ELi32ELi8ELi8ELi32ELc67ELc84EKS2_S3_S2_EEvlllT_PT11_llS6_llS4_PT12_llPT13_lli
	.p2align	8
	.type	_ZN12_GLOBAL__N_127rocblas_gemm_batched_kernelI19rocblas_complex_numIdELi16ELi16ELi32ELi32ELi8ELi32ELi8ELi8ELi32ELc67ELc84EKS2_S3_S2_EEvlllT_PT11_llS6_llS4_PT12_llPT13_lli,@function
_ZN12_GLOBAL__N_127rocblas_gemm_batched_kernelI19rocblas_complex_numIdELi16ELi16ELi32ELi32ELi8ELi32ELi8ELi8ELi32ELc67ELc84EKS2_S3_S2_EEvlllT_PT11_llS6_llS4_PT12_llPT13_lli: ; @_ZN12_GLOBAL__N_127rocblas_gemm_batched_kernelI19rocblas_complex_numIdELi16ELi16ELi32ELi32ELi8ELi32ELi8ELi8ELi32ELc67ELc84EKS2_S3_S2_EEvlllT_PT11_llS6_llS4_PT12_llPT13_lli
; %bb.0:
	s_load_b32 s24, s[0:1], 0x98
	s_bfe_u32 s2, ttmp6, 0x40014
	s_lshr_b32 s3, ttmp7, 16
	s_add_co_i32 s2, s2, 1
	s_bfe_u32 s4, ttmp6, 0x40008
	s_mul_i32 s2, s3, s2
	s_getreg_b32 s20, hwreg(HW_REG_IB_STS2, 6, 4)
	s_add_co_i32 s4, s4, s2
	s_cmp_eq_u32 s20, 0
	s_cselect_b32 s2, s3, s4
	s_mov_b32 s3, 0
	s_wait_kmcnt 0x0
	s_cmp_ge_i32 s2, s24
	s_cbranch_scc1 .LBB544_11
; %bb.1:
	s_bfe_u32 s21, ttmp6, 0x4000c
	s_bfe_u32 s23, ttmp6, 0x40010
	s_add_co_i32 s21, s21, 1
	s_and_b32 s25, ttmp7, 0xffff
	s_add_co_i32 s23, s23, 1
	v_bfe_u32 v2, v0, 10, 10
	v_and_b32_e32 v4, 0x3ff, v0
	s_clause 0x1
	s_load_b512 s[4:19], s[0:1], 0x10
	s_load_b512 s[36:51], s[0:1], 0x50
	s_and_b32 s22, ttmp6, 15
	s_mul_i32 s21, ttmp9, s21
	s_mul_i32 s23, s25, s23
	s_bfe_u32 s26, ttmp6, 0x40004
	s_add_co_i32 s22, s22, s21
	s_add_co_i32 s26, s26, s23
	s_cmp_eq_u32 s20, 0
	v_lshl_add_u32 v5, v2, 4, v4
	s_cselect_b32 s20, ttmp9, s22
	s_cselect_b32 s22, s25, s26
	s_ashr_i32 s21, s20, 31
	v_mov_b32_e32 v3, 0
	s_lshl_b64 s[20:21], s[20:21], 5
	s_delay_alu instid0(SALU_CYCLE_1) | instskip(SKIP_3) | instid1(VALU_DEP_2)
	v_dual_mov_b32 v7, s21 :: v_dual_bitop2_b32 v16, 31, v5 bitop3:0x40
	s_lshl_b32 s22, s22, 5
	s_mov_b32 s23, s3
	v_dual_mov_b32 v11, v3 :: v_dual_lshrrev_b32 v10, 3, v5
	v_or_b32_e32 v6, s20, v16
	v_add_nc_u64_e32 v[8:9], s[22:23], v[2:3]
	s_wait_kmcnt 0x0
	v_cmp_eq_f64_e64 s25, s[38:39], 0
	v_cmp_eq_f64_e64 s26, s[40:41], 0
	v_add_nc_u64_e32 v[14:15], s[22:23], v[10:11]
	v_mul_u64_e32 v[6:7], s[12:13], v[6:7]
	v_and_b32_e32 v11, 7, v0
	v_lshl_add_u32 v86, v2, 7, 0x1000
	v_mul_u64_e32 v[12:13], s[44:45], v[8:9]
	v_mul_u64_e32 v[56:57], s[50:51], v[8:9]
	v_lshrrev_b32_e32 v8, 5, v5
	v_mad_nc_u64_u32 v[0:1], s18, v11, v[14:15]
	v_lshlrev_b32_e32 v5, 4, v11
	s_load_b64 s[12:13], s[0:1], 0x90
	v_lshlrev_b32_e32 v9, 4, v16
	v_lshlrev_b32_e32 v2, 4, v8
	s_wait_xcnt 0x0
	v_cmp_gt_i64_e64 s0, s[4:5], 0
	v_lshl_or_b32 v10, v10, 7, v5
	v_dual_mov_b32 v5, v3 :: v_dual_lshlrev_b32 v89, 4, v4
	v_lshl_or_b32 v87, v8, 9, v9
	s_lshl_b64 s[14:15], s[14:15], 4
	v_mad_u32 v1, s19, v11, v1
	s_delay_alu instid0(VALU_DEP_3) | instskip(SKIP_4) | instid1(VALU_DEP_2)
	v_add_nc_u64_e32 v[58:59], s[20:21], v[4:5]
	v_cndmask_b32_e64 v4, 0, 1, s0
	v_add_nc_u32_e32 v88, 0x1000, v10
	s_lshl_b64 s[20:21], s[44:45], 4
	s_lshl_b64 s[18:19], s[18:19], 7
	v_cmp_ne_u32_e64 s0, 1, v4
	v_lshl_add_u64 v[64:65], v[0:1], 4, s[16:17]
	s_lshl_b64 s[16:17], s[36:37], 4
	s_and_b32 s1, s25, s26
	v_lshl_add_u64 v[2:3], v[6:7], 4, v[2:3]
	v_lshl_add_u64 v[60:61], v[12:13], 4, s[42:43]
	s_delay_alu instid0(VALU_DEP_2) | instskip(SKIP_1) | instid1(VALU_DEP_1)
	v_add_nc_u64_e32 v[2:3], s[10:11], v[2:3]
	s_lshl_b64 s[10:11], s[50:51], 4
	v_add_nc_u64_e32 v[62:63], 8, v[2:3]
	s_branch .LBB544_3
.LBB544_2:                              ;   in Loop: Header=BB544_3 Depth=1
	s_add_co_i32 s2, s2, 0x10000
	global_store_b64 v[2:3], v[0:1], off offset:8
	s_cmp_lt_i32 s2, s24
	s_cbranch_scc0 .LBB544_11
.LBB544_3:                              ; =>This Loop Header: Depth=1
                                        ;     Child Loop BB544_5 Depth 2
	s_and_b32 vcc_lo, exec_lo, s0
	s_cbranch_vccnz .LBB544_6
; %bb.4:                                ;   in Loop: Header=BB544_3 Depth=1
	s_delay_alu instid0(VALU_DEP_1)
	v_mad_nc_u64_u32 v[78:79], s14, s2, v[62:63]
	v_mad_nc_u64_u32 v[80:81], s16, s2, v[64:65]
	v_mov_b64_e32 v[68:69], 0
	v_mov_b64_e32 v[66:67], 0
	;; [unrolled: 1-line block ×8, first 2 shown]
	s_mov_b64 s[22:23], 0
	v_mad_u32 v79, s15, s2, v79
	v_mad_u32 v81, s17, s2, v81
.LBB544_5:                              ;   Parent Loop BB544_3 Depth=1
                                        ; =>  This Inner Loop Header: Depth=2
	global_load_b128 v[0:3], v[78:79], off offset:-8
	global_load_b128 v[4:7], v[80:81], off
	s_add_nc_u64 s[22:23], s[22:23], 8
	s_wait_xcnt 0x1
	v_add_nc_u64_e32 v[78:79], 0x80, v[78:79]
	v_cmp_lt_i64_e64 s25, s[22:23], s[4:5]
	s_wait_xcnt 0x0
	v_add_nc_u64_e32 v[80:81], s[18:19], v[80:81]
	s_and_b32 vcc_lo, exec_lo, s25
	s_wait_loadcnt 0x1
	v_xor_b32_e32 v3, 0x80000000, v3
	s_wait_loadcnt 0x0
	ds_store_2addr_b64 v88, v[4:5], v[6:7] offset1:1
	ds_store_b128 v87, v[0:3]
	s_wait_dscnt 0x0
	s_barrier_signal -1
	s_barrier_wait -1
	ds_load_b128 v[0:3], v89
	ds_load_b128 v[8:11], v89 offset:256
	ds_load_b128 v[12:15], v86
	ds_load_b128 v[4:7], v86 offset:16
	ds_load_b128 v[16:19], v86 offset:2048
	;; [unrolled: 1-line block ×28, first 2 shown]
	s_wait_dscnt 0x1c
	v_mul_f64_e32 v[160:161], v[12:13], v[2:3]
	v_mul_f64_e32 v[164:165], v[12:13], v[10:11]
	;; [unrolled: 1-line block ×4, first 2 shown]
	s_delay_alu instid0(VALU_DEP_4) | instskip(NEXT) | instid1(VALU_DEP_4)
	v_fmac_f64_e32 v[160:161], v[14:15], v[0:1]
	v_fmac_f64_e32 v[164:165], v[14:15], v[8:9]
	s_wait_dscnt 0x1a
	v_mul_f64_e32 v[14:15], v[18:19], v[2:3]
	v_mul_f64_e32 v[2:3], v[16:17], v[2:3]
	v_fma_f64 v[158:159], v[12:13], v[0:1], -v[158:159]
	v_fma_f64 v[12:13], v[12:13], v[8:9], -v[162:163]
	s_wait_dscnt 0x17
	v_mul_f64_e32 v[162:163], v[4:5], v[34:35]
	v_add_f64_e32 v[84:85], v[160:161], v[84:85]
	v_add_f64_e32 v[76:77], v[164:165], v[76:77]
	v_fma_f64 v[14:15], v[16:17], v[0:1], -v[14:15]
	v_fmac_f64_e32 v[2:3], v[18:19], v[0:1]
	v_mul_f64_e32 v[0:1], v[18:19], v[10:11]
	v_mul_f64_e32 v[10:11], v[16:17], v[10:11]
	v_fmac_f64_e32 v[162:163], v[6:7], v[32:33]
	v_add_f64_e32 v[12:13], v[74:75], v[12:13]
	s_wait_dscnt 0x10
	v_mul_f64_e32 v[74:75], v[22:23], v[92:93]
	v_add_f64_e32 v[14:15], v[70:71], v[14:15]
	v_add_f64_e32 v[2:3], v[2:3], v[72:73]
	v_fma_f64 v[0:1], v[16:17], v[8:9], -v[0:1]
	v_fmac_f64_e32 v[10:11], v[18:19], v[8:9]
	v_mul_f64_e32 v[8:9], v[6:7], v[30:31]
	v_mul_f64_e32 v[16:17], v[4:5], v[30:31]
	;; [unrolled: 1-line block ×3, first 2 shown]
	s_wait_dscnt 0xf
	v_mul_f64_e32 v[70:71], v[22:23], v[96:97]
	v_mul_f64_e32 v[72:73], v[20:21], v[96:97]
	v_fma_f64 v[74:75], v[20:21], v[90:91], -v[74:75]
	v_add_f64_e32 v[0:1], v[66:67], v[0:1]
	v_add_f64_e32 v[10:11], v[10:11], v[68:69]
	v_fma_f64 v[8:9], v[4:5], v[28:29], -v[8:9]
	v_fmac_f64_e32 v[16:17], v[6:7], v[28:29]
	v_fma_f64 v[4:5], v[4:5], v[32:33], -v[18:19]
	v_mul_f64_e32 v[6:7], v[26:27], v[30:31]
	v_mul_f64_e32 v[18:19], v[24:25], v[30:31]
	;; [unrolled: 1-line block ×5, first 2 shown]
	v_fmac_f64_e32 v[72:73], v[22:23], v[94:95]
	v_add_f64_e32 v[16:17], v[16:17], v[84:85]
	v_add_f64_e32 v[4:5], v[12:13], v[4:5]
	v_fma_f64 v[6:7], v[24:25], v[28:29], -v[6:7]
	v_fmac_f64_e32 v[18:19], v[26:27], v[28:29]
	v_mul_f64_e32 v[28:29], v[26:27], v[34:35]
	v_fmac_f64_e32 v[30:31], v[26:27], v[32:33]
	v_mul_f64_e32 v[26:27], v[46:47], v[38:39]
	v_mul_f64_e32 v[34:35], v[44:45], v[42:43]
	v_add_f64_e32 v[12:13], v[162:163], v[76:77]
	s_wait_dscnt 0xa
	v_mul_f64_e32 v[84:85], v[114:115], v[100:101]
	v_fmac_f64_e32 v[68:69], v[54:55], v[90:91]
	s_wait_dscnt 0x7
	v_mul_f64_e32 v[76:77], v[112:113], v[128:129]
	v_add_f64_e32 v[6:7], v[14:15], v[6:7]
	v_add_f64_e32 v[2:3], v[18:19], v[2:3]
	v_fma_f64 v[24:25], v[24:25], v[32:33], -v[28:29]
	v_mul_f64_e32 v[28:29], v[44:45], v[38:39]
	v_mul_f64_e32 v[32:33], v[46:47], v[42:43]
	v_fma_f64 v[26:27], v[44:45], v[36:37], -v[26:27]
	v_fmac_f64_e32 v[34:35], v[46:47], v[40:41]
	v_add_f64_e32 v[10:11], v[30:31], v[10:11]
	v_mul_f64_e32 v[14:15], v[116:117], v[104:105]
	v_mul_f64_e32 v[18:19], v[114:115], v[104:105]
	;; [unrolled: 1-line block ×3, first 2 shown]
	v_fmac_f64_e32 v[84:85], v[116:117], v[98:99]
	v_add_f64_e32 v[0:1], v[0:1], v[24:25]
	v_fmac_f64_e32 v[28:29], v[46:47], v[36:37]
	v_fma_f64 v[32:33], v[44:45], v[40:41], -v[32:33]
	v_mul_f64_e32 v[44:45], v[50:51], v[38:39]
	v_mul_f64_e32 v[38:39], v[48:49], v[38:39]
	v_add_f64_e32 v[46:47], v[82:83], v[158:159]
	v_mul_f64_e32 v[82:83], v[50:51], v[42:43]
	v_mul_f64_e32 v[42:43], v[48:49], v[42:43]
	v_mul_f64_e32 v[158:159], v[20:21], v[92:93]
	v_mul_f64_e32 v[92:93], v[52:53], v[96:97]
	v_fma_f64 v[20:21], v[20:21], v[94:95], -v[70:71]
	v_add_f64_e32 v[12:13], v[34:35], v[12:13]
	v_mul_f64_e32 v[24:25], v[112:113], v[124:125]
	v_mul_f64_e32 v[34:35], v[118:119], v[128:129]
	v_fma_f64 v[14:15], v[114:115], v[102:103], -v[14:15]
	v_fmac_f64_e32 v[18:19], v[116:117], v[102:103]
	v_fmac_f64_e32 v[30:31], v[112:113], v[122:123]
	v_add_f64_e32 v[16:17], v[28:29], v[16:17]
	v_add_f64_e32 v[4:5], v[4:5], v[32:33]
	v_fma_f64 v[44:45], v[48:49], v[36:37], -v[44:45]
	v_fmac_f64_e32 v[38:39], v[50:51], v[36:37]
	v_mul_f64_e32 v[36:37], v[54:55], v[96:97]
	v_fma_f64 v[48:49], v[48:49], v[40:41], -v[82:83]
	v_fmac_f64_e32 v[42:43], v[50:51], v[40:41]
	v_add_f64_e32 v[8:9], v[46:47], v[8:9]
	v_mul_f64_e32 v[40:41], v[108:109], v[100:101]
	v_mul_f64_e32 v[50:51], v[106:107], v[100:101]
	;; [unrolled: 1-line block ×5, first 2 shown]
	v_fmac_f64_e32 v[158:159], v[22:23], v[90:91]
	v_fma_f64 v[22:23], v[52:53], v[90:91], -v[66:67]
	v_fmac_f64_e32 v[92:93], v[54:55], v[94:95]
	v_mul_f64_e32 v[100:101], v[110:111], v[128:129]
	v_mul_f64_e32 v[28:29], v[118:119], v[124:125]
	;; [unrolled: 1-line block ×3, first 2 shown]
	v_add_f64_e32 v[12:13], v[72:73], v[12:13]
	s_wait_dscnt 0x1
	v_mul_f64_e32 v[54:55], v[150:151], v[136:137]
	v_fma_f64 v[24:25], v[110:111], v[122:123], -v[24:25]
	v_fma_f64 v[66:67], v[110:111], v[126:127], -v[76:77]
	v_fmac_f64_e32 v[34:35], v[120:121], v[126:127]
	s_wait_dscnt 0x0
	v_mul_f64_e32 v[72:73], v[154:155], v[148:149]
	v_add_f64_e32 v[4:5], v[4:5], v[20:21]
	v_add_f64_e32 v[6:7], v[6:7], v[44:45]
	;; [unrolled: 1-line block ×3, first 2 shown]
	v_fma_f64 v[36:37], v[52:53], v[94:95], -v[36:37]
	v_add_f64_e32 v[0:1], v[0:1], v[48:49]
	v_add_f64_e32 v[10:11], v[42:43], v[10:11]
	;; [unrolled: 1-line block ×3, first 2 shown]
	v_mul_f64_e32 v[26:27], v[120:121], v[124:125]
	v_fma_f64 v[40:41], v[106:107], v[98:99], -v[40:41]
	v_fmac_f64_e32 v[50:51], v[108:109], v[98:99]
	v_fma_f64 v[44:45], v[106:107], v[102:103], -v[82:83]
	v_fmac_f64_e32 v[96:97], v[108:109], v[102:103]
	v_fma_f64 v[46:47], v[114:115], v[98:99], -v[46:47]
	v_add_f64_e32 v[16:17], v[158:159], v[16:17]
	v_mul_f64_e32 v[38:39], v[140:141], v[132:133]
	v_mul_f64_e32 v[42:43], v[138:139], v[132:133]
	;; [unrolled: 1-line block ×5, first 2 shown]
	v_fmac_f64_e32 v[100:101], v[112:113], v[126:127]
	v_fmac_f64_e32 v[28:29], v[120:121], v[122:123]
	v_fma_f64 v[32:33], v[118:119], v[126:127], -v[32:33]
	v_fmac_f64_e32 v[54:55], v[152:153], v[134:135]
	v_fmac_f64_e32 v[72:73], v[156:157], v[146:147]
	v_add_f64_e32 v[6:7], v[6:7], v[22:23]
	v_add_f64_e32 v[2:3], v[68:69], v[2:3]
	v_mul_f64_e32 v[22:23], v[138:139], v[136:137]
	v_add_f64_e32 v[0:1], v[0:1], v[36:37]
	v_add_f64_e32 v[10:11], v[92:93], v[10:11]
	;; [unrolled: 1-line block ×3, first 2 shown]
	v_mul_f64_e32 v[36:37], v[152:153], v[132:133]
	v_fma_f64 v[26:27], v[118:119], v[122:123], -v[26:27]
	v_mul_f64_e32 v[68:69], v[156:157], v[148:149]
	v_add_f64_e32 v[4:5], v[4:5], v[44:45]
	v_add_f64_e32 v[12:13], v[96:97], v[12:13]
	v_mul_f64_e32 v[44:45], v[142:143], v[148:149]
	v_add_f64_e32 v[16:17], v[50:51], v[16:17]
	v_fma_f64 v[38:39], v[138:139], v[130:131], -v[38:39]
	v_fmac_f64_e32 v[42:43], v[140:141], v[130:131]
	v_fma_f64 v[20:21], v[138:139], v[134:135], -v[20:21]
	v_fmac_f64_e32 v[48:49], v[152:153], v[130:131]
	v_fma_f64 v[52:53], v[150:151], v[134:135], -v[52:53]
	v_add_f64_e32 v[6:7], v[6:7], v[46:47]
	v_fmac_f64_e32 v[22:23], v[140:141], v[134:135]
	v_add_f64_e32 v[14:15], v[0:1], v[14:15]
	v_add_f64_e32 v[10:11], v[18:19], v[10:11]
	;; [unrolled: 1-line block ×4, first 2 shown]
	ds_load_b128 v[0:3], v89 offset:3840
	v_mul_f64_e32 v[18:19], v[144:145], v[148:149]
	v_fma_f64 v[36:37], v[150:151], v[130:131], -v[36:37]
	v_add_f64_e32 v[4:5], v[4:5], v[66:67]
	v_add_f64_e32 v[12:13], v[100:101], v[12:13]
	;; [unrolled: 1-line block ×3, first 2 shown]
	v_fmac_f64_e32 v[44:45], v[144:145], v[146:147]
	s_wait_dscnt 0x0
	s_barrier_signal -1
	s_barrier_wait -1
	v_mul_f64_e32 v[46:47], v[144:145], v[2:3]
	v_mul_f64_e32 v[50:51], v[142:143], v[2:3]
	;; [unrolled: 1-line block ×4, first 2 shown]
	v_add_f64_e32 v[6:7], v[6:7], v[26:27]
	v_add_f64_e32 v[14:15], v[14:15], v[32:33]
	v_add_f64_e32 v[10:11], v[34:35], v[10:11]
	v_add_f64_e32 v[8:9], v[8:9], v[24:25]
	v_add_f64_e32 v[24:25], v[28:29], v[40:41]
	v_fma_f64 v[28:29], v[154:155], v[146:147], -v[68:69]
	v_fma_f64 v[18:19], v[142:143], v[146:147], -v[18:19]
	v_add_f64_e32 v[4:5], v[4:5], v[20:21]
	v_add_f64_e32 v[12:13], v[22:23], v[12:13]
	v_fma_f64 v[26:27], v[142:143], v[0:1], -v[46:47]
	v_fmac_f64_e32 v[50:51], v[144:145], v[0:1]
	v_fma_f64 v[30:31], v[154:155], v[0:1], -v[70:71]
	v_fmac_f64_e32 v[2:3], v[156:157], v[0:1]
	v_add_f64_e32 v[6:7], v[6:7], v[36:37]
	v_add_f64_e32 v[14:15], v[14:15], v[52:53]
	;; [unrolled: 1-line block ×14, first 2 shown]
	s_cbranch_vccnz .LBB544_5
	s_branch .LBB544_7
.LBB544_6:                              ;   in Loop: Header=BB544_3 Depth=1
	v_mov_b64_e32 v[82:83], 0
	v_mov_b64_e32 v[84:85], 0
	;; [unrolled: 1-line block ×8, first 2 shown]
.LBB544_7:                              ;   in Loop: Header=BB544_3 Depth=1
	s_wait_kmcnt 0x0
	s_mul_u64 s[22:23], s[12:13], s[2:3]
	s_and_not1_b32 vcc_lo, exec_lo, s1
	s_lshl_b64 s[22:23], s[22:23], 4
	s_mov_b32 s25, -1
	s_add_nc_u64 s[22:23], s[48:49], s[22:23]
                                        ; implicit-def: $vgpr0_vgpr1
                                        ; implicit-def: $vgpr2_vgpr3
	s_cbranch_vccz .LBB544_9
; %bb.8:                                ;   in Loop: Header=BB544_3 Depth=1
	s_and_not1_b32 vcc_lo, exec_lo, s25
	s_cbranch_vccnz .LBB544_2
	s_branch .LBB544_10
.LBB544_9:                              ;   in Loop: Header=BB544_3 Depth=1
	s_wait_xcnt 0x0
	s_delay_alu instid0(VALU_DEP_2) | instskip(SKIP_1) | instid1(VALU_DEP_3)
	v_mul_f64_e32 v[2:3], s[8:9], v[84:85]
	v_mul_f64_e32 v[6:7], s[6:7], v[84:85]
	;; [unrolled: 1-line block ×8, first 2 shown]
	v_lshlrev_b64_e32 v[18:19], 4, v[58:59]
	v_fma_f64 v[4:5], s[6:7], v[82:83], -v[2:3]
	v_fmac_f64_e32 v[6:7], s[8:9], v[82:83]
	v_fmac_f64_e32 v[0:1], s[8:9], v[66:67]
	v_fma_f64 v[8:9], s[6:7], v[74:75], -v[8:9]
	v_fmac_f64_e32 v[10:11], s[8:9], v[74:75]
	v_fma_f64 v[12:13], s[6:7], v[70:71], -v[12:13]
	;; [unrolled: 2-line block ×3, first 2 shown]
	v_lshl_add_u64 v[2:3], v[56:57], 4, s[22:23]
	s_delay_alu instid0(VALU_DEP_1) | instskip(NEXT) | instid1(VALU_DEP_1)
	v_lshl_add_u64 v[20:21], s[10:11], 4, v[2:3]
	v_add_nc_u64_e32 v[20:21], v[20:21], v[18:19]
	v_add_nc_u64_e32 v[18:19], v[2:3], v[18:19]
	s_clause 0x3
	global_store_b128 v[18:19], v[4:7], off
	global_store_b128 v[18:19], v[8:11], off offset:256
	global_store_b128 v[20:21], v[12:15], off
	global_store_b64 v[20:21], v[16:17], off offset:256
	v_add_nc_u64_e32 v[2:3], 0x100, v[20:21]
	s_cbranch_execnz .LBB544_2
.LBB544_10:                             ;   in Loop: Header=BB544_3 Depth=1
	s_mul_u64 s[26:27], s[46:47], s[2:3]
	s_wait_xcnt 0x1
	v_lshlrev_b64_e32 v[4:5], 4, v[58:59]
	v_lshl_add_u64 v[6:7], s[26:27], 4, v[60:61]
	s_wait_xcnt 0x2
	s_delay_alu instid0(VALU_DEP_4) | instskip(SKIP_2) | instid1(VALU_DEP_4)
	v_mul_f64_e32 v[10:11], s[8:9], v[84:85]
	s_wait_xcnt 0x1
	v_mul_f64_e32 v[12:13], s[6:7], v[84:85]
	v_add_nc_u64_e32 v[8:9], v[6:7], v[4:5]
	v_lshl_add_u64 v[6:7], s[20:21], 4, v[6:7]
	s_delay_alu instid0(VALU_DEP_1)
	v_add_nc_u64_e32 v[6:7], v[6:7], v[4:5]
	global_load_b128 v[0:3], v[8:9], off
	v_fma_f64 v[10:11], s[6:7], v[82:83], -v[10:11]
	v_fmac_f64_e32 v[12:13], s[8:9], v[82:83]
	s_wait_loadcnt 0x0
	v_mul_f64_e32 v[14:15], s[40:41], v[2:3]
	v_mul_f64_e32 v[2:3], s[38:39], v[2:3]
	s_delay_alu instid0(VALU_DEP_2) | instskip(NEXT) | instid1(VALU_DEP_2)
	v_fma_f64 v[14:15], s[38:39], v[0:1], -v[14:15]
	v_fmac_f64_e32 v[2:3], s[40:41], v[0:1]
	s_delay_alu instid0(VALU_DEP_2) | instskip(NEXT) | instid1(VALU_DEP_2)
	v_add_f64_e32 v[0:1], v[10:11], v[14:15]
	v_add_f64_e32 v[2:3], v[12:13], v[2:3]
	v_lshl_add_u64 v[10:11], v[56:57], 4, s[22:23]
	v_mul_f64_e32 v[14:15], s[6:7], v[76:77]
	s_delay_alu instid0(VALU_DEP_2)
	v_add_nc_u64_e32 v[12:13], v[10:11], v[4:5]
	global_store_b128 v[12:13], v[0:3], off
	global_load_b128 v[0:3], v[8:9], off offset:256
	s_wait_xcnt 0x0
	v_mul_f64_e32 v[8:9], s[8:9], v[76:77]
	v_fmac_f64_e32 v[14:15], s[8:9], v[74:75]
	s_delay_alu instid0(VALU_DEP_2) | instskip(SKIP_3) | instid1(VALU_DEP_2)
	v_fma_f64 v[8:9], s[6:7], v[74:75], -v[8:9]
	s_wait_loadcnt 0x0
	v_mul_f64_e32 v[16:17], s[40:41], v[2:3]
	v_mul_f64_e32 v[2:3], s[38:39], v[2:3]
	v_fma_f64 v[16:17], s[38:39], v[0:1], -v[16:17]
	s_delay_alu instid0(VALU_DEP_2) | instskip(NEXT) | instid1(VALU_DEP_2)
	v_fmac_f64_e32 v[2:3], s[40:41], v[0:1]
	v_add_f64_e32 v[0:1], v[8:9], v[16:17]
	s_delay_alu instid0(VALU_DEP_2)
	v_add_f64_e32 v[2:3], v[14:15], v[2:3]
	v_mul_f64_e32 v[8:9], s[8:9], v[72:73]
	global_store_b128 v[12:13], v[0:3], off offset:256
	global_load_b128 v[0:3], v[6:7], off
	v_mul_f64_e32 v[12:13], s[6:7], v[72:73]
	v_fma_f64 v[8:9], s[6:7], v[70:71], -v[8:9]
	s_delay_alu instid0(VALU_DEP_2) | instskip(SKIP_3) | instid1(VALU_DEP_2)
	v_fmac_f64_e32 v[12:13], s[8:9], v[70:71]
	s_wait_loadcnt 0x0
	v_mul_f64_e32 v[14:15], s[40:41], v[2:3]
	v_mul_f64_e32 v[2:3], s[38:39], v[2:3]
	v_fma_f64 v[14:15], s[38:39], v[0:1], -v[14:15]
	s_delay_alu instid0(VALU_DEP_2) | instskip(NEXT) | instid1(VALU_DEP_2)
	v_fmac_f64_e32 v[2:3], s[40:41], v[0:1]
	v_add_f64_e32 v[0:1], v[8:9], v[14:15]
	s_delay_alu instid0(VALU_DEP_2) | instskip(SKIP_1) | instid1(VALU_DEP_1)
	v_add_f64_e32 v[2:3], v[12:13], v[2:3]
	v_lshl_add_u64 v[8:9], s[10:11], 4, v[10:11]
	v_add_nc_u64_e32 v[4:5], v[8:9], v[4:5]
	v_mul_f64_e32 v[8:9], s[6:7], v[68:69]
	global_store_b128 v[4:5], v[0:3], off
	global_load_b128 v[0:3], v[6:7], off offset:256
	s_wait_xcnt 0x0
	v_mul_f64_e32 v[6:7], s[8:9], v[68:69]
	v_fmac_f64_e32 v[8:9], s[8:9], v[66:67]
	s_delay_alu instid0(VALU_DEP_2) | instskip(SKIP_3) | instid1(VALU_DEP_2)
	v_fma_f64 v[6:7], s[6:7], v[66:67], -v[6:7]
	s_wait_loadcnt 0x0
	v_mul_f64_e32 v[10:11], s[40:41], v[2:3]
	v_mul_f64_e32 v[2:3], s[38:39], v[2:3]
	v_fma_f64 v[10:11], s[38:39], v[0:1], -v[10:11]
	s_delay_alu instid0(VALU_DEP_2) | instskip(NEXT) | instid1(VALU_DEP_2)
	v_fmac_f64_e32 v[2:3], s[40:41], v[0:1]
	v_add_f64_e32 v[6:7], v[6:7], v[10:11]
	s_delay_alu instid0(VALU_DEP_2)
	v_add_f64_e32 v[0:1], v[8:9], v[2:3]
	v_add_nc_u64_e32 v[2:3], 0x100, v[4:5]
	global_store_b64 v[4:5], v[6:7], off offset:256
	s_branch .LBB544_2
.LBB544_11:
	s_sendmsg sendmsg(MSG_DEALLOC_VGPRS)
	s_endpgm
	.section	.rodata,"a",@progbits
	.p2align	6, 0x0
	.amdhsa_kernel _ZN12_GLOBAL__N_127rocblas_gemm_batched_kernelI19rocblas_complex_numIdELi16ELi16ELi32ELi32ELi8ELi32ELi8ELi8ELi32ELc67ELc84EKS2_S3_S2_EEvlllT_PT11_llS6_llS4_PT12_llPT13_lli
		.amdhsa_group_segment_fixed_size 8192
		.amdhsa_private_segment_fixed_size 0
		.amdhsa_kernarg_size 156
		.amdhsa_user_sgpr_count 2
		.amdhsa_user_sgpr_dispatch_ptr 0
		.amdhsa_user_sgpr_queue_ptr 0
		.amdhsa_user_sgpr_kernarg_segment_ptr 1
		.amdhsa_user_sgpr_dispatch_id 0
		.amdhsa_user_sgpr_kernarg_preload_length 0
		.amdhsa_user_sgpr_kernarg_preload_offset 0
		.amdhsa_user_sgpr_private_segment_size 0
		.amdhsa_wavefront_size32 1
		.amdhsa_uses_dynamic_stack 0
		.amdhsa_enable_private_segment 0
		.amdhsa_system_sgpr_workgroup_id_x 1
		.amdhsa_system_sgpr_workgroup_id_y 1
		.amdhsa_system_sgpr_workgroup_id_z 1
		.amdhsa_system_sgpr_workgroup_info 0
		.amdhsa_system_vgpr_workitem_id 1
		.amdhsa_next_free_vgpr 166
		.amdhsa_next_free_sgpr 52
		.amdhsa_named_barrier_count 0
		.amdhsa_reserve_vcc 1
		.amdhsa_float_round_mode_32 0
		.amdhsa_float_round_mode_16_64 0
		.amdhsa_float_denorm_mode_32 3
		.amdhsa_float_denorm_mode_16_64 3
		.amdhsa_fp16_overflow 0
		.amdhsa_memory_ordered 1
		.amdhsa_forward_progress 1
		.amdhsa_inst_pref_size 21
		.amdhsa_round_robin_scheduling 0
		.amdhsa_exception_fp_ieee_invalid_op 0
		.amdhsa_exception_fp_denorm_src 0
		.amdhsa_exception_fp_ieee_div_zero 0
		.amdhsa_exception_fp_ieee_overflow 0
		.amdhsa_exception_fp_ieee_underflow 0
		.amdhsa_exception_fp_ieee_inexact 0
		.amdhsa_exception_int_div_zero 0
	.end_amdhsa_kernel
	.section	.text._ZN12_GLOBAL__N_127rocblas_gemm_batched_kernelI19rocblas_complex_numIdELi16ELi16ELi32ELi32ELi8ELi32ELi8ELi8ELi32ELc67ELc84EKS2_S3_S2_EEvlllT_PT11_llS6_llS4_PT12_llPT13_lli,"axG",@progbits,_ZN12_GLOBAL__N_127rocblas_gemm_batched_kernelI19rocblas_complex_numIdELi16ELi16ELi32ELi32ELi8ELi32ELi8ELi8ELi32ELc67ELc84EKS2_S3_S2_EEvlllT_PT11_llS6_llS4_PT12_llPT13_lli,comdat
.Lfunc_end544:
	.size	_ZN12_GLOBAL__N_127rocblas_gemm_batched_kernelI19rocblas_complex_numIdELi16ELi16ELi32ELi32ELi8ELi32ELi8ELi8ELi32ELc67ELc84EKS2_S3_S2_EEvlllT_PT11_llS6_llS4_PT12_llPT13_lli, .Lfunc_end544-_ZN12_GLOBAL__N_127rocblas_gemm_batched_kernelI19rocblas_complex_numIdELi16ELi16ELi32ELi32ELi8ELi32ELi8ELi8ELi32ELc67ELc84EKS2_S3_S2_EEvlllT_PT11_llS6_llS4_PT12_llPT13_lli
                                        ; -- End function
	.set _ZN12_GLOBAL__N_127rocblas_gemm_batched_kernelI19rocblas_complex_numIdELi16ELi16ELi32ELi32ELi8ELi32ELi8ELi8ELi32ELc67ELc84EKS2_S3_S2_EEvlllT_PT11_llS6_llS4_PT12_llPT13_lli.num_vgpr, 166
	.set _ZN12_GLOBAL__N_127rocblas_gemm_batched_kernelI19rocblas_complex_numIdELi16ELi16ELi32ELi32ELi8ELi32ELi8ELi8ELi32ELc67ELc84EKS2_S3_S2_EEvlllT_PT11_llS6_llS4_PT12_llPT13_lli.num_agpr, 0
	.set _ZN12_GLOBAL__N_127rocblas_gemm_batched_kernelI19rocblas_complex_numIdELi16ELi16ELi32ELi32ELi8ELi32ELi8ELi8ELi32ELc67ELc84EKS2_S3_S2_EEvlllT_PT11_llS6_llS4_PT12_llPT13_lli.numbered_sgpr, 52
	.set _ZN12_GLOBAL__N_127rocblas_gemm_batched_kernelI19rocblas_complex_numIdELi16ELi16ELi32ELi32ELi8ELi32ELi8ELi8ELi32ELc67ELc84EKS2_S3_S2_EEvlllT_PT11_llS6_llS4_PT12_llPT13_lli.num_named_barrier, 0
	.set _ZN12_GLOBAL__N_127rocblas_gemm_batched_kernelI19rocblas_complex_numIdELi16ELi16ELi32ELi32ELi8ELi32ELi8ELi8ELi32ELc67ELc84EKS2_S3_S2_EEvlllT_PT11_llS6_llS4_PT12_llPT13_lli.private_seg_size, 0
	.set _ZN12_GLOBAL__N_127rocblas_gemm_batched_kernelI19rocblas_complex_numIdELi16ELi16ELi32ELi32ELi8ELi32ELi8ELi8ELi32ELc67ELc84EKS2_S3_S2_EEvlllT_PT11_llS6_llS4_PT12_llPT13_lli.uses_vcc, 1
	.set _ZN12_GLOBAL__N_127rocblas_gemm_batched_kernelI19rocblas_complex_numIdELi16ELi16ELi32ELi32ELi8ELi32ELi8ELi8ELi32ELc67ELc84EKS2_S3_S2_EEvlllT_PT11_llS6_llS4_PT12_llPT13_lli.uses_flat_scratch, 0
	.set _ZN12_GLOBAL__N_127rocblas_gemm_batched_kernelI19rocblas_complex_numIdELi16ELi16ELi32ELi32ELi8ELi32ELi8ELi8ELi32ELc67ELc84EKS2_S3_S2_EEvlllT_PT11_llS6_llS4_PT12_llPT13_lli.has_dyn_sized_stack, 0
	.set _ZN12_GLOBAL__N_127rocblas_gemm_batched_kernelI19rocblas_complex_numIdELi16ELi16ELi32ELi32ELi8ELi32ELi8ELi8ELi32ELc67ELc84EKS2_S3_S2_EEvlllT_PT11_llS6_llS4_PT12_llPT13_lli.has_recursion, 0
	.set _ZN12_GLOBAL__N_127rocblas_gemm_batched_kernelI19rocblas_complex_numIdELi16ELi16ELi32ELi32ELi8ELi32ELi8ELi8ELi32ELc67ELc84EKS2_S3_S2_EEvlllT_PT11_llS6_llS4_PT12_llPT13_lli.has_indirect_call, 0
	.section	.AMDGPU.csdata,"",@progbits
; Kernel info:
; codeLenInByte = 2600
; TotalNumSgprs: 54
; NumVgprs: 166
; ScratchSize: 0
; MemoryBound: 0
; FloatMode: 240
; IeeeMode: 1
; LDSByteSize: 8192 bytes/workgroup (compile time only)
; SGPRBlocks: 0
; VGPRBlocks: 10
; NumSGPRsForWavesPerEU: 54
; NumVGPRsForWavesPerEU: 166
; NamedBarCnt: 0
; Occupancy: 5
; WaveLimiterHint : 1
; COMPUTE_PGM_RSRC2:SCRATCH_EN: 0
; COMPUTE_PGM_RSRC2:USER_SGPR: 2
; COMPUTE_PGM_RSRC2:TRAP_HANDLER: 0
; COMPUTE_PGM_RSRC2:TGID_X_EN: 1
; COMPUTE_PGM_RSRC2:TGID_Y_EN: 1
; COMPUTE_PGM_RSRC2:TGID_Z_EN: 1
; COMPUTE_PGM_RSRC2:TIDIG_COMP_CNT: 1
	.section	.text._ZN12_GLOBAL__N_127rocblas_gemm_batched_kernelI19rocblas_complex_numIdELi16ELi16ELi32ELi32ELi8ELi32ELi8ELi8ELi32ELc78ELc67EKS2_S3_S2_EEvlllT_PT11_llS6_llS4_PT12_llPT13_lli,"axG",@progbits,_ZN12_GLOBAL__N_127rocblas_gemm_batched_kernelI19rocblas_complex_numIdELi16ELi16ELi32ELi32ELi8ELi32ELi8ELi8ELi32ELc78ELc67EKS2_S3_S2_EEvlllT_PT11_llS6_llS4_PT12_llPT13_lli,comdat
	.globl	_ZN12_GLOBAL__N_127rocblas_gemm_batched_kernelI19rocblas_complex_numIdELi16ELi16ELi32ELi32ELi8ELi32ELi8ELi8ELi32ELc78ELc67EKS2_S3_S2_EEvlllT_PT11_llS6_llS4_PT12_llPT13_lli ; -- Begin function _ZN12_GLOBAL__N_127rocblas_gemm_batched_kernelI19rocblas_complex_numIdELi16ELi16ELi32ELi32ELi8ELi32ELi8ELi8ELi32ELc78ELc67EKS2_S3_S2_EEvlllT_PT11_llS6_llS4_PT12_llPT13_lli
	.p2align	8
	.type	_ZN12_GLOBAL__N_127rocblas_gemm_batched_kernelI19rocblas_complex_numIdELi16ELi16ELi32ELi32ELi8ELi32ELi8ELi8ELi32ELc78ELc67EKS2_S3_S2_EEvlllT_PT11_llS6_llS4_PT12_llPT13_lli,@function
_ZN12_GLOBAL__N_127rocblas_gemm_batched_kernelI19rocblas_complex_numIdELi16ELi16ELi32ELi32ELi8ELi32ELi8ELi8ELi32ELc78ELc67EKS2_S3_S2_EEvlllT_PT11_llS6_llS4_PT12_llPT13_lli: ; @_ZN12_GLOBAL__N_127rocblas_gemm_batched_kernelI19rocblas_complex_numIdELi16ELi16ELi32ELi32ELi8ELi32ELi8ELi8ELi32ELc78ELc67EKS2_S3_S2_EEvlllT_PT11_llS6_llS4_PT12_llPT13_lli
; %bb.0:
	s_load_b32 s26, s[0:1], 0x98
	s_bfe_u32 s2, ttmp6, 0x40014
	s_lshr_b32 s3, ttmp7, 16
	s_add_co_i32 s2, s2, 1
	s_bfe_u32 s4, ttmp6, 0x40008
	s_mul_i32 s2, s3, s2
	s_getreg_b32 s20, hwreg(HW_REG_IB_STS2, 6, 4)
	s_add_co_i32 s4, s4, s2
	s_cmp_eq_u32 s20, 0
	s_cselect_b32 s2, s3, s4
	s_mov_b32 s3, 0
	s_wait_kmcnt 0x0
	s_cmp_ge_i32 s2, s26
	s_cbranch_scc1 .LBB545_11
; %bb.1:
	s_clause 0x1
	s_load_b512 s[4:19], s[0:1], 0x10
	s_load_b512 s[36:51], s[0:1], 0x50
	s_bfe_u32 s21, ttmp6, 0x4000c
	s_bfe_u32 s23, ttmp6, 0x40010
	v_bfe_u32 v2, v0, 10, 10
	v_and_b32_e32 v4, 0x3ff, v0
	s_add_co_i32 s21, s21, 1
	s_and_b32 s24, ttmp7, 0xffff
	s_add_co_i32 s23, s23, 1
	s_and_b32 s22, ttmp6, 15
	s_mul_i32 s21, ttmp9, s21
	s_mul_i32 s23, s24, s23
	s_bfe_u32 s25, ttmp6, 0x40004
	v_lshl_add_u32 v5, v2, 4, v4
	v_mov_b32_e32 v3, 0
	s_add_co_i32 s22, s22, s21
	s_add_co_i32 s25, s25, s23
	s_cmp_eq_u32 s20, 0
	v_lshrrev_b32_e32 v6, 3, v5
	s_cselect_b32 s21, s24, s25
	s_cselect_b32 s20, ttmp9, s22
	s_lshl_b32 s22, s21, 5
	s_mov_b32 s23, s3
	v_dual_mov_b32 v7, v3 :: v_dual_lshrrev_b32 v14, 5, v5
	v_add_nc_u64_e32 v[8:9], s[22:23], v[2:3]
	s_ashr_i32 s21, s20, 31
	s_wait_kmcnt 0x0
	v_cmp_eq_f64_e64 s24, s[38:39], 0
	v_add_nc_u64_e32 v[10:11], s[22:23], v[6:7]
	v_and_b32_e32 v7, 7, v0
	s_lshl_b64 s[22:23], s[20:21], 5
	v_cmp_eq_f64_e64 s25, s[40:41], 0
	v_mul_u64_e32 v[12:13], s[44:45], v[8:9]
	v_mad_nc_u64_u32 v[0:1], s12, v14, s[22:23]
	v_mul_u64_e32 v[56:57], s[50:51], v[8:9]
	v_dual_mov_b32 v5, v3 :: v_dual_bitop2_b32 v8, 31, v5 bitop3:0x40
	v_mad_nc_u64_u32 v[10:11], s18, v7, v[10:11]
	s_load_b64 s[20:21], s[0:1], 0x90
	v_dual_lshlrev_b32 v15, 4, v7 :: v_dual_mov_b32 v9, v3
	s_delay_alu instid0(VALU_DEP_3)
	v_lshlrev_b32_e32 v3, 4, v8
	s_wait_xcnt 0x0
	v_cmp_gt_i64_e64 s0, s[4:5], 0
	v_lshl_add_u32 v87, v2, 7, 0x1000
	v_mad_u32 v1, s13, v14, v1
	v_lshl_or_b32 v6, v6, 7, v15
	v_lshl_or_b32 v88, v14, 9, v3
	v_lshlrev_b32_e32 v86, 4, v4
	v_mad_u32 v11, s19, v7, v11
	v_add_nc_u64_e32 v[58:59], s[22:23], v[4:5]
	v_cndmask_b32_e64 v4, 0, 1, s0
	v_add_nc_u32_e32 v89, 0x1000, v6
	s_lshl_b64 s[22:23], s[50:51], 4
	s_lshl_b64 s[12:13], s[12:13], 7
	v_add_nc_u64_e32 v[0:1], v[0:1], v[8:9]
	v_cmp_ne_u32_e64 s0, 1, v4
	v_lshl_add_u64 v[2:3], v[10:11], 4, s[16:17]
	s_lshl_b64 s[16:17], s[18:19], 7
	v_lshl_add_u64 v[62:63], v[0:1], 4, s[10:11]
	s_and_b32 s1, s24, s25
	s_delay_alu instid0(VALU_DEP_2)
	v_add_nc_u64_e32 v[64:65], 8, v[2:3]
	v_lshl_add_u64 v[60:61], v[12:13], 4, s[42:43]
	s_lshl_b64 s[24:25], s[44:45], 4
	s_lshl_b64 s[10:11], s[14:15], 4
	;; [unrolled: 1-line block ×3, first 2 shown]
	s_branch .LBB545_3
.LBB545_2:                              ;   in Loop: Header=BB545_3 Depth=1
	s_add_co_i32 s2, s2, 0x10000
	global_store_b64 v[2:3], v[0:1], off offset:8
	s_cmp_lt_i32 s2, s26
	s_cbranch_scc0 .LBB545_11
.LBB545_3:                              ; =>This Loop Header: Depth=1
                                        ;     Child Loop BB545_5 Depth 2
	s_and_b32 vcc_lo, exec_lo, s0
	s_cbranch_vccnz .LBB545_6
; %bb.4:                                ;   in Loop: Header=BB545_3 Depth=1
	v_mad_nc_u64_u32 v[78:79], s10, s2, v[62:63]
	v_mad_nc_u64_u32 v[80:81], s14, s2, v[64:65]
	v_mov_b64_e32 v[68:69], 0
	v_mov_b64_e32 v[66:67], 0
	;; [unrolled: 1-line block ×8, first 2 shown]
	s_mov_b64 s[18:19], 0
	v_mad_u32 v79, s11, s2, v79
	v_mad_u32 v81, s15, s2, v81
.LBB545_5:                              ;   Parent Loop BB545_3 Depth=1
                                        ; =>  This Inner Loop Header: Depth=2
	global_load_b128 v[0:3], v[80:81], off offset:-8
	global_load_b128 v[4:7], v[78:79], off
	s_add_nc_u64 s[18:19], s[18:19], 8
	s_wait_xcnt 0x0
	v_add_nc_u64_e32 v[78:79], s[12:13], v[78:79]
	v_cmp_lt_i64_e64 s27, s[18:19], s[4:5]
	v_add_nc_u64_e32 v[80:81], s[16:17], v[80:81]
	s_and_b32 vcc_lo, exec_lo, s27
	s_wait_loadcnt 0x1
	v_xor_b32_e32 v3, 0x80000000, v3
	s_wait_loadcnt 0x0
	ds_store_2addr_b64 v88, v[4:5], v[6:7] offset1:1
	ds_store_b128 v89, v[0:3]
	s_wait_dscnt 0x0
	s_barrier_signal -1
	s_barrier_wait -1
	ds_load_b128 v[0:3], v86
	ds_load_b128 v[8:11], v86 offset:256
	ds_load_b128 v[12:15], v87
	ds_load_b128 v[4:7], v87 offset:16
	ds_load_b128 v[16:19], v87 offset:2048
	;; [unrolled: 1-line block ×28, first 2 shown]
	s_wait_dscnt 0x1c
	v_mul_f64_e32 v[160:161], v[12:13], v[2:3]
	v_mul_f64_e32 v[164:165], v[12:13], v[10:11]
	;; [unrolled: 1-line block ×4, first 2 shown]
	s_delay_alu instid0(VALU_DEP_4) | instskip(NEXT) | instid1(VALU_DEP_4)
	v_fmac_f64_e32 v[160:161], v[14:15], v[0:1]
	v_fmac_f64_e32 v[164:165], v[14:15], v[8:9]
	s_wait_dscnt 0x1a
	v_mul_f64_e32 v[14:15], v[18:19], v[2:3]
	v_mul_f64_e32 v[2:3], v[16:17], v[2:3]
	v_fma_f64 v[158:159], v[12:13], v[0:1], -v[158:159]
	v_fma_f64 v[12:13], v[12:13], v[8:9], -v[162:163]
	s_wait_dscnt 0x17
	v_mul_f64_e32 v[162:163], v[4:5], v[34:35]
	v_add_f64_e32 v[84:85], v[160:161], v[84:85]
	v_add_f64_e32 v[76:77], v[164:165], v[76:77]
	v_fma_f64 v[14:15], v[16:17], v[0:1], -v[14:15]
	v_fmac_f64_e32 v[2:3], v[18:19], v[0:1]
	v_mul_f64_e32 v[0:1], v[18:19], v[10:11]
	v_mul_f64_e32 v[10:11], v[16:17], v[10:11]
	v_fmac_f64_e32 v[162:163], v[6:7], v[32:33]
	v_add_f64_e32 v[12:13], v[74:75], v[12:13]
	s_wait_dscnt 0x10
	v_mul_f64_e32 v[74:75], v[22:23], v[92:93]
	v_add_f64_e32 v[14:15], v[70:71], v[14:15]
	v_add_f64_e32 v[2:3], v[2:3], v[72:73]
	v_fma_f64 v[0:1], v[16:17], v[8:9], -v[0:1]
	v_fmac_f64_e32 v[10:11], v[18:19], v[8:9]
	v_mul_f64_e32 v[8:9], v[6:7], v[30:31]
	v_mul_f64_e32 v[16:17], v[4:5], v[30:31]
	;; [unrolled: 1-line block ×3, first 2 shown]
	s_wait_dscnt 0xf
	v_mul_f64_e32 v[70:71], v[22:23], v[96:97]
	v_mul_f64_e32 v[72:73], v[20:21], v[96:97]
	v_fma_f64 v[74:75], v[20:21], v[90:91], -v[74:75]
	v_add_f64_e32 v[0:1], v[66:67], v[0:1]
	v_add_f64_e32 v[10:11], v[10:11], v[68:69]
	v_fma_f64 v[8:9], v[4:5], v[28:29], -v[8:9]
	v_fmac_f64_e32 v[16:17], v[6:7], v[28:29]
	v_fma_f64 v[4:5], v[4:5], v[32:33], -v[18:19]
	v_mul_f64_e32 v[6:7], v[26:27], v[30:31]
	v_mul_f64_e32 v[18:19], v[24:25], v[30:31]
	v_mul_f64_e32 v[30:31], v[24:25], v[34:35]
	v_mul_f64_e32 v[66:67], v[54:55], v[92:93]
	v_mul_f64_e32 v[68:69], v[52:53], v[92:93]
	v_fmac_f64_e32 v[72:73], v[22:23], v[94:95]
	v_add_f64_e32 v[16:17], v[16:17], v[84:85]
	v_add_f64_e32 v[4:5], v[12:13], v[4:5]
	v_fma_f64 v[6:7], v[24:25], v[28:29], -v[6:7]
	v_fmac_f64_e32 v[18:19], v[26:27], v[28:29]
	v_mul_f64_e32 v[28:29], v[26:27], v[34:35]
	v_fmac_f64_e32 v[30:31], v[26:27], v[32:33]
	v_mul_f64_e32 v[26:27], v[46:47], v[38:39]
	v_mul_f64_e32 v[34:35], v[44:45], v[42:43]
	v_add_f64_e32 v[12:13], v[162:163], v[76:77]
	s_wait_dscnt 0xa
	v_mul_f64_e32 v[84:85], v[114:115], v[100:101]
	v_fmac_f64_e32 v[68:69], v[54:55], v[90:91]
	s_wait_dscnt 0x7
	v_mul_f64_e32 v[76:77], v[112:113], v[128:129]
	v_add_f64_e32 v[6:7], v[14:15], v[6:7]
	v_add_f64_e32 v[2:3], v[18:19], v[2:3]
	v_fma_f64 v[24:25], v[24:25], v[32:33], -v[28:29]
	v_mul_f64_e32 v[28:29], v[44:45], v[38:39]
	v_mul_f64_e32 v[32:33], v[46:47], v[42:43]
	v_fma_f64 v[26:27], v[44:45], v[36:37], -v[26:27]
	v_fmac_f64_e32 v[34:35], v[46:47], v[40:41]
	v_add_f64_e32 v[10:11], v[30:31], v[10:11]
	v_mul_f64_e32 v[14:15], v[116:117], v[104:105]
	v_mul_f64_e32 v[18:19], v[114:115], v[104:105]
	;; [unrolled: 1-line block ×3, first 2 shown]
	v_fmac_f64_e32 v[84:85], v[116:117], v[98:99]
	v_add_f64_e32 v[0:1], v[0:1], v[24:25]
	v_fmac_f64_e32 v[28:29], v[46:47], v[36:37]
	v_fma_f64 v[32:33], v[44:45], v[40:41], -v[32:33]
	v_mul_f64_e32 v[44:45], v[50:51], v[38:39]
	v_mul_f64_e32 v[38:39], v[48:49], v[38:39]
	v_add_f64_e32 v[46:47], v[82:83], v[158:159]
	v_mul_f64_e32 v[82:83], v[50:51], v[42:43]
	v_mul_f64_e32 v[42:43], v[48:49], v[42:43]
	;; [unrolled: 1-line block ×4, first 2 shown]
	v_fma_f64 v[20:21], v[20:21], v[94:95], -v[70:71]
	v_add_f64_e32 v[12:13], v[34:35], v[12:13]
	v_mul_f64_e32 v[24:25], v[112:113], v[124:125]
	v_mul_f64_e32 v[34:35], v[118:119], v[128:129]
	v_fma_f64 v[14:15], v[114:115], v[102:103], -v[14:15]
	v_fmac_f64_e32 v[18:19], v[116:117], v[102:103]
	v_fmac_f64_e32 v[30:31], v[112:113], v[122:123]
	v_add_f64_e32 v[16:17], v[28:29], v[16:17]
	v_add_f64_e32 v[4:5], v[4:5], v[32:33]
	v_fma_f64 v[44:45], v[48:49], v[36:37], -v[44:45]
	v_fmac_f64_e32 v[38:39], v[50:51], v[36:37]
	v_mul_f64_e32 v[36:37], v[54:55], v[96:97]
	v_fma_f64 v[48:49], v[48:49], v[40:41], -v[82:83]
	v_fmac_f64_e32 v[42:43], v[50:51], v[40:41]
	v_add_f64_e32 v[8:9], v[46:47], v[8:9]
	v_mul_f64_e32 v[40:41], v[108:109], v[100:101]
	v_mul_f64_e32 v[50:51], v[106:107], v[100:101]
	;; [unrolled: 1-line block ×5, first 2 shown]
	v_fmac_f64_e32 v[158:159], v[22:23], v[90:91]
	v_fma_f64 v[22:23], v[52:53], v[90:91], -v[66:67]
	v_fmac_f64_e32 v[92:93], v[54:55], v[94:95]
	v_mul_f64_e32 v[100:101], v[110:111], v[128:129]
	v_mul_f64_e32 v[28:29], v[118:119], v[124:125]
	v_mul_f64_e32 v[32:33], v[120:121], v[128:129]
	v_add_f64_e32 v[12:13], v[72:73], v[12:13]
	s_wait_dscnt 0x1
	v_mul_f64_e32 v[54:55], v[150:151], v[136:137]
	v_fma_f64 v[24:25], v[110:111], v[122:123], -v[24:25]
	v_fma_f64 v[66:67], v[110:111], v[126:127], -v[76:77]
	v_fmac_f64_e32 v[34:35], v[120:121], v[126:127]
	s_wait_dscnt 0x0
	v_mul_f64_e32 v[72:73], v[154:155], v[148:149]
	v_add_f64_e32 v[4:5], v[4:5], v[20:21]
	v_add_f64_e32 v[6:7], v[6:7], v[44:45]
	;; [unrolled: 1-line block ×3, first 2 shown]
	v_fma_f64 v[36:37], v[52:53], v[94:95], -v[36:37]
	v_add_f64_e32 v[0:1], v[0:1], v[48:49]
	v_add_f64_e32 v[10:11], v[42:43], v[10:11]
	;; [unrolled: 1-line block ×3, first 2 shown]
	v_mul_f64_e32 v[26:27], v[120:121], v[124:125]
	v_fma_f64 v[40:41], v[106:107], v[98:99], -v[40:41]
	v_fmac_f64_e32 v[50:51], v[108:109], v[98:99]
	v_fma_f64 v[44:45], v[106:107], v[102:103], -v[82:83]
	v_fmac_f64_e32 v[96:97], v[108:109], v[102:103]
	v_fma_f64 v[46:47], v[114:115], v[98:99], -v[46:47]
	v_add_f64_e32 v[16:17], v[158:159], v[16:17]
	v_mul_f64_e32 v[38:39], v[140:141], v[132:133]
	v_mul_f64_e32 v[42:43], v[138:139], v[132:133]
	;; [unrolled: 1-line block ×5, first 2 shown]
	v_fmac_f64_e32 v[100:101], v[112:113], v[126:127]
	v_fmac_f64_e32 v[28:29], v[120:121], v[122:123]
	v_fma_f64 v[32:33], v[118:119], v[126:127], -v[32:33]
	v_fmac_f64_e32 v[54:55], v[152:153], v[134:135]
	v_fmac_f64_e32 v[72:73], v[156:157], v[146:147]
	v_add_f64_e32 v[6:7], v[6:7], v[22:23]
	v_add_f64_e32 v[2:3], v[68:69], v[2:3]
	v_mul_f64_e32 v[22:23], v[138:139], v[136:137]
	v_add_f64_e32 v[0:1], v[0:1], v[36:37]
	v_add_f64_e32 v[10:11], v[92:93], v[10:11]
	;; [unrolled: 1-line block ×3, first 2 shown]
	v_mul_f64_e32 v[36:37], v[152:153], v[132:133]
	v_fma_f64 v[26:27], v[118:119], v[122:123], -v[26:27]
	v_mul_f64_e32 v[68:69], v[156:157], v[148:149]
	v_add_f64_e32 v[4:5], v[4:5], v[44:45]
	v_add_f64_e32 v[12:13], v[96:97], v[12:13]
	v_mul_f64_e32 v[44:45], v[142:143], v[148:149]
	v_add_f64_e32 v[16:17], v[50:51], v[16:17]
	v_fma_f64 v[38:39], v[138:139], v[130:131], -v[38:39]
	v_fmac_f64_e32 v[42:43], v[140:141], v[130:131]
	v_fma_f64 v[20:21], v[138:139], v[134:135], -v[20:21]
	v_fmac_f64_e32 v[48:49], v[152:153], v[130:131]
	v_fma_f64 v[52:53], v[150:151], v[134:135], -v[52:53]
	v_add_f64_e32 v[6:7], v[6:7], v[46:47]
	v_fmac_f64_e32 v[22:23], v[140:141], v[134:135]
	v_add_f64_e32 v[14:15], v[0:1], v[14:15]
	v_add_f64_e32 v[10:11], v[18:19], v[10:11]
	;; [unrolled: 1-line block ×4, first 2 shown]
	ds_load_b128 v[0:3], v86 offset:3840
	v_mul_f64_e32 v[18:19], v[144:145], v[148:149]
	v_fma_f64 v[36:37], v[150:151], v[130:131], -v[36:37]
	v_add_f64_e32 v[4:5], v[4:5], v[66:67]
	v_add_f64_e32 v[12:13], v[100:101], v[12:13]
	;; [unrolled: 1-line block ×3, first 2 shown]
	v_fmac_f64_e32 v[44:45], v[144:145], v[146:147]
	s_wait_dscnt 0x0
	s_barrier_signal -1
	s_barrier_wait -1
	v_mul_f64_e32 v[46:47], v[144:145], v[2:3]
	v_mul_f64_e32 v[50:51], v[142:143], v[2:3]
	;; [unrolled: 1-line block ×4, first 2 shown]
	v_add_f64_e32 v[6:7], v[6:7], v[26:27]
	v_add_f64_e32 v[14:15], v[14:15], v[32:33]
	;; [unrolled: 1-line block ×5, first 2 shown]
	v_fma_f64 v[28:29], v[154:155], v[146:147], -v[68:69]
	v_fma_f64 v[18:19], v[142:143], v[146:147], -v[18:19]
	v_add_f64_e32 v[4:5], v[4:5], v[20:21]
	v_add_f64_e32 v[12:13], v[22:23], v[12:13]
	v_fma_f64 v[26:27], v[142:143], v[0:1], -v[46:47]
	v_fmac_f64_e32 v[50:51], v[144:145], v[0:1]
	v_fma_f64 v[30:31], v[154:155], v[0:1], -v[70:71]
	v_fmac_f64_e32 v[2:3], v[156:157], v[0:1]
	v_add_f64_e32 v[6:7], v[6:7], v[36:37]
	v_add_f64_e32 v[14:15], v[14:15], v[52:53]
	;; [unrolled: 1-line block ×14, first 2 shown]
	s_cbranch_vccnz .LBB545_5
	s_branch .LBB545_7
.LBB545_6:                              ;   in Loop: Header=BB545_3 Depth=1
	v_mov_b64_e32 v[82:83], 0
	v_mov_b64_e32 v[84:85], 0
	;; [unrolled: 1-line block ×8, first 2 shown]
.LBB545_7:                              ;   in Loop: Header=BB545_3 Depth=1
	s_wait_kmcnt 0x0
	s_mul_u64 s[18:19], s[20:21], s[2:3]
	s_and_not1_b32 vcc_lo, exec_lo, s1
	s_lshl_b64 s[18:19], s[18:19], 4
	s_mov_b32 s27, -1
	s_add_nc_u64 s[18:19], s[48:49], s[18:19]
                                        ; implicit-def: $vgpr0_vgpr1
                                        ; implicit-def: $vgpr2_vgpr3
	s_cbranch_vccz .LBB545_9
; %bb.8:                                ;   in Loop: Header=BB545_3 Depth=1
	s_and_not1_b32 vcc_lo, exec_lo, s27
	s_cbranch_vccnz .LBB545_2
	s_branch .LBB545_10
.LBB545_9:                              ;   in Loop: Header=BB545_3 Depth=1
	s_wait_xcnt 0x0
	s_delay_alu instid0(VALU_DEP_2) | instskip(SKIP_1) | instid1(VALU_DEP_3)
	v_mul_f64_e32 v[2:3], s[8:9], v[84:85]
	v_mul_f64_e32 v[6:7], s[6:7], v[84:85]
	;; [unrolled: 1-line block ×8, first 2 shown]
	v_lshlrev_b64_e32 v[18:19], 4, v[58:59]
	v_fma_f64 v[4:5], s[6:7], v[82:83], -v[2:3]
	v_fmac_f64_e32 v[6:7], s[8:9], v[82:83]
	v_fmac_f64_e32 v[0:1], s[8:9], v[66:67]
	v_fma_f64 v[8:9], s[6:7], v[74:75], -v[8:9]
	v_fmac_f64_e32 v[10:11], s[8:9], v[74:75]
	v_fma_f64 v[12:13], s[6:7], v[70:71], -v[12:13]
	;; [unrolled: 2-line block ×3, first 2 shown]
	v_lshl_add_u64 v[2:3], v[56:57], 4, s[18:19]
	s_delay_alu instid0(VALU_DEP_1) | instskip(NEXT) | instid1(VALU_DEP_1)
	v_lshl_add_u64 v[20:21], s[22:23], 4, v[2:3]
	v_add_nc_u64_e32 v[20:21], v[20:21], v[18:19]
	v_add_nc_u64_e32 v[18:19], v[2:3], v[18:19]
	s_clause 0x3
	global_store_b128 v[18:19], v[4:7], off
	global_store_b128 v[18:19], v[8:11], off offset:256
	global_store_b128 v[20:21], v[12:15], off
	global_store_b64 v[20:21], v[16:17], off offset:256
	v_add_nc_u64_e32 v[2:3], 0x100, v[20:21]
	s_cbranch_execnz .LBB545_2
.LBB545_10:                             ;   in Loop: Header=BB545_3 Depth=1
	s_mul_u64 s[28:29], s[46:47], s[2:3]
	s_wait_xcnt 0x1
	v_lshlrev_b64_e32 v[4:5], 4, v[58:59]
	v_lshl_add_u64 v[6:7], s[28:29], 4, v[60:61]
	s_wait_xcnt 0x2
	s_delay_alu instid0(VALU_DEP_4) | instskip(SKIP_2) | instid1(VALU_DEP_4)
	v_mul_f64_e32 v[10:11], s[8:9], v[84:85]
	s_wait_xcnt 0x1
	v_mul_f64_e32 v[12:13], s[6:7], v[84:85]
	v_add_nc_u64_e32 v[8:9], v[6:7], v[4:5]
	v_lshl_add_u64 v[6:7], s[24:25], 4, v[6:7]
	s_delay_alu instid0(VALU_DEP_1)
	v_add_nc_u64_e32 v[6:7], v[6:7], v[4:5]
	global_load_b128 v[0:3], v[8:9], off
	v_fma_f64 v[10:11], s[6:7], v[82:83], -v[10:11]
	v_fmac_f64_e32 v[12:13], s[8:9], v[82:83]
	s_wait_loadcnt 0x0
	v_mul_f64_e32 v[14:15], s[40:41], v[2:3]
	v_mul_f64_e32 v[2:3], s[38:39], v[2:3]
	s_delay_alu instid0(VALU_DEP_2) | instskip(NEXT) | instid1(VALU_DEP_2)
	v_fma_f64 v[14:15], s[38:39], v[0:1], -v[14:15]
	v_fmac_f64_e32 v[2:3], s[40:41], v[0:1]
	s_delay_alu instid0(VALU_DEP_2) | instskip(NEXT) | instid1(VALU_DEP_2)
	v_add_f64_e32 v[0:1], v[10:11], v[14:15]
	v_add_f64_e32 v[2:3], v[12:13], v[2:3]
	v_lshl_add_u64 v[10:11], v[56:57], 4, s[18:19]
	v_mul_f64_e32 v[14:15], s[6:7], v[76:77]
	s_delay_alu instid0(VALU_DEP_2)
	v_add_nc_u64_e32 v[12:13], v[10:11], v[4:5]
	global_store_b128 v[12:13], v[0:3], off
	global_load_b128 v[0:3], v[8:9], off offset:256
	s_wait_xcnt 0x0
	v_mul_f64_e32 v[8:9], s[8:9], v[76:77]
	v_fmac_f64_e32 v[14:15], s[8:9], v[74:75]
	s_delay_alu instid0(VALU_DEP_2) | instskip(SKIP_3) | instid1(VALU_DEP_2)
	v_fma_f64 v[8:9], s[6:7], v[74:75], -v[8:9]
	s_wait_loadcnt 0x0
	v_mul_f64_e32 v[16:17], s[40:41], v[2:3]
	v_mul_f64_e32 v[2:3], s[38:39], v[2:3]
	v_fma_f64 v[16:17], s[38:39], v[0:1], -v[16:17]
	s_delay_alu instid0(VALU_DEP_2) | instskip(NEXT) | instid1(VALU_DEP_2)
	v_fmac_f64_e32 v[2:3], s[40:41], v[0:1]
	v_add_f64_e32 v[0:1], v[8:9], v[16:17]
	s_delay_alu instid0(VALU_DEP_2)
	v_add_f64_e32 v[2:3], v[14:15], v[2:3]
	v_mul_f64_e32 v[8:9], s[8:9], v[72:73]
	global_store_b128 v[12:13], v[0:3], off offset:256
	global_load_b128 v[0:3], v[6:7], off
	v_mul_f64_e32 v[12:13], s[6:7], v[72:73]
	v_fma_f64 v[8:9], s[6:7], v[70:71], -v[8:9]
	s_delay_alu instid0(VALU_DEP_2) | instskip(SKIP_3) | instid1(VALU_DEP_2)
	v_fmac_f64_e32 v[12:13], s[8:9], v[70:71]
	s_wait_loadcnt 0x0
	v_mul_f64_e32 v[14:15], s[40:41], v[2:3]
	v_mul_f64_e32 v[2:3], s[38:39], v[2:3]
	v_fma_f64 v[14:15], s[38:39], v[0:1], -v[14:15]
	s_delay_alu instid0(VALU_DEP_2) | instskip(NEXT) | instid1(VALU_DEP_2)
	v_fmac_f64_e32 v[2:3], s[40:41], v[0:1]
	v_add_f64_e32 v[0:1], v[8:9], v[14:15]
	s_delay_alu instid0(VALU_DEP_2) | instskip(SKIP_1) | instid1(VALU_DEP_1)
	v_add_f64_e32 v[2:3], v[12:13], v[2:3]
	v_lshl_add_u64 v[8:9], s[22:23], 4, v[10:11]
	v_add_nc_u64_e32 v[4:5], v[8:9], v[4:5]
	v_mul_f64_e32 v[8:9], s[6:7], v[68:69]
	global_store_b128 v[4:5], v[0:3], off
	global_load_b128 v[0:3], v[6:7], off offset:256
	s_wait_xcnt 0x0
	v_mul_f64_e32 v[6:7], s[8:9], v[68:69]
	v_fmac_f64_e32 v[8:9], s[8:9], v[66:67]
	s_delay_alu instid0(VALU_DEP_2) | instskip(SKIP_3) | instid1(VALU_DEP_2)
	v_fma_f64 v[6:7], s[6:7], v[66:67], -v[6:7]
	s_wait_loadcnt 0x0
	v_mul_f64_e32 v[10:11], s[40:41], v[2:3]
	v_mul_f64_e32 v[2:3], s[38:39], v[2:3]
	v_fma_f64 v[10:11], s[38:39], v[0:1], -v[10:11]
	s_delay_alu instid0(VALU_DEP_2) | instskip(NEXT) | instid1(VALU_DEP_2)
	v_fmac_f64_e32 v[2:3], s[40:41], v[0:1]
	v_add_f64_e32 v[6:7], v[6:7], v[10:11]
	s_delay_alu instid0(VALU_DEP_2)
	v_add_f64_e32 v[0:1], v[8:9], v[2:3]
	v_add_nc_u64_e32 v[2:3], 0x100, v[4:5]
	global_store_b64 v[4:5], v[6:7], off offset:256
	s_branch .LBB545_2
.LBB545_11:
	s_sendmsg sendmsg(MSG_DEALLOC_VGPRS)
	s_endpgm
	.section	.rodata,"a",@progbits
	.p2align	6, 0x0
	.amdhsa_kernel _ZN12_GLOBAL__N_127rocblas_gemm_batched_kernelI19rocblas_complex_numIdELi16ELi16ELi32ELi32ELi8ELi32ELi8ELi8ELi32ELc78ELc67EKS2_S3_S2_EEvlllT_PT11_llS6_llS4_PT12_llPT13_lli
		.amdhsa_group_segment_fixed_size 8192
		.amdhsa_private_segment_fixed_size 0
		.amdhsa_kernarg_size 156
		.amdhsa_user_sgpr_count 2
		.amdhsa_user_sgpr_dispatch_ptr 0
		.amdhsa_user_sgpr_queue_ptr 0
		.amdhsa_user_sgpr_kernarg_segment_ptr 1
		.amdhsa_user_sgpr_dispatch_id 0
		.amdhsa_user_sgpr_kernarg_preload_length 0
		.amdhsa_user_sgpr_kernarg_preload_offset 0
		.amdhsa_user_sgpr_private_segment_size 0
		.amdhsa_wavefront_size32 1
		.amdhsa_uses_dynamic_stack 0
		.amdhsa_enable_private_segment 0
		.amdhsa_system_sgpr_workgroup_id_x 1
		.amdhsa_system_sgpr_workgroup_id_y 1
		.amdhsa_system_sgpr_workgroup_id_z 1
		.amdhsa_system_sgpr_workgroup_info 0
		.amdhsa_system_vgpr_workitem_id 1
		.amdhsa_next_free_vgpr 166
		.amdhsa_next_free_sgpr 52
		.amdhsa_named_barrier_count 0
		.amdhsa_reserve_vcc 1
		.amdhsa_float_round_mode_32 0
		.amdhsa_float_round_mode_16_64 0
		.amdhsa_float_denorm_mode_32 3
		.amdhsa_float_denorm_mode_16_64 3
		.amdhsa_fp16_overflow 0
		.amdhsa_memory_ordered 1
		.amdhsa_forward_progress 1
		.amdhsa_inst_pref_size 21
		.amdhsa_round_robin_scheduling 0
		.amdhsa_exception_fp_ieee_invalid_op 0
		.amdhsa_exception_fp_denorm_src 0
		.amdhsa_exception_fp_ieee_div_zero 0
		.amdhsa_exception_fp_ieee_overflow 0
		.amdhsa_exception_fp_ieee_underflow 0
		.amdhsa_exception_fp_ieee_inexact 0
		.amdhsa_exception_int_div_zero 0
	.end_amdhsa_kernel
	.section	.text._ZN12_GLOBAL__N_127rocblas_gemm_batched_kernelI19rocblas_complex_numIdELi16ELi16ELi32ELi32ELi8ELi32ELi8ELi8ELi32ELc78ELc67EKS2_S3_S2_EEvlllT_PT11_llS6_llS4_PT12_llPT13_lli,"axG",@progbits,_ZN12_GLOBAL__N_127rocblas_gemm_batched_kernelI19rocblas_complex_numIdELi16ELi16ELi32ELi32ELi8ELi32ELi8ELi8ELi32ELc78ELc67EKS2_S3_S2_EEvlllT_PT11_llS6_llS4_PT12_llPT13_lli,comdat
.Lfunc_end545:
	.size	_ZN12_GLOBAL__N_127rocblas_gemm_batched_kernelI19rocblas_complex_numIdELi16ELi16ELi32ELi32ELi8ELi32ELi8ELi8ELi32ELc78ELc67EKS2_S3_S2_EEvlllT_PT11_llS6_llS4_PT12_llPT13_lli, .Lfunc_end545-_ZN12_GLOBAL__N_127rocblas_gemm_batched_kernelI19rocblas_complex_numIdELi16ELi16ELi32ELi32ELi8ELi32ELi8ELi8ELi32ELc78ELc67EKS2_S3_S2_EEvlllT_PT11_llS6_llS4_PT12_llPT13_lli
                                        ; -- End function
	.set _ZN12_GLOBAL__N_127rocblas_gemm_batched_kernelI19rocblas_complex_numIdELi16ELi16ELi32ELi32ELi8ELi32ELi8ELi8ELi32ELc78ELc67EKS2_S3_S2_EEvlllT_PT11_llS6_llS4_PT12_llPT13_lli.num_vgpr, 166
	.set _ZN12_GLOBAL__N_127rocblas_gemm_batched_kernelI19rocblas_complex_numIdELi16ELi16ELi32ELi32ELi8ELi32ELi8ELi8ELi32ELc78ELc67EKS2_S3_S2_EEvlllT_PT11_llS6_llS4_PT12_llPT13_lli.num_agpr, 0
	.set _ZN12_GLOBAL__N_127rocblas_gemm_batched_kernelI19rocblas_complex_numIdELi16ELi16ELi32ELi32ELi8ELi32ELi8ELi8ELi32ELc78ELc67EKS2_S3_S2_EEvlllT_PT11_llS6_llS4_PT12_llPT13_lli.numbered_sgpr, 52
	.set _ZN12_GLOBAL__N_127rocblas_gemm_batched_kernelI19rocblas_complex_numIdELi16ELi16ELi32ELi32ELi8ELi32ELi8ELi8ELi32ELc78ELc67EKS2_S3_S2_EEvlllT_PT11_llS6_llS4_PT12_llPT13_lli.num_named_barrier, 0
	.set _ZN12_GLOBAL__N_127rocblas_gemm_batched_kernelI19rocblas_complex_numIdELi16ELi16ELi32ELi32ELi8ELi32ELi8ELi8ELi32ELc78ELc67EKS2_S3_S2_EEvlllT_PT11_llS6_llS4_PT12_llPT13_lli.private_seg_size, 0
	.set _ZN12_GLOBAL__N_127rocblas_gemm_batched_kernelI19rocblas_complex_numIdELi16ELi16ELi32ELi32ELi8ELi32ELi8ELi8ELi32ELc78ELc67EKS2_S3_S2_EEvlllT_PT11_llS6_llS4_PT12_llPT13_lli.uses_vcc, 1
	.set _ZN12_GLOBAL__N_127rocblas_gemm_batched_kernelI19rocblas_complex_numIdELi16ELi16ELi32ELi32ELi8ELi32ELi8ELi8ELi32ELc78ELc67EKS2_S3_S2_EEvlllT_PT11_llS6_llS4_PT12_llPT13_lli.uses_flat_scratch, 0
	.set _ZN12_GLOBAL__N_127rocblas_gemm_batched_kernelI19rocblas_complex_numIdELi16ELi16ELi32ELi32ELi8ELi32ELi8ELi8ELi32ELc78ELc67EKS2_S3_S2_EEvlllT_PT11_llS6_llS4_PT12_llPT13_lli.has_dyn_sized_stack, 0
	.set _ZN12_GLOBAL__N_127rocblas_gemm_batched_kernelI19rocblas_complex_numIdELi16ELi16ELi32ELi32ELi8ELi32ELi8ELi8ELi32ELc78ELc67EKS2_S3_S2_EEvlllT_PT11_llS6_llS4_PT12_llPT13_lli.has_recursion, 0
	.set _ZN12_GLOBAL__N_127rocblas_gemm_batched_kernelI19rocblas_complex_numIdELi16ELi16ELi32ELi32ELi8ELi32ELi8ELi8ELi32ELc78ELc67EKS2_S3_S2_EEvlllT_PT11_llS6_llS4_PT12_llPT13_lli.has_indirect_call, 0
	.section	.AMDGPU.csdata,"",@progbits
; Kernel info:
; codeLenInByte = 2592
; TotalNumSgprs: 54
; NumVgprs: 166
; ScratchSize: 0
; MemoryBound: 0
; FloatMode: 240
; IeeeMode: 1
; LDSByteSize: 8192 bytes/workgroup (compile time only)
; SGPRBlocks: 0
; VGPRBlocks: 10
; NumSGPRsForWavesPerEU: 54
; NumVGPRsForWavesPerEU: 166
; NamedBarCnt: 0
; Occupancy: 5
; WaveLimiterHint : 1
; COMPUTE_PGM_RSRC2:SCRATCH_EN: 0
; COMPUTE_PGM_RSRC2:USER_SGPR: 2
; COMPUTE_PGM_RSRC2:TRAP_HANDLER: 0
; COMPUTE_PGM_RSRC2:TGID_X_EN: 1
; COMPUTE_PGM_RSRC2:TGID_Y_EN: 1
; COMPUTE_PGM_RSRC2:TGID_Z_EN: 1
; COMPUTE_PGM_RSRC2:TIDIG_COMP_CNT: 1
	.section	.text._ZN12_GLOBAL__N_127rocblas_gemm_batched_kernelI19rocblas_complex_numIdELi16ELi16ELi32ELi32ELi8ELi32ELi8ELi8ELi32ELc84ELc67EKS2_S3_S2_EEvlllT_PT11_llS6_llS4_PT12_llPT13_lli,"axG",@progbits,_ZN12_GLOBAL__N_127rocblas_gemm_batched_kernelI19rocblas_complex_numIdELi16ELi16ELi32ELi32ELi8ELi32ELi8ELi8ELi32ELc84ELc67EKS2_S3_S2_EEvlllT_PT11_llS6_llS4_PT12_llPT13_lli,comdat
	.globl	_ZN12_GLOBAL__N_127rocblas_gemm_batched_kernelI19rocblas_complex_numIdELi16ELi16ELi32ELi32ELi8ELi32ELi8ELi8ELi32ELc84ELc67EKS2_S3_S2_EEvlllT_PT11_llS6_llS4_PT12_llPT13_lli ; -- Begin function _ZN12_GLOBAL__N_127rocblas_gemm_batched_kernelI19rocblas_complex_numIdELi16ELi16ELi32ELi32ELi8ELi32ELi8ELi8ELi32ELc84ELc67EKS2_S3_S2_EEvlllT_PT11_llS6_llS4_PT12_llPT13_lli
	.p2align	8
	.type	_ZN12_GLOBAL__N_127rocblas_gemm_batched_kernelI19rocblas_complex_numIdELi16ELi16ELi32ELi32ELi8ELi32ELi8ELi8ELi32ELc84ELc67EKS2_S3_S2_EEvlllT_PT11_llS6_llS4_PT12_llPT13_lli,@function
_ZN12_GLOBAL__N_127rocblas_gemm_batched_kernelI19rocblas_complex_numIdELi16ELi16ELi32ELi32ELi8ELi32ELi8ELi8ELi32ELc84ELc67EKS2_S3_S2_EEvlllT_PT11_llS6_llS4_PT12_llPT13_lli: ; @_ZN12_GLOBAL__N_127rocblas_gemm_batched_kernelI19rocblas_complex_numIdELi16ELi16ELi32ELi32ELi8ELi32ELi8ELi8ELi32ELc84ELc67EKS2_S3_S2_EEvlllT_PT11_llS6_llS4_PT12_llPT13_lli
; %bb.0:
	s_load_b32 s24, s[0:1], 0x98
	s_bfe_u32 s2, ttmp6, 0x40014
	s_lshr_b32 s3, ttmp7, 16
	s_add_co_i32 s2, s2, 1
	s_bfe_u32 s4, ttmp6, 0x40008
	s_mul_i32 s2, s3, s2
	s_getreg_b32 s20, hwreg(HW_REG_IB_STS2, 6, 4)
	s_add_co_i32 s4, s4, s2
	s_cmp_eq_u32 s20, 0
	s_cselect_b32 s2, s3, s4
	s_mov_b32 s3, 0
	s_wait_kmcnt 0x0
	s_cmp_ge_i32 s2, s24
	s_cbranch_scc1 .LBB546_11
; %bb.1:
	v_bfe_u32 v2, v0, 10, 10
	v_and_b32_e32 v4, 0x3ff, v0
	s_bfe_u32 s21, ttmp6, 0x4000c
	s_bfe_u32 s23, ttmp6, 0x40010
	s_clause 0x1
	s_load_b512 s[4:19], s[0:1], 0x10
	s_load_b512 s[36:51], s[0:1], 0x50
	s_add_co_i32 s21, s21, 1
	s_and_b32 s25, ttmp7, 0xffff
	s_add_co_i32 s23, s23, 1
	s_and_b32 s22, ttmp6, 15
	s_mul_i32 s21, ttmp9, s21
	s_mul_i32 s23, s25, s23
	s_bfe_u32 s26, ttmp6, 0x40004
	v_lshl_add_u32 v14, v2, 4, v4
	s_add_co_i32 s22, s22, s21
	s_add_co_i32 s26, s26, s23
	s_cmp_eq_u32 s20, 0
	s_delay_alu instid0(VALU_DEP_1)
	v_dual_mov_b32 v3, 0 :: v_dual_bitop2_b32 v15, 31, v14 bitop3:0x40
	s_cselect_b32 s20, ttmp9, s22
	s_cselect_b32 s22, s25, s26
	s_ashr_i32 s21, s20, 31
	s_lshl_b32 s22, s22, 5
	s_lshl_b64 s[20:21], s[20:21], 5
	s_delay_alu instid0(SALU_CYCLE_1)
	v_dual_lshrrev_b32 v6, 3, v14 :: v_dual_bitop2_b32 v8, s20, v15 bitop3:0x54
	v_dual_mov_b32 v9, s21 :: v_dual_mov_b32 v7, v3
	s_mov_b32 s23, s3
	s_wait_kmcnt 0x0
	v_cmp_eq_f64_e64 s25, s[38:39], 0
	v_add_nc_u64_e32 v[10:11], s[22:23], v[2:3]
	v_mul_u64_e32 v[8:9], s[12:13], v[8:9]
	v_add_nc_u64_e32 v[12:13], s[22:23], v[6:7]
	v_dual_mov_b32 v5, v3 :: v_dual_bitop2_b32 v7, 7, v0 bitop3:0x40
	v_cmp_eq_f64_e64 s26, s[40:41], 0
	s_load_b64 s[12:13], s[0:1], 0x90
	v_mul_u64_e32 v[0:1], s[44:45], v[10:11]
	v_mul_u64_e32 v[56:57], s[50:51], v[10:11]
	v_mad_nc_u64_u32 v[12:13], s18, v7, v[12:13]
	v_dual_lshrrev_b32 v11, 5, v14 :: v_dual_lshlrev_b32 v10, 4, v7
	v_lshlrev_b32_e32 v86, 4, v4
	v_lshl_add_u32 v87, v2, 7, 0x1000
	s_wait_xcnt 0x0
	v_cmp_gt_i64_e64 s0, s[4:5], 0
	v_add_nc_u64_e32 v[58:59], s[20:21], v[4:5]
	v_lshl_or_b32 v6, v6, 7, v10
	s_lshl_b64 s[20:21], s[50:51], 4
	v_mad_u32 v13, s19, v7, v13
	v_lshlrev_b32_e32 v7, 4, v15
	v_lshlrev_b32_e32 v2, 4, v11
	v_add_nc_u32_e32 v89, 0x1000, v6
	v_cndmask_b32_e64 v6, 0, 1, s0
	s_lshl_b64 s[18:19], s[18:19], 7
	v_lshl_or_b32 v88, v11, 9, v7
	s_delay_alu instid0(VALU_DEP_2) | instskip(SKIP_3) | instid1(VALU_DEP_2)
	v_cmp_ne_u32_e64 s0, 1, v6
	v_lshl_add_u64 v[4:5], v[12:13], 4, s[16:17]
	s_lshl_b64 s[16:17], s[44:45], 4
	v_lshl_add_u64 v[2:3], v[8:9], 4, v[2:3]
	v_add_nc_u64_e32 v[62:63], 8, v[4:5]
	s_and_b32 s1, s25, s26
	s_delay_alu instid0(VALU_DEP_2)
	v_add_nc_u64_e32 v[60:61], s[10:11], v[2:3]
	v_lshl_add_u64 v[64:65], v[0:1], 4, s[42:43]
	s_lshl_b64 s[10:11], s[14:15], 4
	s_lshl_b64 s[14:15], s[36:37], 4
	s_branch .LBB546_3
.LBB546_2:                              ;   in Loop: Header=BB546_3 Depth=1
	s_add_co_i32 s2, s2, 0x10000
	global_store_b64 v[2:3], v[0:1], off offset:8
	s_cmp_lt_i32 s2, s24
	s_cbranch_scc0 .LBB546_11
.LBB546_3:                              ; =>This Loop Header: Depth=1
                                        ;     Child Loop BB546_5 Depth 2
	s_and_b32 vcc_lo, exec_lo, s0
	s_cbranch_vccnz .LBB546_6
; %bb.4:                                ;   in Loop: Header=BB546_3 Depth=1
	v_mad_nc_u64_u32 v[78:79], s10, s2, v[60:61]
	v_mad_nc_u64_u32 v[80:81], s14, s2, v[62:63]
	v_mov_b64_e32 v[68:69], 0
	v_mov_b64_e32 v[66:67], 0
	;; [unrolled: 1-line block ×8, first 2 shown]
	s_mov_b64 s[22:23], 0
	v_mad_u32 v79, s11, s2, v79
	v_mad_u32 v81, s15, s2, v81
.LBB546_5:                              ;   Parent Loop BB546_3 Depth=1
                                        ; =>  This Inner Loop Header: Depth=2
	global_load_b128 v[0:3], v[80:81], off offset:-8
	global_load_b128 v[4:7], v[78:79], off
	s_add_nc_u64 s[22:23], s[22:23], 8
	s_wait_xcnt 0x0
	v_add_nc_u64_e32 v[78:79], 0x80, v[78:79]
	v_cmp_lt_i64_e64 s25, s[22:23], s[4:5]
	v_add_nc_u64_e32 v[80:81], s[18:19], v[80:81]
	s_and_b32 vcc_lo, exec_lo, s25
	s_wait_loadcnt 0x1
	v_xor_b32_e32 v3, 0x80000000, v3
	s_wait_loadcnt 0x0
	ds_store_2addr_b64 v88, v[4:5], v[6:7] offset1:1
	ds_store_b128 v89, v[0:3]
	s_wait_dscnt 0x0
	s_barrier_signal -1
	s_barrier_wait -1
	ds_load_b128 v[0:3], v86
	ds_load_b128 v[8:11], v86 offset:256
	ds_load_b128 v[12:15], v87
	ds_load_b128 v[4:7], v87 offset:16
	ds_load_b128 v[16:19], v87 offset:2048
	;; [unrolled: 1-line block ×28, first 2 shown]
	s_wait_dscnt 0x1c
	v_mul_f64_e32 v[160:161], v[12:13], v[2:3]
	v_mul_f64_e32 v[164:165], v[12:13], v[10:11]
	;; [unrolled: 1-line block ×4, first 2 shown]
	s_delay_alu instid0(VALU_DEP_4) | instskip(NEXT) | instid1(VALU_DEP_4)
	v_fmac_f64_e32 v[160:161], v[14:15], v[0:1]
	v_fmac_f64_e32 v[164:165], v[14:15], v[8:9]
	s_wait_dscnt 0x1a
	v_mul_f64_e32 v[14:15], v[18:19], v[2:3]
	v_mul_f64_e32 v[2:3], v[16:17], v[2:3]
	v_fma_f64 v[158:159], v[12:13], v[0:1], -v[158:159]
	v_fma_f64 v[12:13], v[12:13], v[8:9], -v[162:163]
	s_wait_dscnt 0x17
	v_mul_f64_e32 v[162:163], v[4:5], v[34:35]
	v_add_f64_e32 v[84:85], v[160:161], v[84:85]
	v_add_f64_e32 v[76:77], v[164:165], v[76:77]
	v_fma_f64 v[14:15], v[16:17], v[0:1], -v[14:15]
	v_fmac_f64_e32 v[2:3], v[18:19], v[0:1]
	v_mul_f64_e32 v[0:1], v[18:19], v[10:11]
	v_mul_f64_e32 v[10:11], v[16:17], v[10:11]
	v_fmac_f64_e32 v[162:163], v[6:7], v[32:33]
	v_add_f64_e32 v[12:13], v[74:75], v[12:13]
	s_wait_dscnt 0x10
	v_mul_f64_e32 v[74:75], v[22:23], v[92:93]
	v_add_f64_e32 v[14:15], v[70:71], v[14:15]
	v_add_f64_e32 v[2:3], v[2:3], v[72:73]
	v_fma_f64 v[0:1], v[16:17], v[8:9], -v[0:1]
	v_fmac_f64_e32 v[10:11], v[18:19], v[8:9]
	v_mul_f64_e32 v[8:9], v[6:7], v[30:31]
	v_mul_f64_e32 v[16:17], v[4:5], v[30:31]
	v_mul_f64_e32 v[18:19], v[6:7], v[34:35]
	s_wait_dscnt 0xf
	v_mul_f64_e32 v[70:71], v[22:23], v[96:97]
	v_mul_f64_e32 v[72:73], v[20:21], v[96:97]
	v_fma_f64 v[74:75], v[20:21], v[90:91], -v[74:75]
	v_add_f64_e32 v[0:1], v[66:67], v[0:1]
	v_add_f64_e32 v[10:11], v[10:11], v[68:69]
	v_fma_f64 v[8:9], v[4:5], v[28:29], -v[8:9]
	v_fmac_f64_e32 v[16:17], v[6:7], v[28:29]
	v_fma_f64 v[4:5], v[4:5], v[32:33], -v[18:19]
	v_mul_f64_e32 v[6:7], v[26:27], v[30:31]
	v_mul_f64_e32 v[18:19], v[24:25], v[30:31]
	;; [unrolled: 1-line block ×5, first 2 shown]
	v_fmac_f64_e32 v[72:73], v[22:23], v[94:95]
	v_add_f64_e32 v[16:17], v[16:17], v[84:85]
	v_add_f64_e32 v[4:5], v[12:13], v[4:5]
	v_fma_f64 v[6:7], v[24:25], v[28:29], -v[6:7]
	v_fmac_f64_e32 v[18:19], v[26:27], v[28:29]
	v_mul_f64_e32 v[28:29], v[26:27], v[34:35]
	v_fmac_f64_e32 v[30:31], v[26:27], v[32:33]
	v_mul_f64_e32 v[26:27], v[46:47], v[38:39]
	v_mul_f64_e32 v[34:35], v[44:45], v[42:43]
	v_add_f64_e32 v[12:13], v[162:163], v[76:77]
	s_wait_dscnt 0xa
	v_mul_f64_e32 v[84:85], v[114:115], v[100:101]
	v_fmac_f64_e32 v[68:69], v[54:55], v[90:91]
	s_wait_dscnt 0x7
	v_mul_f64_e32 v[76:77], v[112:113], v[128:129]
	v_add_f64_e32 v[6:7], v[14:15], v[6:7]
	v_add_f64_e32 v[2:3], v[18:19], v[2:3]
	v_fma_f64 v[24:25], v[24:25], v[32:33], -v[28:29]
	v_mul_f64_e32 v[28:29], v[44:45], v[38:39]
	v_mul_f64_e32 v[32:33], v[46:47], v[42:43]
	v_fma_f64 v[26:27], v[44:45], v[36:37], -v[26:27]
	v_fmac_f64_e32 v[34:35], v[46:47], v[40:41]
	v_add_f64_e32 v[10:11], v[30:31], v[10:11]
	v_mul_f64_e32 v[14:15], v[116:117], v[104:105]
	v_mul_f64_e32 v[18:19], v[114:115], v[104:105]
	;; [unrolled: 1-line block ×3, first 2 shown]
	v_fmac_f64_e32 v[84:85], v[116:117], v[98:99]
	v_add_f64_e32 v[0:1], v[0:1], v[24:25]
	v_fmac_f64_e32 v[28:29], v[46:47], v[36:37]
	v_fma_f64 v[32:33], v[44:45], v[40:41], -v[32:33]
	v_mul_f64_e32 v[44:45], v[50:51], v[38:39]
	v_mul_f64_e32 v[38:39], v[48:49], v[38:39]
	v_add_f64_e32 v[46:47], v[82:83], v[158:159]
	v_mul_f64_e32 v[82:83], v[50:51], v[42:43]
	v_mul_f64_e32 v[42:43], v[48:49], v[42:43]
	;; [unrolled: 1-line block ×4, first 2 shown]
	v_fma_f64 v[20:21], v[20:21], v[94:95], -v[70:71]
	v_add_f64_e32 v[12:13], v[34:35], v[12:13]
	v_mul_f64_e32 v[24:25], v[112:113], v[124:125]
	v_mul_f64_e32 v[34:35], v[118:119], v[128:129]
	v_fma_f64 v[14:15], v[114:115], v[102:103], -v[14:15]
	v_fmac_f64_e32 v[18:19], v[116:117], v[102:103]
	v_fmac_f64_e32 v[30:31], v[112:113], v[122:123]
	v_add_f64_e32 v[16:17], v[28:29], v[16:17]
	v_add_f64_e32 v[4:5], v[4:5], v[32:33]
	v_fma_f64 v[44:45], v[48:49], v[36:37], -v[44:45]
	v_fmac_f64_e32 v[38:39], v[50:51], v[36:37]
	v_mul_f64_e32 v[36:37], v[54:55], v[96:97]
	v_fma_f64 v[48:49], v[48:49], v[40:41], -v[82:83]
	v_fmac_f64_e32 v[42:43], v[50:51], v[40:41]
	v_add_f64_e32 v[8:9], v[46:47], v[8:9]
	v_mul_f64_e32 v[40:41], v[108:109], v[100:101]
	v_mul_f64_e32 v[50:51], v[106:107], v[100:101]
	v_mul_f64_e32 v[82:83], v[108:109], v[104:105]
	v_mul_f64_e32 v[96:97], v[106:107], v[104:105]
	v_mul_f64_e32 v[46:47], v[116:117], v[100:101]
	v_fmac_f64_e32 v[158:159], v[22:23], v[90:91]
	v_fma_f64 v[22:23], v[52:53], v[90:91], -v[66:67]
	v_fmac_f64_e32 v[92:93], v[54:55], v[94:95]
	v_mul_f64_e32 v[100:101], v[110:111], v[128:129]
	v_mul_f64_e32 v[28:29], v[118:119], v[124:125]
	;; [unrolled: 1-line block ×3, first 2 shown]
	v_add_f64_e32 v[12:13], v[72:73], v[12:13]
	s_wait_dscnt 0x1
	v_mul_f64_e32 v[54:55], v[150:151], v[136:137]
	v_fma_f64 v[24:25], v[110:111], v[122:123], -v[24:25]
	v_fma_f64 v[66:67], v[110:111], v[126:127], -v[76:77]
	v_fmac_f64_e32 v[34:35], v[120:121], v[126:127]
	s_wait_dscnt 0x0
	v_mul_f64_e32 v[72:73], v[154:155], v[148:149]
	v_add_f64_e32 v[4:5], v[4:5], v[20:21]
	v_add_f64_e32 v[6:7], v[6:7], v[44:45]
	;; [unrolled: 1-line block ×3, first 2 shown]
	v_fma_f64 v[36:37], v[52:53], v[94:95], -v[36:37]
	v_add_f64_e32 v[0:1], v[0:1], v[48:49]
	v_add_f64_e32 v[10:11], v[42:43], v[10:11]
	;; [unrolled: 1-line block ×3, first 2 shown]
	v_mul_f64_e32 v[26:27], v[120:121], v[124:125]
	v_fma_f64 v[40:41], v[106:107], v[98:99], -v[40:41]
	v_fmac_f64_e32 v[50:51], v[108:109], v[98:99]
	v_fma_f64 v[44:45], v[106:107], v[102:103], -v[82:83]
	v_fmac_f64_e32 v[96:97], v[108:109], v[102:103]
	v_fma_f64 v[46:47], v[114:115], v[98:99], -v[46:47]
	v_add_f64_e32 v[16:17], v[158:159], v[16:17]
	v_mul_f64_e32 v[38:39], v[140:141], v[132:133]
	v_mul_f64_e32 v[42:43], v[138:139], v[132:133]
	;; [unrolled: 1-line block ×5, first 2 shown]
	v_fmac_f64_e32 v[100:101], v[112:113], v[126:127]
	v_fmac_f64_e32 v[28:29], v[120:121], v[122:123]
	v_fma_f64 v[32:33], v[118:119], v[126:127], -v[32:33]
	v_fmac_f64_e32 v[54:55], v[152:153], v[134:135]
	v_fmac_f64_e32 v[72:73], v[156:157], v[146:147]
	v_add_f64_e32 v[6:7], v[6:7], v[22:23]
	v_add_f64_e32 v[2:3], v[68:69], v[2:3]
	v_mul_f64_e32 v[22:23], v[138:139], v[136:137]
	v_add_f64_e32 v[0:1], v[0:1], v[36:37]
	v_add_f64_e32 v[10:11], v[92:93], v[10:11]
	;; [unrolled: 1-line block ×3, first 2 shown]
	v_mul_f64_e32 v[36:37], v[152:153], v[132:133]
	v_fma_f64 v[26:27], v[118:119], v[122:123], -v[26:27]
	v_mul_f64_e32 v[68:69], v[156:157], v[148:149]
	v_add_f64_e32 v[4:5], v[4:5], v[44:45]
	v_add_f64_e32 v[12:13], v[96:97], v[12:13]
	v_mul_f64_e32 v[44:45], v[142:143], v[148:149]
	v_add_f64_e32 v[16:17], v[50:51], v[16:17]
	v_fma_f64 v[38:39], v[138:139], v[130:131], -v[38:39]
	v_fmac_f64_e32 v[42:43], v[140:141], v[130:131]
	v_fma_f64 v[20:21], v[138:139], v[134:135], -v[20:21]
	v_fmac_f64_e32 v[48:49], v[152:153], v[130:131]
	v_fma_f64 v[52:53], v[150:151], v[134:135], -v[52:53]
	v_add_f64_e32 v[6:7], v[6:7], v[46:47]
	v_fmac_f64_e32 v[22:23], v[140:141], v[134:135]
	v_add_f64_e32 v[14:15], v[0:1], v[14:15]
	v_add_f64_e32 v[10:11], v[18:19], v[10:11]
	;; [unrolled: 1-line block ×4, first 2 shown]
	ds_load_b128 v[0:3], v86 offset:3840
	v_mul_f64_e32 v[18:19], v[144:145], v[148:149]
	v_fma_f64 v[36:37], v[150:151], v[130:131], -v[36:37]
	v_add_f64_e32 v[4:5], v[4:5], v[66:67]
	v_add_f64_e32 v[12:13], v[100:101], v[12:13]
	;; [unrolled: 1-line block ×3, first 2 shown]
	v_fmac_f64_e32 v[44:45], v[144:145], v[146:147]
	s_wait_dscnt 0x0
	s_barrier_signal -1
	s_barrier_wait -1
	v_mul_f64_e32 v[46:47], v[144:145], v[2:3]
	v_mul_f64_e32 v[50:51], v[142:143], v[2:3]
	;; [unrolled: 1-line block ×4, first 2 shown]
	v_add_f64_e32 v[6:7], v[6:7], v[26:27]
	v_add_f64_e32 v[14:15], v[14:15], v[32:33]
	;; [unrolled: 1-line block ×5, first 2 shown]
	v_fma_f64 v[28:29], v[154:155], v[146:147], -v[68:69]
	v_fma_f64 v[18:19], v[142:143], v[146:147], -v[18:19]
	v_add_f64_e32 v[4:5], v[4:5], v[20:21]
	v_add_f64_e32 v[12:13], v[22:23], v[12:13]
	v_fma_f64 v[26:27], v[142:143], v[0:1], -v[46:47]
	v_fmac_f64_e32 v[50:51], v[144:145], v[0:1]
	v_fma_f64 v[30:31], v[154:155], v[0:1], -v[70:71]
	v_fmac_f64_e32 v[2:3], v[156:157], v[0:1]
	v_add_f64_e32 v[6:7], v[6:7], v[36:37]
	v_add_f64_e32 v[14:15], v[14:15], v[52:53]
	;; [unrolled: 1-line block ×14, first 2 shown]
	s_cbranch_vccnz .LBB546_5
	s_branch .LBB546_7
.LBB546_6:                              ;   in Loop: Header=BB546_3 Depth=1
	v_mov_b64_e32 v[82:83], 0
	v_mov_b64_e32 v[84:85], 0
	;; [unrolled: 1-line block ×8, first 2 shown]
.LBB546_7:                              ;   in Loop: Header=BB546_3 Depth=1
	s_wait_kmcnt 0x0
	s_mul_u64 s[22:23], s[12:13], s[2:3]
	s_and_not1_b32 vcc_lo, exec_lo, s1
	s_lshl_b64 s[22:23], s[22:23], 4
	s_mov_b32 s25, -1
	s_add_nc_u64 s[22:23], s[48:49], s[22:23]
                                        ; implicit-def: $vgpr0_vgpr1
                                        ; implicit-def: $vgpr2_vgpr3
	s_cbranch_vccz .LBB546_9
; %bb.8:                                ;   in Loop: Header=BB546_3 Depth=1
	s_and_not1_b32 vcc_lo, exec_lo, s25
	s_cbranch_vccnz .LBB546_2
	s_branch .LBB546_10
.LBB546_9:                              ;   in Loop: Header=BB546_3 Depth=1
	s_wait_xcnt 0x0
	s_delay_alu instid0(VALU_DEP_2) | instskip(SKIP_1) | instid1(VALU_DEP_3)
	v_mul_f64_e32 v[2:3], s[8:9], v[84:85]
	v_mul_f64_e32 v[6:7], s[6:7], v[84:85]
	;; [unrolled: 1-line block ×8, first 2 shown]
	v_lshlrev_b64_e32 v[18:19], 4, v[58:59]
	v_fma_f64 v[4:5], s[6:7], v[82:83], -v[2:3]
	v_fmac_f64_e32 v[6:7], s[8:9], v[82:83]
	v_fmac_f64_e32 v[0:1], s[8:9], v[66:67]
	v_fma_f64 v[8:9], s[6:7], v[74:75], -v[8:9]
	v_fmac_f64_e32 v[10:11], s[8:9], v[74:75]
	v_fma_f64 v[12:13], s[6:7], v[70:71], -v[12:13]
	;; [unrolled: 2-line block ×3, first 2 shown]
	v_lshl_add_u64 v[2:3], v[56:57], 4, s[22:23]
	s_delay_alu instid0(VALU_DEP_1) | instskip(NEXT) | instid1(VALU_DEP_1)
	v_lshl_add_u64 v[20:21], s[20:21], 4, v[2:3]
	v_add_nc_u64_e32 v[20:21], v[20:21], v[18:19]
	v_add_nc_u64_e32 v[18:19], v[2:3], v[18:19]
	s_clause 0x3
	global_store_b128 v[18:19], v[4:7], off
	global_store_b128 v[18:19], v[8:11], off offset:256
	global_store_b128 v[20:21], v[12:15], off
	global_store_b64 v[20:21], v[16:17], off offset:256
	v_add_nc_u64_e32 v[2:3], 0x100, v[20:21]
	s_cbranch_execnz .LBB546_2
.LBB546_10:                             ;   in Loop: Header=BB546_3 Depth=1
	s_mul_u64 s[26:27], s[46:47], s[2:3]
	s_wait_xcnt 0x1
	v_lshlrev_b64_e32 v[4:5], 4, v[58:59]
	v_lshl_add_u64 v[6:7], s[26:27], 4, v[64:65]
	s_wait_xcnt 0x2
	s_delay_alu instid0(VALU_DEP_4) | instskip(SKIP_2) | instid1(VALU_DEP_4)
	v_mul_f64_e32 v[10:11], s[8:9], v[84:85]
	s_wait_xcnt 0x1
	v_mul_f64_e32 v[12:13], s[6:7], v[84:85]
	v_add_nc_u64_e32 v[8:9], v[6:7], v[4:5]
	v_lshl_add_u64 v[6:7], s[16:17], 4, v[6:7]
	s_delay_alu instid0(VALU_DEP_1)
	v_add_nc_u64_e32 v[6:7], v[6:7], v[4:5]
	global_load_b128 v[0:3], v[8:9], off
	v_fma_f64 v[10:11], s[6:7], v[82:83], -v[10:11]
	v_fmac_f64_e32 v[12:13], s[8:9], v[82:83]
	s_wait_loadcnt 0x0
	v_mul_f64_e32 v[14:15], s[40:41], v[2:3]
	v_mul_f64_e32 v[2:3], s[38:39], v[2:3]
	s_delay_alu instid0(VALU_DEP_2) | instskip(NEXT) | instid1(VALU_DEP_2)
	v_fma_f64 v[14:15], s[38:39], v[0:1], -v[14:15]
	v_fmac_f64_e32 v[2:3], s[40:41], v[0:1]
	s_delay_alu instid0(VALU_DEP_2) | instskip(NEXT) | instid1(VALU_DEP_2)
	v_add_f64_e32 v[0:1], v[10:11], v[14:15]
	v_add_f64_e32 v[2:3], v[12:13], v[2:3]
	v_lshl_add_u64 v[10:11], v[56:57], 4, s[22:23]
	v_mul_f64_e32 v[14:15], s[6:7], v[76:77]
	s_delay_alu instid0(VALU_DEP_2)
	v_add_nc_u64_e32 v[12:13], v[10:11], v[4:5]
	global_store_b128 v[12:13], v[0:3], off
	global_load_b128 v[0:3], v[8:9], off offset:256
	s_wait_xcnt 0x0
	v_mul_f64_e32 v[8:9], s[8:9], v[76:77]
	v_fmac_f64_e32 v[14:15], s[8:9], v[74:75]
	s_delay_alu instid0(VALU_DEP_2) | instskip(SKIP_3) | instid1(VALU_DEP_2)
	v_fma_f64 v[8:9], s[6:7], v[74:75], -v[8:9]
	s_wait_loadcnt 0x0
	v_mul_f64_e32 v[16:17], s[40:41], v[2:3]
	v_mul_f64_e32 v[2:3], s[38:39], v[2:3]
	v_fma_f64 v[16:17], s[38:39], v[0:1], -v[16:17]
	s_delay_alu instid0(VALU_DEP_2) | instskip(NEXT) | instid1(VALU_DEP_2)
	v_fmac_f64_e32 v[2:3], s[40:41], v[0:1]
	v_add_f64_e32 v[0:1], v[8:9], v[16:17]
	s_delay_alu instid0(VALU_DEP_2)
	v_add_f64_e32 v[2:3], v[14:15], v[2:3]
	v_mul_f64_e32 v[8:9], s[8:9], v[72:73]
	global_store_b128 v[12:13], v[0:3], off offset:256
	global_load_b128 v[0:3], v[6:7], off
	v_mul_f64_e32 v[12:13], s[6:7], v[72:73]
	v_fma_f64 v[8:9], s[6:7], v[70:71], -v[8:9]
	s_delay_alu instid0(VALU_DEP_2) | instskip(SKIP_3) | instid1(VALU_DEP_2)
	v_fmac_f64_e32 v[12:13], s[8:9], v[70:71]
	s_wait_loadcnt 0x0
	v_mul_f64_e32 v[14:15], s[40:41], v[2:3]
	v_mul_f64_e32 v[2:3], s[38:39], v[2:3]
	v_fma_f64 v[14:15], s[38:39], v[0:1], -v[14:15]
	s_delay_alu instid0(VALU_DEP_2) | instskip(NEXT) | instid1(VALU_DEP_2)
	v_fmac_f64_e32 v[2:3], s[40:41], v[0:1]
	v_add_f64_e32 v[0:1], v[8:9], v[14:15]
	s_delay_alu instid0(VALU_DEP_2) | instskip(SKIP_1) | instid1(VALU_DEP_1)
	v_add_f64_e32 v[2:3], v[12:13], v[2:3]
	v_lshl_add_u64 v[8:9], s[20:21], 4, v[10:11]
	v_add_nc_u64_e32 v[4:5], v[8:9], v[4:5]
	v_mul_f64_e32 v[8:9], s[6:7], v[68:69]
	global_store_b128 v[4:5], v[0:3], off
	global_load_b128 v[0:3], v[6:7], off offset:256
	s_wait_xcnt 0x0
	v_mul_f64_e32 v[6:7], s[8:9], v[68:69]
	v_fmac_f64_e32 v[8:9], s[8:9], v[66:67]
	s_delay_alu instid0(VALU_DEP_2) | instskip(SKIP_3) | instid1(VALU_DEP_2)
	v_fma_f64 v[6:7], s[6:7], v[66:67], -v[6:7]
	s_wait_loadcnt 0x0
	v_mul_f64_e32 v[10:11], s[40:41], v[2:3]
	v_mul_f64_e32 v[2:3], s[38:39], v[2:3]
	v_fma_f64 v[10:11], s[38:39], v[0:1], -v[10:11]
	s_delay_alu instid0(VALU_DEP_2) | instskip(NEXT) | instid1(VALU_DEP_2)
	v_fmac_f64_e32 v[2:3], s[40:41], v[0:1]
	v_add_f64_e32 v[6:7], v[6:7], v[10:11]
	s_delay_alu instid0(VALU_DEP_2)
	v_add_f64_e32 v[0:1], v[8:9], v[2:3]
	v_add_nc_u64_e32 v[2:3], 0x100, v[4:5]
	global_store_b64 v[4:5], v[6:7], off offset:256
	s_branch .LBB546_2
.LBB546_11:
	s_sendmsg sendmsg(MSG_DEALLOC_VGPRS)
	s_endpgm
	.section	.rodata,"a",@progbits
	.p2align	6, 0x0
	.amdhsa_kernel _ZN12_GLOBAL__N_127rocblas_gemm_batched_kernelI19rocblas_complex_numIdELi16ELi16ELi32ELi32ELi8ELi32ELi8ELi8ELi32ELc84ELc67EKS2_S3_S2_EEvlllT_PT11_llS6_llS4_PT12_llPT13_lli
		.amdhsa_group_segment_fixed_size 8192
		.amdhsa_private_segment_fixed_size 0
		.amdhsa_kernarg_size 156
		.amdhsa_user_sgpr_count 2
		.amdhsa_user_sgpr_dispatch_ptr 0
		.amdhsa_user_sgpr_queue_ptr 0
		.amdhsa_user_sgpr_kernarg_segment_ptr 1
		.amdhsa_user_sgpr_dispatch_id 0
		.amdhsa_user_sgpr_kernarg_preload_length 0
		.amdhsa_user_sgpr_kernarg_preload_offset 0
		.amdhsa_user_sgpr_private_segment_size 0
		.amdhsa_wavefront_size32 1
		.amdhsa_uses_dynamic_stack 0
		.amdhsa_enable_private_segment 0
		.amdhsa_system_sgpr_workgroup_id_x 1
		.amdhsa_system_sgpr_workgroup_id_y 1
		.amdhsa_system_sgpr_workgroup_id_z 1
		.amdhsa_system_sgpr_workgroup_info 0
		.amdhsa_system_vgpr_workitem_id 1
		.amdhsa_next_free_vgpr 166
		.amdhsa_next_free_sgpr 52
		.amdhsa_named_barrier_count 0
		.amdhsa_reserve_vcc 1
		.amdhsa_float_round_mode_32 0
		.amdhsa_float_round_mode_16_64 0
		.amdhsa_float_denorm_mode_32 3
		.amdhsa_float_denorm_mode_16_64 3
		.amdhsa_fp16_overflow 0
		.amdhsa_memory_ordered 1
		.amdhsa_forward_progress 1
		.amdhsa_inst_pref_size 21
		.amdhsa_round_robin_scheduling 0
		.amdhsa_exception_fp_ieee_invalid_op 0
		.amdhsa_exception_fp_denorm_src 0
		.amdhsa_exception_fp_ieee_div_zero 0
		.amdhsa_exception_fp_ieee_overflow 0
		.amdhsa_exception_fp_ieee_underflow 0
		.amdhsa_exception_fp_ieee_inexact 0
		.amdhsa_exception_int_div_zero 0
	.end_amdhsa_kernel
	.section	.text._ZN12_GLOBAL__N_127rocblas_gemm_batched_kernelI19rocblas_complex_numIdELi16ELi16ELi32ELi32ELi8ELi32ELi8ELi8ELi32ELc84ELc67EKS2_S3_S2_EEvlllT_PT11_llS6_llS4_PT12_llPT13_lli,"axG",@progbits,_ZN12_GLOBAL__N_127rocblas_gemm_batched_kernelI19rocblas_complex_numIdELi16ELi16ELi32ELi32ELi8ELi32ELi8ELi8ELi32ELc84ELc67EKS2_S3_S2_EEvlllT_PT11_llS6_llS4_PT12_llPT13_lli,comdat
.Lfunc_end546:
	.size	_ZN12_GLOBAL__N_127rocblas_gemm_batched_kernelI19rocblas_complex_numIdELi16ELi16ELi32ELi32ELi8ELi32ELi8ELi8ELi32ELc84ELc67EKS2_S3_S2_EEvlllT_PT11_llS6_llS4_PT12_llPT13_lli, .Lfunc_end546-_ZN12_GLOBAL__N_127rocblas_gemm_batched_kernelI19rocblas_complex_numIdELi16ELi16ELi32ELi32ELi8ELi32ELi8ELi8ELi32ELc84ELc67EKS2_S3_S2_EEvlllT_PT11_llS6_llS4_PT12_llPT13_lli
                                        ; -- End function
	.set _ZN12_GLOBAL__N_127rocblas_gemm_batched_kernelI19rocblas_complex_numIdELi16ELi16ELi32ELi32ELi8ELi32ELi8ELi8ELi32ELc84ELc67EKS2_S3_S2_EEvlllT_PT11_llS6_llS4_PT12_llPT13_lli.num_vgpr, 166
	.set _ZN12_GLOBAL__N_127rocblas_gemm_batched_kernelI19rocblas_complex_numIdELi16ELi16ELi32ELi32ELi8ELi32ELi8ELi8ELi32ELc84ELc67EKS2_S3_S2_EEvlllT_PT11_llS6_llS4_PT12_llPT13_lli.num_agpr, 0
	.set _ZN12_GLOBAL__N_127rocblas_gemm_batched_kernelI19rocblas_complex_numIdELi16ELi16ELi32ELi32ELi8ELi32ELi8ELi8ELi32ELc84ELc67EKS2_S3_S2_EEvlllT_PT11_llS6_llS4_PT12_llPT13_lli.numbered_sgpr, 52
	.set _ZN12_GLOBAL__N_127rocblas_gemm_batched_kernelI19rocblas_complex_numIdELi16ELi16ELi32ELi32ELi8ELi32ELi8ELi8ELi32ELc84ELc67EKS2_S3_S2_EEvlllT_PT11_llS6_llS4_PT12_llPT13_lli.num_named_barrier, 0
	.set _ZN12_GLOBAL__N_127rocblas_gemm_batched_kernelI19rocblas_complex_numIdELi16ELi16ELi32ELi32ELi8ELi32ELi8ELi8ELi32ELc84ELc67EKS2_S3_S2_EEvlllT_PT11_llS6_llS4_PT12_llPT13_lli.private_seg_size, 0
	.set _ZN12_GLOBAL__N_127rocblas_gemm_batched_kernelI19rocblas_complex_numIdELi16ELi16ELi32ELi32ELi8ELi32ELi8ELi8ELi32ELc84ELc67EKS2_S3_S2_EEvlllT_PT11_llS6_llS4_PT12_llPT13_lli.uses_vcc, 1
	.set _ZN12_GLOBAL__N_127rocblas_gemm_batched_kernelI19rocblas_complex_numIdELi16ELi16ELi32ELi32ELi8ELi32ELi8ELi8ELi32ELc84ELc67EKS2_S3_S2_EEvlllT_PT11_llS6_llS4_PT12_llPT13_lli.uses_flat_scratch, 0
	.set _ZN12_GLOBAL__N_127rocblas_gemm_batched_kernelI19rocblas_complex_numIdELi16ELi16ELi32ELi32ELi8ELi32ELi8ELi8ELi32ELc84ELc67EKS2_S3_S2_EEvlllT_PT11_llS6_llS4_PT12_llPT13_lli.has_dyn_sized_stack, 0
	.set _ZN12_GLOBAL__N_127rocblas_gemm_batched_kernelI19rocblas_complex_numIdELi16ELi16ELi32ELi32ELi8ELi32ELi8ELi8ELi32ELc84ELc67EKS2_S3_S2_EEvlllT_PT11_llS6_llS4_PT12_llPT13_lli.has_recursion, 0
	.set _ZN12_GLOBAL__N_127rocblas_gemm_batched_kernelI19rocblas_complex_numIdELi16ELi16ELi32ELi32ELi8ELi32ELi8ELi8ELi32ELc84ELc67EKS2_S3_S2_EEvlllT_PT11_llS6_llS4_PT12_llPT13_lli.has_indirect_call, 0
	.section	.AMDGPU.csdata,"",@progbits
; Kernel info:
; codeLenInByte = 2608
; TotalNumSgprs: 54
; NumVgprs: 166
; ScratchSize: 0
; MemoryBound: 0
; FloatMode: 240
; IeeeMode: 1
; LDSByteSize: 8192 bytes/workgroup (compile time only)
; SGPRBlocks: 0
; VGPRBlocks: 10
; NumSGPRsForWavesPerEU: 54
; NumVGPRsForWavesPerEU: 166
; NamedBarCnt: 0
; Occupancy: 5
; WaveLimiterHint : 1
; COMPUTE_PGM_RSRC2:SCRATCH_EN: 0
; COMPUTE_PGM_RSRC2:USER_SGPR: 2
; COMPUTE_PGM_RSRC2:TRAP_HANDLER: 0
; COMPUTE_PGM_RSRC2:TGID_X_EN: 1
; COMPUTE_PGM_RSRC2:TGID_Y_EN: 1
; COMPUTE_PGM_RSRC2:TGID_Z_EN: 1
; COMPUTE_PGM_RSRC2:TIDIG_COMP_CNT: 1
	.section	.text._ZN12_GLOBAL__N_135rocblas_gemm_batched_general_kernelI19rocblas_complex_numIdELi16ELi16ELi32ELi32ELi8ELi32ELi8ELi8ELi32ELc78ELc78EKS2_S3_S2_EEvlllT_PT11_llS6_llS4_PT12_llPT13_lli,"axG",@progbits,_ZN12_GLOBAL__N_135rocblas_gemm_batched_general_kernelI19rocblas_complex_numIdELi16ELi16ELi32ELi32ELi8ELi32ELi8ELi8ELi32ELc78ELc78EKS2_S3_S2_EEvlllT_PT11_llS6_llS4_PT12_llPT13_lli,comdat
	.globl	_ZN12_GLOBAL__N_135rocblas_gemm_batched_general_kernelI19rocblas_complex_numIdELi16ELi16ELi32ELi32ELi8ELi32ELi8ELi8ELi32ELc78ELc78EKS2_S3_S2_EEvlllT_PT11_llS6_llS4_PT12_llPT13_lli ; -- Begin function _ZN12_GLOBAL__N_135rocblas_gemm_batched_general_kernelI19rocblas_complex_numIdELi16ELi16ELi32ELi32ELi8ELi32ELi8ELi8ELi32ELc78ELc78EKS2_S3_S2_EEvlllT_PT11_llS6_llS4_PT12_llPT13_lli
	.p2align	8
	.type	_ZN12_GLOBAL__N_135rocblas_gemm_batched_general_kernelI19rocblas_complex_numIdELi16ELi16ELi32ELi32ELi8ELi32ELi8ELi8ELi32ELc78ELc78EKS2_S3_S2_EEvlllT_PT11_llS6_llS4_PT12_llPT13_lli,@function
_ZN12_GLOBAL__N_135rocblas_gemm_batched_general_kernelI19rocblas_complex_numIdELi16ELi16ELi32ELi32ELi8ELi32ELi8ELi8ELi32ELc78ELc78EKS2_S3_S2_EEvlllT_PT11_llS6_llS4_PT12_llPT13_lli: ; @_ZN12_GLOBAL__N_135rocblas_gemm_batched_general_kernelI19rocblas_complex_numIdELi16ELi16ELi32ELi32ELi8ELi32ELi8ELi8ELi32ELc78ELc78EKS2_S3_S2_EEvlllT_PT11_llS6_llS4_PT12_llPT13_lli
; %bb.0:
	s_load_b32 s30, s[0:1], 0x98
	s_bfe_u32 s2, ttmp6, 0x40014
	s_lshr_b32 s3, ttmp7, 16
	s_add_co_i32 s2, s2, 1
	s_bfe_u32 s5, ttmp6, 0x40008
	s_mul_i32 s4, s3, s2
	s_getreg_b32 s2, hwreg(HW_REG_IB_STS2, 6, 4)
	s_add_co_i32 s5, s5, s4
	s_cmp_eq_u32 s2, 0
	s_mov_b32 s7, 0
	s_cselect_b32 s6, s3, s5
	s_wait_kmcnt 0x0
	s_cmp_ge_i32 s6, s30
	s_cbranch_scc1 .LBB547_39
; %bb.1:
	s_load_b512 s[8:23], s[0:1], 0x0
	v_bfe_u32 v4, v0, 10, 10
	v_and_b32_e32 v12, 0x3ff, v0
	s_load_b512 s[36:51], s[0:1], 0x40
	s_bfe_u32 s4, ttmp6, 0x4000c
	s_bfe_u32 s5, ttmp6, 0x40010
	s_add_co_i32 s4, s4, 1
	s_and_b32 s24, ttmp7, 0xffff
	s_add_co_i32 s5, s5, 1
	v_lshl_add_u32 v1, v4, 4, v12
	v_mov_b32_e32 v2, 0
	s_and_b32 s3, ttmp6, 15
	s_mul_i32 s4, ttmp9, s4
	s_mul_i32 s5, s24, s5
	s_bfe_u32 s25, ttmp6, 0x40004
	s_add_co_i32 s3, s3, s4
	s_add_co_i32 s25, s25, s5
	s_cmp_eq_u32 s2, 0
	v_dual_mov_b32 v7, v2 :: v_dual_lshrrev_b32 v6, 5, v1
	v_dual_mov_b32 v9, v2 :: v_dual_lshrrev_b32 v8, 3, v1
	v_mov_b32_e32 v5, v2
	s_cselect_b32 s4, s24, s25
	s_cselect_b32 s2, ttmp9, s3
	s_lshl_b32 s4, s4, 5
	s_mov_b32 s5, s7
	s_clause 0x1
	s_load_b128 s[24:27], s[0:1], 0x80
	s_load_b64 s[28:29], s[0:1], 0x90
	v_add_nc_u64_e32 v[14:15], s[4:5], v[8:9]
	s_wait_kmcnt 0x0
	v_mul_u64_e32 v[16:17], s[20:21], v[6:7]
	v_add_nc_u64_e32 v[18:19], s[4:5], v[4:5]
	s_ashr_i32 s3, s2, 31
	v_dual_mov_b32 v13, v2 :: v_dual_bitop2_b32 v0, 7, v0 bitop3:0x40
	s_lshl_b64 s[4:5], s[2:3], 5
	v_mul_u64_e32 v[20:21], s[38:39], v[14:15]
	v_dual_mov_b32 v11, s5 :: v_dual_bitop2_b32 v3, 31, v1 bitop3:0x40
	s_delay_alu instid0(VALU_DEP_4) | instskip(SKIP_2) | instid1(VALU_DEP_4)
	v_mul_u64_e32 v[22:23], s[48:49], v[18:19]
	v_cmp_eq_f64_e64 s31, s[42:43], 0
	v_cmp_eq_f64_e64 s33, s[44:45], 0
	v_dual_lshlrev_b32 v24, 4, v0 :: v_dual_bitop2_b32 v10, s4, v3 bitop3:0x54
	v_dual_mov_b32 v1, v2 :: v_dual_lshlrev_b32 v26, 4, v3
	s_lshl_b64 s[0:1], s[2:3], 9
	s_delay_alu instid0(VALU_DEP_2)
	v_cmp_gt_i64_e32 vcc_lo, s[8:9], v[10:11]
	v_mul_u64_e32 v[10:11], s[26:27], v[18:19]
	v_lshl_or_b32 v3, v8, 7, v24
	v_add_nc_u64_e32 v[8:9], s[4:5], v[12:13]
	v_cmp_gt_i64_e64 s4, s[10:11], v[14:15]
	v_lshl_add_u32 v45, v4, 7, 0x1000
	v_dual_mov_b32 v27, v2 :: v_dual_lshlrev_b32 v44, 4, v12
	v_mov_b32_e32 v25, v2
	v_add_nc_u64_e32 v[12:13], 16, v[18:19]
	v_add_nc_u64_e32 v[4:5], 16, v[8:9]
	v_lshl_or_b32 v42, v6, 9, v26
	v_add_nc_u32_e32 v43, 0x1000, v3
	s_lshl_b64 s[20:21], s[20:21], 7
	v_lshl_add_u64 v[14:15], v[16:17], 4, s[0:1]
	v_cmp_gt_i64_e64 s0, s[10:11], v[18:19]
	v_cmp_gt_i64_e64 s2, s[8:9], v[4:5]
	;; [unrolled: 1-line block ×4, first 2 shown]
	v_add_nc_u64_e32 v[16:17], v[14:15], v[26:27]
	v_lshl_add_u64 v[4:5], v[20:21], 4, v[24:25]
	s_lshl_b64 s[8:9], s[26:27], 4
	s_lshl_b64 s[10:11], s[48:49], 4
	v_lshl_add_u64 v[12:13], v[22:23], 4, s[46:47]
	s_lshl_b64 s[26:27], s[40:41], 4
	v_add_nc_u64_e32 v[14:15], s[36:37], v[4:5]
	v_add_nc_u64_e32 v[16:17], s[18:19], v[16:17]
	s_lshl_b64 s[18:19], s[22:23], 4
	v_cmp_gt_i64_e64 s22, s[12:13], 0
	s_and_b32 s31, s31, s33
	s_xor_b32 s23, vcc_lo, -1
	s_xor_b32 s33, s4, -1
	s_branch .LBB547_4
.LBB547_2:                              ;   in Loop: Header=BB547_4 Depth=1
	s_wait_xcnt 0x0
	s_or_b32 exec_lo, exec_lo, s34
.LBB547_3:                              ;   in Loop: Header=BB547_4 Depth=1
	s_add_co_i32 s6, s6, 0x10000
	s_delay_alu instid0(SALU_CYCLE_1)
	s_cmp_lt_i32 s6, s30
	s_cbranch_scc0 .LBB547_39
.LBB547_4:                              ; =>This Loop Header: Depth=1
                                        ;     Child Loop BB547_7 Depth 2
	s_and_not1_b32 vcc_lo, exec_lo, s22
	s_cbranch_vccnz .LBB547_15
; %bb.5:                                ;   in Loop: Header=BB547_4 Depth=1
	v_mad_nc_u64_u32 v[18:19], s26, s6, v[14:15]
	v_mad_nc_u64_u32 v[20:21], s18, s6, v[16:17]
	v_mov_b64_e32 v[36:37], 0
	v_mov_b64_e32 v[34:35], 0
	;; [unrolled: 1-line block ×8, first 2 shown]
	s_mov_b64 s[4:5], 0
	v_mad_u32 v19, s27, s6, v19
	v_mad_u32 v21, s19, s6, v21
	s_branch .LBB547_7
.LBB547_6:                              ;   in Loop: Header=BB547_7 Depth=2
	s_wait_xcnt 0x0
	s_or_b32 exec_lo, exec_lo, s34
	s_wait_dscnt 0x0
	s_barrier_signal -1
	s_barrier_wait -1
	ds_load_b128 v[38:41], v45
	ds_load_b128 v[46:49], v45 offset:16
	ds_load_b128 v[50:53], v45 offset:32
	;; [unrolled: 1-line block ×3, first 2 shown]
	ds_load_b128 v[58:61], v44
	s_add_nc_u64 s[4:5], s[4:5], 8
	v_add_nc_u64_e32 v[18:19], 0x80, v[18:19]
	v_cmp_lt_i64_e64 s34, s[4:5], s[12:13]
	v_add_nc_u64_e32 v[20:21], s[20:21], v[20:21]
	s_and_b32 vcc_lo, exec_lo, s34
	s_wait_dscnt 0x0
	v_mul_f64_e32 v[4:5], v[40:41], v[60:61]
	v_mul_f64_e32 v[62:63], v[38:39], v[60:61]
	s_delay_alu instid0(VALU_DEP_2) | instskip(NEXT) | instid1(VALU_DEP_2)
	v_fma_f64 v[4:5], v[38:39], v[58:59], -v[4:5]
	v_fmac_f64_e32 v[62:63], v[40:41], v[58:59]
	s_delay_alu instid0(VALU_DEP_2) | instskip(NEXT) | instid1(VALU_DEP_2)
	v_add_f64_e32 v[4:5], v[26:27], v[4:5]
	v_add_f64_e32 v[62:63], v[62:63], v[28:29]
	ds_load_b128 v[26:29], v44 offset:256
	s_wait_dscnt 0x0
	v_mul_f64_e32 v[64:65], v[40:41], v[28:29]
	s_delay_alu instid0(VALU_DEP_1) | instskip(SKIP_1) | instid1(VALU_DEP_1)
	v_fma_f64 v[64:65], v[38:39], v[26:27], -v[64:65]
	v_mul_f64_e32 v[38:39], v[38:39], v[28:29]
	v_fmac_f64_e32 v[38:39], v[40:41], v[26:27]
	s_delay_alu instid0(VALU_DEP_3) | instskip(NEXT) | instid1(VALU_DEP_2)
	v_add_f64_e32 v[40:41], v[22:23], v[64:65]
	v_add_f64_e32 v[38:39], v[38:39], v[24:25]
	ds_load_b128 v[22:25], v45 offset:2048
	s_wait_dscnt 0x0
	v_mul_f64_e32 v[64:65], v[24:25], v[60:61]
	v_mul_f64_e32 v[60:61], v[22:23], v[60:61]
	s_delay_alu instid0(VALU_DEP_2) | instskip(NEXT) | instid1(VALU_DEP_2)
	v_fma_f64 v[64:65], v[22:23], v[58:59], -v[64:65]
	v_fmac_f64_e32 v[60:61], v[24:25], v[58:59]
	s_delay_alu instid0(VALU_DEP_2) | instskip(SKIP_1) | instid1(VALU_DEP_3)
	v_add_f64_e32 v[58:59], v[30:31], v[64:65]
	v_mul_f64_e32 v[30:31], v[24:25], v[28:29]
	v_add_f64_e32 v[60:61], v[60:61], v[32:33]
	s_delay_alu instid0(VALU_DEP_2) | instskip(SKIP_1) | instid1(VALU_DEP_2)
	v_fma_f64 v[30:31], v[22:23], v[26:27], -v[30:31]
	v_mul_f64_e32 v[22:23], v[22:23], v[28:29]
	v_add_f64_e32 v[34:35], v[34:35], v[30:31]
	s_delay_alu instid0(VALU_DEP_2) | instskip(NEXT) | instid1(VALU_DEP_1)
	v_fmac_f64_e32 v[22:23], v[24:25], v[26:27]
	v_add_f64_e32 v[36:37], v[22:23], v[36:37]
	ds_load_b128 v[22:25], v44 offset:512
	s_wait_dscnt 0x0
	v_mul_f64_e32 v[26:27], v[48:49], v[24:25]
	v_mul_f64_e32 v[28:29], v[46:47], v[24:25]
	s_delay_alu instid0(VALU_DEP_2) | instskip(NEXT) | instid1(VALU_DEP_2)
	v_fma_f64 v[26:27], v[46:47], v[22:23], -v[26:27]
	v_fmac_f64_e32 v[28:29], v[48:49], v[22:23]
	s_delay_alu instid0(VALU_DEP_2) | instskip(NEXT) | instid1(VALU_DEP_2)
	v_add_f64_e32 v[4:5], v[4:5], v[26:27]
	v_add_f64_e32 v[62:63], v[28:29], v[62:63]
	ds_load_b128 v[26:29], v44 offset:768
	s_wait_dscnt 0x0
	v_mul_f64_e32 v[30:31], v[48:49], v[28:29]
	v_mul_f64_e32 v[32:33], v[46:47], v[28:29]
	s_delay_alu instid0(VALU_DEP_2) | instskip(NEXT) | instid1(VALU_DEP_2)
	v_fma_f64 v[30:31], v[46:47], v[26:27], -v[30:31]
	v_fmac_f64_e32 v[32:33], v[48:49], v[26:27]
	s_delay_alu instid0(VALU_DEP_2) | instskip(NEXT) | instid1(VALU_DEP_2)
	v_add_f64_e32 v[40:41], v[40:41], v[30:31]
	v_add_f64_e32 v[38:39], v[32:33], v[38:39]
	ds_load_b128 v[30:33], v45 offset:2064
	s_wait_dscnt 0x0
	v_mul_f64_e32 v[46:47], v[32:33], v[24:25]
	v_mul_f64_e32 v[24:25], v[30:31], v[24:25]
	s_delay_alu instid0(VALU_DEP_2) | instskip(NEXT) | instid1(VALU_DEP_2)
	v_fma_f64 v[46:47], v[30:31], v[22:23], -v[46:47]
	v_fmac_f64_e32 v[24:25], v[32:33], v[22:23]
	v_mul_f64_e32 v[22:23], v[32:33], v[28:29]
	s_delay_alu instid0(VALU_DEP_3) | instskip(NEXT) | instid1(VALU_DEP_3)
	v_add_f64_e32 v[46:47], v[58:59], v[46:47]
	v_add_f64_e32 v[48:49], v[24:25], v[60:61]
	v_mul_f64_e32 v[24:25], v[30:31], v[28:29]
	s_delay_alu instid0(VALU_DEP_4) | instskip(NEXT) | instid1(VALU_DEP_2)
	v_fma_f64 v[22:23], v[30:31], v[26:27], -v[22:23]
	v_fmac_f64_e32 v[24:25], v[32:33], v[26:27]
	s_delay_alu instid0(VALU_DEP_2) | instskip(NEXT) | instid1(VALU_DEP_2)
	v_add_f64_e32 v[34:35], v[34:35], v[22:23]
	v_add_f64_e32 v[36:37], v[24:25], v[36:37]
	ds_load_b128 v[22:25], v44 offset:1024
	s_wait_dscnt 0x0
	v_mul_f64_e32 v[26:27], v[52:53], v[24:25]
	v_mul_f64_e32 v[28:29], v[50:51], v[24:25]
	s_delay_alu instid0(VALU_DEP_2) | instskip(NEXT) | instid1(VALU_DEP_2)
	v_fma_f64 v[26:27], v[50:51], v[22:23], -v[26:27]
	v_fmac_f64_e32 v[28:29], v[52:53], v[22:23]
	s_delay_alu instid0(VALU_DEP_2) | instskip(NEXT) | instid1(VALU_DEP_2)
	v_add_f64_e32 v[4:5], v[4:5], v[26:27]
	v_add_f64_e32 v[58:59], v[28:29], v[62:63]
	ds_load_b128 v[26:29], v44 offset:1280
	s_wait_dscnt 0x0
	v_mul_f64_e32 v[30:31], v[52:53], v[28:29]
	v_mul_f64_e32 v[32:33], v[50:51], v[28:29]
	s_delay_alu instid0(VALU_DEP_2) | instskip(NEXT) | instid1(VALU_DEP_2)
	v_fma_f64 v[30:31], v[50:51], v[26:27], -v[30:31]
	v_fmac_f64_e32 v[32:33], v[52:53], v[26:27]
	s_delay_alu instid0(VALU_DEP_2) | instskip(NEXT) | instid1(VALU_DEP_2)
	v_add_f64_e32 v[40:41], v[40:41], v[30:31]
	v_add_f64_e32 v[38:39], v[32:33], v[38:39]
	ds_load_b128 v[30:33], v45 offset:2080
	s_wait_dscnt 0x0
	v_mul_f64_e32 v[50:51], v[32:33], v[24:25]
	v_mul_f64_e32 v[24:25], v[30:31], v[24:25]
	s_delay_alu instid0(VALU_DEP_2) | instskip(NEXT) | instid1(VALU_DEP_2)
	v_fma_f64 v[50:51], v[30:31], v[22:23], -v[50:51]
	v_fmac_f64_e32 v[24:25], v[32:33], v[22:23]
	v_mul_f64_e32 v[22:23], v[32:33], v[28:29]
	s_delay_alu instid0(VALU_DEP_3) | instskip(NEXT) | instid1(VALU_DEP_3)
	v_add_f64_e32 v[46:47], v[46:47], v[50:51]
	v_add_f64_e32 v[48:49], v[24:25], v[48:49]
	v_mul_f64_e32 v[24:25], v[30:31], v[28:29]
	s_delay_alu instid0(VALU_DEP_4) | instskip(NEXT) | instid1(VALU_DEP_2)
	v_fma_f64 v[22:23], v[30:31], v[26:27], -v[22:23]
	v_fmac_f64_e32 v[24:25], v[32:33], v[26:27]
	s_delay_alu instid0(VALU_DEP_2) | instskip(NEXT) | instid1(VALU_DEP_2)
	v_add_f64_e32 v[34:35], v[34:35], v[22:23]
	;; [unrolled: 38-line block ×3, first 2 shown]
	v_add_f64_e32 v[36:37], v[24:25], v[36:37]
	ds_load_b128 v[22:25], v45 offset:64
	ds_load_b128 v[26:29], v44 offset:2048
	s_wait_dscnt 0x0
	v_mul_f64_e32 v[30:31], v[24:25], v[28:29]
	v_mul_f64_e32 v[32:33], v[22:23], v[28:29]
	s_delay_alu instid0(VALU_DEP_2) | instskip(NEXT) | instid1(VALU_DEP_2)
	v_fma_f64 v[30:31], v[22:23], v[26:27], -v[30:31]
	v_fmac_f64_e32 v[32:33], v[24:25], v[26:27]
	s_delay_alu instid0(VALU_DEP_2) | instskip(NEXT) | instid1(VALU_DEP_2)
	v_add_f64_e32 v[4:5], v[4:5], v[30:31]
	v_add_f64_e32 v[50:51], v[32:33], v[50:51]
	ds_load_b128 v[30:33], v44 offset:2304
	s_wait_dscnt 0x0
	v_mul_f64_e32 v[52:53], v[24:25], v[32:33]
	s_delay_alu instid0(VALU_DEP_1) | instskip(SKIP_1) | instid1(VALU_DEP_2)
	v_fma_f64 v[52:53], v[22:23], v[30:31], -v[52:53]
	v_mul_f64_e32 v[22:23], v[22:23], v[32:33]
	v_add_f64_e32 v[40:41], v[40:41], v[52:53]
	s_delay_alu instid0(VALU_DEP_2) | instskip(NEXT) | instid1(VALU_DEP_1)
	v_fmac_f64_e32 v[22:23], v[24:25], v[30:31]
	v_add_f64_e32 v[38:39], v[22:23], v[38:39]
	ds_load_b128 v[22:25], v45 offset:2112
	s_wait_dscnt 0x0
	v_mul_f64_e32 v[52:53], v[24:25], v[28:29]
	v_mul_f64_e32 v[28:29], v[22:23], v[28:29]
	s_delay_alu instid0(VALU_DEP_2) | instskip(NEXT) | instid1(VALU_DEP_2)
	v_fma_f64 v[52:53], v[22:23], v[26:27], -v[52:53]
	v_fmac_f64_e32 v[28:29], v[24:25], v[26:27]
	v_mul_f64_e32 v[26:27], v[24:25], v[32:33]
	s_delay_alu instid0(VALU_DEP_3) | instskip(NEXT) | instid1(VALU_DEP_3)
	v_add_f64_e32 v[46:47], v[46:47], v[52:53]
	v_add_f64_e32 v[48:49], v[28:29], v[48:49]
	s_delay_alu instid0(VALU_DEP_3) | instskip(SKIP_1) | instid1(VALU_DEP_2)
	v_fma_f64 v[26:27], v[22:23], v[30:31], -v[26:27]
	v_mul_f64_e32 v[22:23], v[22:23], v[32:33]
	v_add_f64_e32 v[34:35], v[34:35], v[26:27]
	s_delay_alu instid0(VALU_DEP_2) | instskip(NEXT) | instid1(VALU_DEP_1)
	v_fmac_f64_e32 v[22:23], v[24:25], v[30:31]
	v_add_f64_e32 v[36:37], v[22:23], v[36:37]
	ds_load_b128 v[22:25], v45 offset:80
	ds_load_b128 v[26:29], v44 offset:2560
	s_wait_dscnt 0x0
	v_mul_f64_e32 v[30:31], v[24:25], v[28:29]
	v_mul_f64_e32 v[32:33], v[22:23], v[28:29]
	s_delay_alu instid0(VALU_DEP_2) | instskip(NEXT) | instid1(VALU_DEP_2)
	v_fma_f64 v[30:31], v[22:23], v[26:27], -v[30:31]
	v_fmac_f64_e32 v[32:33], v[24:25], v[26:27]
	s_delay_alu instid0(VALU_DEP_2) | instskip(NEXT) | instid1(VALU_DEP_2)
	v_add_f64_e32 v[4:5], v[4:5], v[30:31]
	v_add_f64_e32 v[50:51], v[32:33], v[50:51]
	ds_load_b128 v[30:33], v44 offset:2816
	s_wait_dscnt 0x0
	v_mul_f64_e32 v[52:53], v[24:25], v[32:33]
	s_delay_alu instid0(VALU_DEP_1) | instskip(SKIP_1) | instid1(VALU_DEP_2)
	v_fma_f64 v[52:53], v[22:23], v[30:31], -v[52:53]
	v_mul_f64_e32 v[22:23], v[22:23], v[32:33]
	v_add_f64_e32 v[40:41], v[40:41], v[52:53]
	s_delay_alu instid0(VALU_DEP_2) | instskip(NEXT) | instid1(VALU_DEP_1)
	v_fmac_f64_e32 v[22:23], v[24:25], v[30:31]
	v_add_f64_e32 v[38:39], v[22:23], v[38:39]
	ds_load_b128 v[22:25], v45 offset:2128
	s_wait_dscnt 0x0
	v_mul_f64_e32 v[52:53], v[24:25], v[28:29]
	v_mul_f64_e32 v[28:29], v[22:23], v[28:29]
	s_delay_alu instid0(VALU_DEP_2) | instskip(NEXT) | instid1(VALU_DEP_2)
	v_fma_f64 v[52:53], v[22:23], v[26:27], -v[52:53]
	v_fmac_f64_e32 v[28:29], v[24:25], v[26:27]
	v_mul_f64_e32 v[26:27], v[24:25], v[32:33]
	s_delay_alu instid0(VALU_DEP_3) | instskip(NEXT) | instid1(VALU_DEP_3)
	v_add_f64_e32 v[46:47], v[46:47], v[52:53]
	v_add_f64_e32 v[48:49], v[28:29], v[48:49]
	s_delay_alu instid0(VALU_DEP_3) | instskip(SKIP_1) | instid1(VALU_DEP_2)
	v_fma_f64 v[26:27], v[22:23], v[30:31], -v[26:27]
	v_mul_f64_e32 v[22:23], v[22:23], v[32:33]
	v_add_f64_e32 v[34:35], v[34:35], v[26:27]
	s_delay_alu instid0(VALU_DEP_2) | instskip(NEXT) | instid1(VALU_DEP_1)
	v_fmac_f64_e32 v[22:23], v[24:25], v[30:31]
	;; [unrolled: 39-line block ×3, first 2 shown]
	v_add_f64_e32 v[54:55], v[22:23], v[36:37]
	ds_load_b128 v[22:25], v45 offset:112
	ds_load_b128 v[30:33], v44 offset:3584
	;; [unrolled: 1-line block ×3, first 2 shown]
	s_wait_dscnt 0x1
	v_mul_f64_e32 v[26:27], v[24:25], v[32:33]
	v_mul_f64_e32 v[28:29], v[22:23], v[32:33]
	s_delay_alu instid0(VALU_DEP_2) | instskip(NEXT) | instid1(VALU_DEP_2)
	v_fma_f64 v[26:27], v[22:23], v[30:31], -v[26:27]
	v_fmac_f64_e32 v[28:29], v[24:25], v[30:31]
	s_delay_alu instid0(VALU_DEP_2) | instskip(NEXT) | instid1(VALU_DEP_2)
	v_add_f64_e32 v[26:27], v[4:5], v[26:27]
	v_add_f64_e32 v[28:29], v[28:29], v[50:51]
	s_wait_dscnt 0x0
	v_mul_f64_e32 v[4:5], v[24:25], v[36:37]
	v_mul_f64_e32 v[50:51], v[22:23], v[36:37]
	s_delay_alu instid0(VALU_DEP_2) | instskip(NEXT) | instid1(VALU_DEP_2)
	v_fma_f64 v[4:5], v[22:23], v[34:35], -v[4:5]
	v_fmac_f64_e32 v[50:51], v[24:25], v[34:35]
	s_delay_alu instid0(VALU_DEP_2) | instskip(NEXT) | instid1(VALU_DEP_2)
	v_add_f64_e32 v[22:23], v[40:41], v[4:5]
	v_add_f64_e32 v[24:25], v[50:51], v[38:39]
	ds_load_b128 v[38:41], v45 offset:2160
	s_wait_dscnt 0x0
	s_barrier_signal -1
	s_barrier_wait -1
	v_mul_f64_e32 v[4:5], v[40:41], v[32:33]
	v_mul_f64_e32 v[32:33], v[38:39], v[32:33]
	s_delay_alu instid0(VALU_DEP_2) | instskip(NEXT) | instid1(VALU_DEP_2)
	v_fma_f64 v[4:5], v[38:39], v[30:31], -v[4:5]
	v_fmac_f64_e32 v[32:33], v[40:41], v[30:31]
	s_delay_alu instid0(VALU_DEP_2) | instskip(SKIP_2) | instid1(VALU_DEP_4)
	v_add_f64_e32 v[30:31], v[46:47], v[4:5]
	v_mul_f64_e32 v[4:5], v[40:41], v[36:37]
	v_mul_f64_e32 v[36:37], v[38:39], v[36:37]
	v_add_f64_e32 v[32:33], v[32:33], v[48:49]
	s_delay_alu instid0(VALU_DEP_3) | instskip(NEXT) | instid1(VALU_DEP_3)
	v_fma_f64 v[4:5], v[38:39], v[34:35], -v[4:5]
	v_fmac_f64_e32 v[36:37], v[40:41], v[34:35]
	s_delay_alu instid0(VALU_DEP_2) | instskip(NEXT) | instid1(VALU_DEP_2)
	v_add_f64_e32 v[34:35], v[52:53], v[4:5]
	v_add_f64_e32 v[36:37], v[36:37], v[54:55]
	s_cbranch_vccz .LBB547_16
.LBB547_7:                              ;   Parent Loop BB547_4 Depth=1
                                        ; =>  This Inner Loop Header: Depth=2
	v_add_nc_u64_e32 v[4:5], s[4:5], v[6:7]
	s_delay_alu instid0(VALU_DEP_1) | instskip(SKIP_1) | instid1(SALU_CYCLE_1)
	v_cmp_le_i64_e32 vcc_lo, s[12:13], v[4:5]
	s_or_b32 s34, s23, vcc_lo
	s_and_saveexec_b32 s35, s34
	s_delay_alu instid0(SALU_CYCLE_1)
	s_xor_b32 s34, exec_lo, s35
; %bb.8:                                ;   in Loop: Header=BB547_7 Depth=2
	v_dual_mov_b32 v3, v2 :: v_dual_mov_b32 v4, v2
	v_mov_b32_e32 v5, v2
	ds_store_b128 v42, v[2:5]
; %bb.9:                                ;   in Loop: Header=BB547_7 Depth=2
	s_and_not1_saveexec_b32 s34, s34
	s_cbranch_execz .LBB547_11
; %bb.10:                               ;   in Loop: Header=BB547_7 Depth=2
	global_load_b128 v[38:41], v[20:21], off
	s_wait_loadcnt 0x0
	ds_store_2addr_b64 v42, v[38:39], v[40:41] offset1:1
.LBB547_11:                             ;   in Loop: Header=BB547_7 Depth=2
	s_wait_xcnt 0x0
	s_or_b32 exec_lo, exec_lo, s34
	v_add_nc_u64_e32 v[4:5], s[4:5], v[0:1]
	s_delay_alu instid0(VALU_DEP_1) | instskip(SKIP_1) | instid1(SALU_CYCLE_1)
	v_cmp_le_i64_e32 vcc_lo, s[12:13], v[4:5]
	s_or_b32 s34, vcc_lo, s33
	s_and_saveexec_b32 s35, s34
	s_delay_alu instid0(SALU_CYCLE_1)
	s_xor_b32 s34, exec_lo, s35
; %bb.12:                               ;   in Loop: Header=BB547_7 Depth=2
	v_dual_mov_b32 v3, v2 :: v_dual_mov_b32 v4, v2
	v_mov_b32_e32 v5, v2
	ds_store_b128 v43, v[2:5]
; %bb.13:                               ;   in Loop: Header=BB547_7 Depth=2
	s_and_not1_saveexec_b32 s34, s34
	s_cbranch_execz .LBB547_6
; %bb.14:                               ;   in Loop: Header=BB547_7 Depth=2
	global_load_b128 v[38:41], v[18:19], off
	s_wait_loadcnt 0x0
	ds_store_2addr_b64 v43, v[38:39], v[40:41] offset1:1
	s_branch .LBB547_6
.LBB547_15:                             ;   in Loop: Header=BB547_4 Depth=1
	v_mov_b64_e32 v[26:27], 0
	v_mov_b64_e32 v[28:29], 0
	v_mov_b64_e32 v[22:23], 0
	v_mov_b64_e32 v[24:25], 0
	v_mov_b64_e32 v[30:31], 0
	v_mov_b64_e32 v[32:33], 0
	v_mov_b64_e32 v[34:35], 0
	v_mov_b64_e32 v[36:37], 0
.LBB547_16:                             ;   in Loop: Header=BB547_4 Depth=1
	s_mul_u64 s[4:5], s[28:29], s[6:7]
	s_and_not1_b32 vcc_lo, exec_lo, s31
	s_lshl_b64 s[4:5], s[4:5], 4
	s_mov_b32 s34, -1
	s_add_nc_u64 s[4:5], s[24:25], s[4:5]
	s_cbranch_vccz .LBB547_18
; %bb.17:                               ;   in Loop: Header=BB547_4 Depth=1
	s_and_not1_b32 vcc_lo, exec_lo, s34
	s_cbranch_vccnz .LBB547_3
	s_branch .LBB547_29
.LBB547_18:                             ;   in Loop: Header=BB547_4 Depth=1
	s_and_saveexec_b32 s34, s0
	s_cbranch_execz .LBB547_28
; %bb.19:                               ;   in Loop: Header=BB547_4 Depth=1
	v_lshl_add_u64 v[4:5], v[10:11], 4, s[4:5]
	s_delay_alu instid0(VALU_DEP_1)
	v_lshl_add_u64 v[18:19], v[8:9], 4, v[4:5]
	s_and_saveexec_b32 s35, s1
	s_cbranch_execnz .LBB547_22
; %bb.20:                               ;   in Loop: Header=BB547_4 Depth=1
	s_or_b32 exec_lo, exec_lo, s35
	s_and_saveexec_b32 s35, s2
	s_cbranch_execnz .LBB547_23
.LBB547_21:                             ;   in Loop: Header=BB547_4 Depth=1
	s_or_b32 exec_lo, exec_lo, s35
	s_delay_alu instid0(SALU_CYCLE_1)
	s_and_b32 exec_lo, exec_lo, s3
	s_cbranch_execnz .LBB547_24
	s_branch .LBB547_28
.LBB547_22:                             ;   in Loop: Header=BB547_4 Depth=1
	v_mul_f64_e32 v[20:21], s[16:17], v[28:29]
	v_mul_f64_e32 v[40:41], s[14:15], v[28:29]
	s_delay_alu instid0(VALU_DEP_2) | instskip(NEXT) | instid1(VALU_DEP_2)
	v_fma_f64 v[38:39], s[14:15], v[26:27], -v[20:21]
	v_fmac_f64_e32 v[40:41], s[16:17], v[26:27]
	global_store_b128 v[18:19], v[38:41], off
	s_wait_xcnt 0x0
	s_or_b32 exec_lo, exec_lo, s35
	s_and_saveexec_b32 s35, s2
	s_cbranch_execz .LBB547_21
.LBB547_23:                             ;   in Loop: Header=BB547_4 Depth=1
	v_mul_f64_e32 v[20:21], s[16:17], v[24:25]
	v_mul_f64_e32 v[40:41], s[14:15], v[24:25]
	s_delay_alu instid0(VALU_DEP_2) | instskip(NEXT) | instid1(VALU_DEP_2)
	v_fma_f64 v[38:39], s[14:15], v[22:23], -v[20:21]
	v_fmac_f64_e32 v[40:41], s[16:17], v[22:23]
	global_store_b128 v[18:19], v[38:41], off offset:256
	s_wait_xcnt 0x0
	s_or_b32 exec_lo, exec_lo, s35
	s_delay_alu instid0(SALU_CYCLE_1)
	s_and_b32 exec_lo, exec_lo, s3
	s_cbranch_execz .LBB547_28
.LBB547_24:                             ;   in Loop: Header=BB547_4 Depth=1
	v_lshl_add_u64 v[4:5], s[8:9], 4, v[4:5]
	s_delay_alu instid0(VALU_DEP_1)
	v_lshl_add_u64 v[4:5], v[8:9], 4, v[4:5]
	s_and_saveexec_b32 s35, s1
	s_cbranch_execz .LBB547_26
; %bb.25:                               ;   in Loop: Header=BB547_4 Depth=1
	v_mul_f64_e32 v[18:19], s[16:17], v[32:33]
	v_mul_f64_e32 v[20:21], s[14:15], v[32:33]
	s_delay_alu instid0(VALU_DEP_2) | instskip(NEXT) | instid1(VALU_DEP_2)
	v_fma_f64 v[18:19], s[14:15], v[30:31], -v[18:19]
	v_fmac_f64_e32 v[20:21], s[16:17], v[30:31]
	global_store_b128 v[4:5], v[18:21], off
.LBB547_26:                             ;   in Loop: Header=BB547_4 Depth=1
	s_wait_xcnt 0x0
	s_or_b32 exec_lo, exec_lo, s35
	s_delay_alu instid0(SALU_CYCLE_1)
	s_and_b32 exec_lo, exec_lo, s2
	s_cbranch_execz .LBB547_28
; %bb.27:                               ;   in Loop: Header=BB547_4 Depth=1
	v_mul_f64_e32 v[18:19], s[16:17], v[36:37]
	v_mul_f64_e32 v[20:21], s[14:15], v[36:37]
	s_delay_alu instid0(VALU_DEP_2) | instskip(NEXT) | instid1(VALU_DEP_2)
	v_fma_f64 v[18:19], s[14:15], v[34:35], -v[18:19]
	v_fmac_f64_e32 v[20:21], s[16:17], v[34:35]
	global_store_b128 v[4:5], v[18:21], off offset:256
.LBB547_28:                             ;   in Loop: Header=BB547_4 Depth=1
	s_wait_xcnt 0x0
	s_or_b32 exec_lo, exec_lo, s34
	s_cbranch_execnz .LBB547_3
.LBB547_29:                             ;   in Loop: Header=BB547_4 Depth=1
	s_and_saveexec_b32 s34, s0
	s_cbranch_execz .LBB547_2
; %bb.30:                               ;   in Loop: Header=BB547_4 Depth=1
	s_mul_u64 s[36:37], s[50:51], s[6:7]
	v_lshlrev_b64_e32 v[4:5], 4, v[8:9]
	v_lshl_add_u64 v[18:19], s[36:37], 4, v[12:13]
	v_lshl_add_u64 v[20:21], v[10:11], 4, s[4:5]
	s_delay_alu instid0(VALU_DEP_2) | instskip(NEXT) | instid1(VALU_DEP_2)
	v_add_nc_u64_e32 v[40:41], v[18:19], v[4:5]
	v_add_nc_u64_e32 v[38:39], v[20:21], v[4:5]
	s_and_saveexec_b32 s4, s1
	s_cbranch_execnz .LBB547_33
; %bb.31:                               ;   in Loop: Header=BB547_4 Depth=1
	s_or_b32 exec_lo, exec_lo, s4
	s_and_saveexec_b32 s4, s2
	s_cbranch_execnz .LBB547_34
.LBB547_32:                             ;   in Loop: Header=BB547_4 Depth=1
	s_or_b32 exec_lo, exec_lo, s4
	s_delay_alu instid0(SALU_CYCLE_1)
	s_and_b32 exec_lo, exec_lo, s3
	s_cbranch_execz .LBB547_2
	s_branch .LBB547_35
.LBB547_33:                             ;   in Loop: Header=BB547_4 Depth=1
	global_load_b128 v[46:49], v[40:41], off
	v_mul_f64_e32 v[50:51], s[16:17], v[28:29]
	v_mul_f64_e32 v[28:29], s[14:15], v[28:29]
	s_delay_alu instid0(VALU_DEP_2) | instskip(NEXT) | instid1(VALU_DEP_2)
	v_fma_f64 v[50:51], s[14:15], v[26:27], -v[50:51]
	v_fmac_f64_e32 v[28:29], s[16:17], v[26:27]
	s_wait_loadcnt 0x0
	v_mul_f64_e32 v[52:53], s[44:45], v[48:49]
	v_mul_f64_e32 v[48:49], s[42:43], v[48:49]
	s_delay_alu instid0(VALU_DEP_2) | instskip(NEXT) | instid1(VALU_DEP_2)
	v_fma_f64 v[26:27], s[42:43], v[46:47], -v[52:53]
	v_fmac_f64_e32 v[48:49], s[44:45], v[46:47]
	s_delay_alu instid0(VALU_DEP_2) | instskip(NEXT) | instid1(VALU_DEP_2)
	v_add_f64_e32 v[26:27], v[50:51], v[26:27]
	v_add_f64_e32 v[28:29], v[28:29], v[48:49]
	global_store_b128 v[38:39], v[26:29], off
	s_wait_xcnt 0x0
	s_or_b32 exec_lo, exec_lo, s4
	s_and_saveexec_b32 s4, s2
	s_cbranch_execz .LBB547_32
.LBB547_34:                             ;   in Loop: Header=BB547_4 Depth=1
	global_load_b128 v[26:29], v[40:41], off offset:256
	s_wait_xcnt 0x0
	v_mul_f64_e32 v[40:41], s[16:17], v[24:25]
	v_mul_f64_e32 v[24:25], s[14:15], v[24:25]
	s_delay_alu instid0(VALU_DEP_2) | instskip(NEXT) | instid1(VALU_DEP_2)
	v_fma_f64 v[40:41], s[14:15], v[22:23], -v[40:41]
	v_fmac_f64_e32 v[24:25], s[16:17], v[22:23]
	s_wait_loadcnt 0x0
	v_mul_f64_e32 v[46:47], s[44:45], v[28:29]
	v_mul_f64_e32 v[28:29], s[42:43], v[28:29]
	s_delay_alu instid0(VALU_DEP_2) | instskip(NEXT) | instid1(VALU_DEP_2)
	v_fma_f64 v[22:23], s[42:43], v[26:27], -v[46:47]
	v_fmac_f64_e32 v[28:29], s[44:45], v[26:27]
	s_delay_alu instid0(VALU_DEP_2) | instskip(NEXT) | instid1(VALU_DEP_2)
	v_add_f64_e32 v[22:23], v[40:41], v[22:23]
	v_add_f64_e32 v[24:25], v[24:25], v[28:29]
	global_store_b128 v[38:39], v[22:25], off offset:256
	s_wait_xcnt 0x0
	s_or_b32 exec_lo, exec_lo, s4
	s_delay_alu instid0(SALU_CYCLE_1)
	s_and_b32 exec_lo, exec_lo, s3
	s_cbranch_execz .LBB547_2
.LBB547_35:                             ;   in Loop: Header=BB547_4 Depth=1
	v_lshl_add_u64 v[18:19], s[10:11], 4, v[18:19]
	v_lshl_add_u64 v[20:21], s[8:9], 4, v[20:21]
	s_delay_alu instid0(VALU_DEP_2) | instskip(NEXT) | instid1(VALU_DEP_2)
	v_add_nc_u64_e32 v[18:19], v[18:19], v[4:5]
	v_add_nc_u64_e32 v[4:5], v[20:21], v[4:5]
	s_and_saveexec_b32 s4, s1
	s_cbranch_execz .LBB547_37
; %bb.36:                               ;   in Loop: Header=BB547_4 Depth=1
	global_load_b128 v[20:23], v[18:19], off
	v_mul_f64_e32 v[24:25], s[16:17], v[32:33]
	v_mul_f64_e32 v[26:27], s[14:15], v[32:33]
	s_delay_alu instid0(VALU_DEP_2) | instskip(NEXT) | instid1(VALU_DEP_2)
	v_fma_f64 v[24:25], s[14:15], v[30:31], -v[24:25]
	v_fmac_f64_e32 v[26:27], s[16:17], v[30:31]
	s_wait_loadcnt 0x0
	v_mul_f64_e32 v[28:29], s[44:45], v[22:23]
	v_mul_f64_e32 v[22:23], s[42:43], v[22:23]
	s_delay_alu instid0(VALU_DEP_2) | instskip(NEXT) | instid1(VALU_DEP_2)
	v_fma_f64 v[28:29], s[42:43], v[20:21], -v[28:29]
	v_fmac_f64_e32 v[22:23], s[44:45], v[20:21]
	s_delay_alu instid0(VALU_DEP_2) | instskip(NEXT) | instid1(VALU_DEP_2)
	v_add_f64_e32 v[20:21], v[24:25], v[28:29]
	v_add_f64_e32 v[22:23], v[26:27], v[22:23]
	global_store_b128 v[4:5], v[20:23], off
.LBB547_37:                             ;   in Loop: Header=BB547_4 Depth=1
	s_wait_xcnt 0x0
	s_or_b32 exec_lo, exec_lo, s4
	s_delay_alu instid0(SALU_CYCLE_1)
	s_and_b32 exec_lo, exec_lo, s2
	s_cbranch_execz .LBB547_2
; %bb.38:                               ;   in Loop: Header=BB547_4 Depth=1
	global_load_b128 v[18:21], v[18:19], off offset:256
	v_mul_f64_e32 v[22:23], s[16:17], v[36:37]
	v_mul_f64_e32 v[24:25], s[14:15], v[36:37]
	s_delay_alu instid0(VALU_DEP_2) | instskip(NEXT) | instid1(VALU_DEP_2)
	v_fma_f64 v[22:23], s[14:15], v[34:35], -v[22:23]
	v_fmac_f64_e32 v[24:25], s[16:17], v[34:35]
	s_wait_loadcnt 0x0
	v_mul_f64_e32 v[26:27], s[44:45], v[20:21]
	v_mul_f64_e32 v[20:21], s[42:43], v[20:21]
	s_delay_alu instid0(VALU_DEP_2) | instskip(NEXT) | instid1(VALU_DEP_2)
	v_fma_f64 v[26:27], s[42:43], v[18:19], -v[26:27]
	v_fmac_f64_e32 v[20:21], s[44:45], v[18:19]
	s_wait_xcnt 0x0
	s_delay_alu instid0(VALU_DEP_2) | instskip(NEXT) | instid1(VALU_DEP_2)
	v_add_f64_e32 v[18:19], v[22:23], v[26:27]
	v_add_f64_e32 v[20:21], v[24:25], v[20:21]
	global_store_b128 v[4:5], v[18:21], off offset:256
	s_branch .LBB547_2
.LBB547_39:
	s_sendmsg sendmsg(MSG_DEALLOC_VGPRS)
	s_endpgm
	.section	.rodata,"a",@progbits
	.p2align	6, 0x0
	.amdhsa_kernel _ZN12_GLOBAL__N_135rocblas_gemm_batched_general_kernelI19rocblas_complex_numIdELi16ELi16ELi32ELi32ELi8ELi32ELi8ELi8ELi32ELc78ELc78EKS2_S3_S2_EEvlllT_PT11_llS6_llS4_PT12_llPT13_lli
		.amdhsa_group_segment_fixed_size 8192
		.amdhsa_private_segment_fixed_size 0
		.amdhsa_kernarg_size 156
		.amdhsa_user_sgpr_count 2
		.amdhsa_user_sgpr_dispatch_ptr 0
		.amdhsa_user_sgpr_queue_ptr 0
		.amdhsa_user_sgpr_kernarg_segment_ptr 1
		.amdhsa_user_sgpr_dispatch_id 0
		.amdhsa_user_sgpr_kernarg_preload_length 0
		.amdhsa_user_sgpr_kernarg_preload_offset 0
		.amdhsa_user_sgpr_private_segment_size 0
		.amdhsa_wavefront_size32 1
		.amdhsa_uses_dynamic_stack 0
		.amdhsa_enable_private_segment 0
		.amdhsa_system_sgpr_workgroup_id_x 1
		.amdhsa_system_sgpr_workgroup_id_y 1
		.amdhsa_system_sgpr_workgroup_id_z 1
		.amdhsa_system_sgpr_workgroup_info 0
		.amdhsa_system_vgpr_workitem_id 1
		.amdhsa_next_free_vgpr 66
		.amdhsa_next_free_sgpr 52
		.amdhsa_named_barrier_count 0
		.amdhsa_reserve_vcc 1
		.amdhsa_float_round_mode_32 0
		.amdhsa_float_round_mode_16_64 0
		.amdhsa_float_denorm_mode_32 3
		.amdhsa_float_denorm_mode_16_64 3
		.amdhsa_fp16_overflow 0
		.amdhsa_memory_ordered 1
		.amdhsa_forward_progress 1
		.amdhsa_inst_pref_size 26
		.amdhsa_round_robin_scheduling 0
		.amdhsa_exception_fp_ieee_invalid_op 0
		.amdhsa_exception_fp_denorm_src 0
		.amdhsa_exception_fp_ieee_div_zero 0
		.amdhsa_exception_fp_ieee_overflow 0
		.amdhsa_exception_fp_ieee_underflow 0
		.amdhsa_exception_fp_ieee_inexact 0
		.amdhsa_exception_int_div_zero 0
	.end_amdhsa_kernel
	.section	.text._ZN12_GLOBAL__N_135rocblas_gemm_batched_general_kernelI19rocblas_complex_numIdELi16ELi16ELi32ELi32ELi8ELi32ELi8ELi8ELi32ELc78ELc78EKS2_S3_S2_EEvlllT_PT11_llS6_llS4_PT12_llPT13_lli,"axG",@progbits,_ZN12_GLOBAL__N_135rocblas_gemm_batched_general_kernelI19rocblas_complex_numIdELi16ELi16ELi32ELi32ELi8ELi32ELi8ELi8ELi32ELc78ELc78EKS2_S3_S2_EEvlllT_PT11_llS6_llS4_PT12_llPT13_lli,comdat
.Lfunc_end547:
	.size	_ZN12_GLOBAL__N_135rocblas_gemm_batched_general_kernelI19rocblas_complex_numIdELi16ELi16ELi32ELi32ELi8ELi32ELi8ELi8ELi32ELc78ELc78EKS2_S3_S2_EEvlllT_PT11_llS6_llS4_PT12_llPT13_lli, .Lfunc_end547-_ZN12_GLOBAL__N_135rocblas_gemm_batched_general_kernelI19rocblas_complex_numIdELi16ELi16ELi32ELi32ELi8ELi32ELi8ELi8ELi32ELc78ELc78EKS2_S3_S2_EEvlllT_PT11_llS6_llS4_PT12_llPT13_lli
                                        ; -- End function
	.set _ZN12_GLOBAL__N_135rocblas_gemm_batched_general_kernelI19rocblas_complex_numIdELi16ELi16ELi32ELi32ELi8ELi32ELi8ELi8ELi32ELc78ELc78EKS2_S3_S2_EEvlllT_PT11_llS6_llS4_PT12_llPT13_lli.num_vgpr, 66
	.set _ZN12_GLOBAL__N_135rocblas_gemm_batched_general_kernelI19rocblas_complex_numIdELi16ELi16ELi32ELi32ELi8ELi32ELi8ELi8ELi32ELc78ELc78EKS2_S3_S2_EEvlllT_PT11_llS6_llS4_PT12_llPT13_lli.num_agpr, 0
	.set _ZN12_GLOBAL__N_135rocblas_gemm_batched_general_kernelI19rocblas_complex_numIdELi16ELi16ELi32ELi32ELi8ELi32ELi8ELi8ELi32ELc78ELc78EKS2_S3_S2_EEvlllT_PT11_llS6_llS4_PT12_llPT13_lli.numbered_sgpr, 52
	.set _ZN12_GLOBAL__N_135rocblas_gemm_batched_general_kernelI19rocblas_complex_numIdELi16ELi16ELi32ELi32ELi8ELi32ELi8ELi8ELi32ELc78ELc78EKS2_S3_S2_EEvlllT_PT11_llS6_llS4_PT12_llPT13_lli.num_named_barrier, 0
	.set _ZN12_GLOBAL__N_135rocblas_gemm_batched_general_kernelI19rocblas_complex_numIdELi16ELi16ELi32ELi32ELi8ELi32ELi8ELi8ELi32ELc78ELc78EKS2_S3_S2_EEvlllT_PT11_llS6_llS4_PT12_llPT13_lli.private_seg_size, 0
	.set _ZN12_GLOBAL__N_135rocblas_gemm_batched_general_kernelI19rocblas_complex_numIdELi16ELi16ELi32ELi32ELi8ELi32ELi8ELi8ELi32ELc78ELc78EKS2_S3_S2_EEvlllT_PT11_llS6_llS4_PT12_llPT13_lli.uses_vcc, 1
	.set _ZN12_GLOBAL__N_135rocblas_gemm_batched_general_kernelI19rocblas_complex_numIdELi16ELi16ELi32ELi32ELi8ELi32ELi8ELi8ELi32ELc78ELc78EKS2_S3_S2_EEvlllT_PT11_llS6_llS4_PT12_llPT13_lli.uses_flat_scratch, 0
	.set _ZN12_GLOBAL__N_135rocblas_gemm_batched_general_kernelI19rocblas_complex_numIdELi16ELi16ELi32ELi32ELi8ELi32ELi8ELi8ELi32ELc78ELc78EKS2_S3_S2_EEvlllT_PT11_llS6_llS4_PT12_llPT13_lli.has_dyn_sized_stack, 0
	.set _ZN12_GLOBAL__N_135rocblas_gemm_batched_general_kernelI19rocblas_complex_numIdELi16ELi16ELi32ELi32ELi8ELi32ELi8ELi8ELi32ELc78ELc78EKS2_S3_S2_EEvlllT_PT11_llS6_llS4_PT12_llPT13_lli.has_recursion, 0
	.set _ZN12_GLOBAL__N_135rocblas_gemm_batched_general_kernelI19rocblas_complex_numIdELi16ELi16ELi32ELi32ELi8ELi32ELi8ELi8ELi32ELc78ELc78EKS2_S3_S2_EEvlllT_PT11_llS6_llS4_PT12_llPT13_lli.has_indirect_call, 0
	.section	.AMDGPU.csdata,"",@progbits
; Kernel info:
; codeLenInByte = 3292
; TotalNumSgprs: 54
; NumVgprs: 66
; ScratchSize: 0
; MemoryBound: 0
; FloatMode: 240
; IeeeMode: 1
; LDSByteSize: 8192 bytes/workgroup (compile time only)
; SGPRBlocks: 0
; VGPRBlocks: 4
; NumSGPRsForWavesPerEU: 54
; NumVGPRsForWavesPerEU: 66
; NamedBarCnt: 0
; Occupancy: 12
; WaveLimiterHint : 0
; COMPUTE_PGM_RSRC2:SCRATCH_EN: 0
; COMPUTE_PGM_RSRC2:USER_SGPR: 2
; COMPUTE_PGM_RSRC2:TRAP_HANDLER: 0
; COMPUTE_PGM_RSRC2:TGID_X_EN: 1
; COMPUTE_PGM_RSRC2:TGID_Y_EN: 1
; COMPUTE_PGM_RSRC2:TGID_Z_EN: 1
; COMPUTE_PGM_RSRC2:TIDIG_COMP_CNT: 1
	.section	.text._ZN12_GLOBAL__N_135rocblas_gemm_batched_general_kernelI19rocblas_complex_numIdELi16ELi16ELi32ELi32ELi8ELi32ELi8ELi8ELi32ELc84ELc78EKS2_S3_S2_EEvlllT_PT11_llS6_llS4_PT12_llPT13_lli,"axG",@progbits,_ZN12_GLOBAL__N_135rocblas_gemm_batched_general_kernelI19rocblas_complex_numIdELi16ELi16ELi32ELi32ELi8ELi32ELi8ELi8ELi32ELc84ELc78EKS2_S3_S2_EEvlllT_PT11_llS6_llS4_PT12_llPT13_lli,comdat
	.globl	_ZN12_GLOBAL__N_135rocblas_gemm_batched_general_kernelI19rocblas_complex_numIdELi16ELi16ELi32ELi32ELi8ELi32ELi8ELi8ELi32ELc84ELc78EKS2_S3_S2_EEvlllT_PT11_llS6_llS4_PT12_llPT13_lli ; -- Begin function _ZN12_GLOBAL__N_135rocblas_gemm_batched_general_kernelI19rocblas_complex_numIdELi16ELi16ELi32ELi32ELi8ELi32ELi8ELi8ELi32ELc84ELc78EKS2_S3_S2_EEvlllT_PT11_llS6_llS4_PT12_llPT13_lli
	.p2align	8
	.type	_ZN12_GLOBAL__N_135rocblas_gemm_batched_general_kernelI19rocblas_complex_numIdELi16ELi16ELi32ELi32ELi8ELi32ELi8ELi8ELi32ELc84ELc78EKS2_S3_S2_EEvlllT_PT11_llS6_llS4_PT12_llPT13_lli,@function
_ZN12_GLOBAL__N_135rocblas_gemm_batched_general_kernelI19rocblas_complex_numIdELi16ELi16ELi32ELi32ELi8ELi32ELi8ELi8ELi32ELc84ELc78EKS2_S3_S2_EEvlllT_PT11_llS6_llS4_PT12_llPT13_lli: ; @_ZN12_GLOBAL__N_135rocblas_gemm_batched_general_kernelI19rocblas_complex_numIdELi16ELi16ELi32ELi32ELi8ELi32ELi8ELi8ELi32ELc84ELc78EKS2_S3_S2_EEvlllT_PT11_llS6_llS4_PT12_llPT13_lli
; %bb.0:
	s_load_b32 s28, s[0:1], 0x98
	s_bfe_u32 s2, ttmp6, 0x40014
	s_lshr_b32 s3, ttmp7, 16
	s_add_co_i32 s2, s2, 1
	s_bfe_u32 s5, ttmp6, 0x40008
	s_mul_i32 s4, s3, s2
	s_getreg_b32 s2, hwreg(HW_REG_IB_STS2, 6, 4)
	s_add_co_i32 s5, s5, s4
	s_cmp_eq_u32 s2, 0
	s_mov_b32 s7, 0
	s_cselect_b32 s6, s3, s5
	s_wait_kmcnt 0x0
	s_cmp_ge_i32 s6, s28
	s_cbranch_scc1 .LBB548_39
; %bb.1:
	s_bfe_u32 s4, ttmp6, 0x4000c
	s_bfe_u32 s5, ttmp6, 0x40010
	s_add_co_i32 s4, s4, 1
	s_and_b32 s24, ttmp7, 0xffff
	s_add_co_i32 s5, s5, 1
	v_bfe_u32 v4, v0, 10, 10
	v_and_b32_e32 v12, 0x3ff, v0
	s_and_b32 s3, ttmp6, 15
	s_mul_i32 s4, ttmp9, s4
	s_mul_i32 s5, s24, s5
	s_bfe_u32 s25, ttmp6, 0x40004
	s_clause 0x1
	s_load_b512 s[8:23], s[0:1], 0x0
	s_load_b512 s[36:51], s[0:1], 0x40
	s_add_co_i32 s3, s3, s4
	s_add_co_i32 s25, s25, s5
	s_cmp_eq_u32 s2, 0
	v_lshl_add_u32 v1, v4, 4, v12
	v_mov_b32_e32 v2, 0
	s_cselect_b32 s2, ttmp9, s3
	s_cselect_b32 s4, s24, s25
	s_ashr_i32 s3, s2, 31
	s_delay_alu instid0(VALU_DEP_1)
	v_dual_mov_b32 v5, v2 :: v_dual_bitop2_b32 v3, 31, v1 bitop3:0x40
	v_lshrrev_b32_e32 v8, 3, v1
	s_lshl_b64 s[2:3], s[2:3], 5
	s_delay_alu instid0(VALU_DEP_2) | instid1(SALU_CYCLE_1)
	v_dual_mov_b32 v9, v2 :: v_dual_bitop2_b32 v10, s2, v3 bitop3:0x54
	s_lshl_b32 s4, s4, 5
	s_mov_b32 s5, s7
	s_load_b128 s[24:27], s[0:1], 0x80
	s_delay_alu instid0(VALU_DEP_1)
	v_add_nc_u64_e32 v[14:15], s[4:5], v[8:9]
	v_dual_mov_b32 v11, s3 :: v_dual_bitop2_b32 v0, 7, v0 bitop3:0x40
	v_add_nc_u64_e32 v[16:17], s[4:5], v[4:5]
	s_wait_kmcnt 0x0
	v_cmp_eq_f64_e64 s29, s[42:43], 0
	v_cmp_eq_f64_e64 s30, s[44:45], 0
	v_mul_u64_e32 v[20:21], s[20:21], v[10:11]
	v_mul_u64_e32 v[18:19], s[38:39], v[14:15]
	v_dual_mov_b32 v13, v2 :: v_dual_lshlrev_b32 v24, 4, v0
	v_mul_u64_e32 v[22:23], s[48:49], v[16:17]
	s_load_b64 s[20:21], s[0:1], 0x90
	v_cmp_gt_i64_e32 vcc_lo, s[8:9], v[10:11]
	s_delay_alu instid0(VALU_DEP_3)
	v_add_nc_u64_e32 v[10:11], s[2:3], v[12:13]
	v_lshl_or_b32 v5, v8, 7, v24
	v_dual_mov_b32 v7, v2 :: v_dual_lshrrev_b32 v6, 5, v1
	v_lshl_add_u32 v45, v4, 7, 0x1000
	v_cmp_gt_i64_e64 s4, s[10:11], v[14:15]
	v_mul_u64_e32 v[8:9], s[26:27], v[16:17]
	v_add_nc_u32_e32 v43, 0x1000, v5
	v_add_nc_u64_e32 v[4:5], 16, v[10:11]
	v_dual_mov_b32 v25, v2 :: v_dual_lshlrev_b32 v44, 4, v12
	v_dual_mov_b32 v15, v2 :: v_dual_lshlrev_b32 v14, 4, v6
	v_add_nc_u64_e32 v[12:13], 16, v[16:17]
	s_wait_xcnt 0x0
	v_cmp_gt_i64_e64 s0, s[10:11], v[16:17]
	v_cmp_gt_i64_e64 s2, s[8:9], v[4:5]
	v_dual_mov_b32 v1, v2 :: v_dual_lshlrev_b32 v3, 4, v3
	v_cmp_gt_i64_e64 s1, s[8:9], v[10:11]
	s_lshl_b64 s[8:9], s[26:27], 4
	v_cmp_gt_i64_e64 s3, s[10:11], v[12:13]
	s_lshl_b64 s[10:11], s[48:49], 4
	v_lshl_or_b32 v42, v6, 9, v3
	s_lshl_b64 s[26:27], s[40:41], 4
	s_and_b32 s29, s29, s30
	v_lshl_add_u64 v[16:17], v[20:21], 4, v[14:15]
	v_lshl_add_u64 v[4:5], v[18:19], 4, v[24:25]
	v_cmp_gt_i64_e64 s30, s[12:13], 0
	v_lshl_add_u64 v[12:13], v[22:23], 4, s[46:47]
	s_delay_alu instid0(VALU_DEP_4) | instskip(NEXT) | instid1(VALU_DEP_4)
	v_add_nc_u64_e32 v[16:17], s[18:19], v[16:17]
	v_add_nc_u64_e32 v[14:15], s[36:37], v[4:5]
	s_lshl_b64 s[18:19], s[22:23], 4
	s_xor_b32 s22, vcc_lo, -1
	s_xor_b32 s23, s4, -1
	s_branch .LBB548_4
.LBB548_2:                              ;   in Loop: Header=BB548_4 Depth=1
	s_wait_xcnt 0x0
	s_or_b32 exec_lo, exec_lo, s31
.LBB548_3:                              ;   in Loop: Header=BB548_4 Depth=1
	s_add_co_i32 s6, s6, 0x10000
	s_delay_alu instid0(SALU_CYCLE_1)
	s_cmp_lt_i32 s6, s28
	s_cbranch_scc0 .LBB548_39
.LBB548_4:                              ; =>This Loop Header: Depth=1
                                        ;     Child Loop BB548_7 Depth 2
	s_and_not1_b32 vcc_lo, exec_lo, s30
	s_cbranch_vccnz .LBB548_15
; %bb.5:                                ;   in Loop: Header=BB548_4 Depth=1
	v_mad_nc_u64_u32 v[18:19], s26, s6, v[14:15]
	v_mad_nc_u64_u32 v[20:21], s18, s6, v[16:17]
	v_mov_b64_e32 v[36:37], 0
	v_mov_b64_e32 v[34:35], 0
	;; [unrolled: 1-line block ×8, first 2 shown]
	s_mov_b64 s[4:5], 0
	v_mad_u32 v19, s27, s6, v19
	v_mad_u32 v21, s19, s6, v21
	s_branch .LBB548_7
.LBB548_6:                              ;   in Loop: Header=BB548_7 Depth=2
	s_wait_xcnt 0x0
	s_or_b32 exec_lo, exec_lo, s31
	s_wait_dscnt 0x0
	s_barrier_signal -1
	s_barrier_wait -1
	ds_load_b128 v[38:41], v45
	ds_load_b128 v[46:49], v45 offset:16
	ds_load_b128 v[50:53], v45 offset:32
	;; [unrolled: 1-line block ×3, first 2 shown]
	ds_load_b128 v[58:61], v44
	s_add_nc_u64 s[4:5], s[4:5], 8
	v_add_nc_u64_e32 v[18:19], 0x80, v[18:19]
	v_cmp_lt_i64_e64 s31, s[4:5], s[12:13]
	v_add_nc_u64_e32 v[20:21], 0x80, v[20:21]
	s_and_b32 vcc_lo, exec_lo, s31
	s_wait_dscnt 0x0
	v_mul_f64_e32 v[4:5], v[40:41], v[60:61]
	v_mul_f64_e32 v[62:63], v[38:39], v[60:61]
	s_delay_alu instid0(VALU_DEP_2) | instskip(NEXT) | instid1(VALU_DEP_2)
	v_fma_f64 v[4:5], v[38:39], v[58:59], -v[4:5]
	v_fmac_f64_e32 v[62:63], v[40:41], v[58:59]
	s_delay_alu instid0(VALU_DEP_2) | instskip(NEXT) | instid1(VALU_DEP_2)
	v_add_f64_e32 v[4:5], v[26:27], v[4:5]
	v_add_f64_e32 v[62:63], v[62:63], v[28:29]
	ds_load_b128 v[26:29], v44 offset:256
	s_wait_dscnt 0x0
	v_mul_f64_e32 v[64:65], v[40:41], v[28:29]
	s_delay_alu instid0(VALU_DEP_1) | instskip(SKIP_1) | instid1(VALU_DEP_1)
	v_fma_f64 v[64:65], v[38:39], v[26:27], -v[64:65]
	v_mul_f64_e32 v[38:39], v[38:39], v[28:29]
	v_fmac_f64_e32 v[38:39], v[40:41], v[26:27]
	s_delay_alu instid0(VALU_DEP_3) | instskip(NEXT) | instid1(VALU_DEP_2)
	v_add_f64_e32 v[40:41], v[22:23], v[64:65]
	v_add_f64_e32 v[38:39], v[38:39], v[24:25]
	ds_load_b128 v[22:25], v45 offset:2048
	s_wait_dscnt 0x0
	v_mul_f64_e32 v[64:65], v[24:25], v[60:61]
	v_mul_f64_e32 v[60:61], v[22:23], v[60:61]
	s_delay_alu instid0(VALU_DEP_2) | instskip(NEXT) | instid1(VALU_DEP_2)
	v_fma_f64 v[64:65], v[22:23], v[58:59], -v[64:65]
	v_fmac_f64_e32 v[60:61], v[24:25], v[58:59]
	s_delay_alu instid0(VALU_DEP_2) | instskip(SKIP_1) | instid1(VALU_DEP_3)
	v_add_f64_e32 v[58:59], v[30:31], v[64:65]
	v_mul_f64_e32 v[30:31], v[24:25], v[28:29]
	v_add_f64_e32 v[60:61], v[60:61], v[32:33]
	s_delay_alu instid0(VALU_DEP_2) | instskip(SKIP_1) | instid1(VALU_DEP_2)
	v_fma_f64 v[30:31], v[22:23], v[26:27], -v[30:31]
	v_mul_f64_e32 v[22:23], v[22:23], v[28:29]
	v_add_f64_e32 v[34:35], v[34:35], v[30:31]
	s_delay_alu instid0(VALU_DEP_2) | instskip(NEXT) | instid1(VALU_DEP_1)
	v_fmac_f64_e32 v[22:23], v[24:25], v[26:27]
	v_add_f64_e32 v[36:37], v[22:23], v[36:37]
	ds_load_b128 v[22:25], v44 offset:512
	s_wait_dscnt 0x0
	v_mul_f64_e32 v[26:27], v[48:49], v[24:25]
	v_mul_f64_e32 v[28:29], v[46:47], v[24:25]
	s_delay_alu instid0(VALU_DEP_2) | instskip(NEXT) | instid1(VALU_DEP_2)
	v_fma_f64 v[26:27], v[46:47], v[22:23], -v[26:27]
	v_fmac_f64_e32 v[28:29], v[48:49], v[22:23]
	s_delay_alu instid0(VALU_DEP_2) | instskip(NEXT) | instid1(VALU_DEP_2)
	v_add_f64_e32 v[4:5], v[4:5], v[26:27]
	v_add_f64_e32 v[62:63], v[28:29], v[62:63]
	ds_load_b128 v[26:29], v44 offset:768
	s_wait_dscnt 0x0
	v_mul_f64_e32 v[30:31], v[48:49], v[28:29]
	v_mul_f64_e32 v[32:33], v[46:47], v[28:29]
	s_delay_alu instid0(VALU_DEP_2) | instskip(NEXT) | instid1(VALU_DEP_2)
	v_fma_f64 v[30:31], v[46:47], v[26:27], -v[30:31]
	v_fmac_f64_e32 v[32:33], v[48:49], v[26:27]
	s_delay_alu instid0(VALU_DEP_2) | instskip(NEXT) | instid1(VALU_DEP_2)
	v_add_f64_e32 v[40:41], v[40:41], v[30:31]
	v_add_f64_e32 v[38:39], v[32:33], v[38:39]
	ds_load_b128 v[30:33], v45 offset:2064
	s_wait_dscnt 0x0
	v_mul_f64_e32 v[46:47], v[32:33], v[24:25]
	v_mul_f64_e32 v[24:25], v[30:31], v[24:25]
	s_delay_alu instid0(VALU_DEP_2) | instskip(NEXT) | instid1(VALU_DEP_2)
	v_fma_f64 v[46:47], v[30:31], v[22:23], -v[46:47]
	v_fmac_f64_e32 v[24:25], v[32:33], v[22:23]
	v_mul_f64_e32 v[22:23], v[32:33], v[28:29]
	s_delay_alu instid0(VALU_DEP_3) | instskip(NEXT) | instid1(VALU_DEP_3)
	v_add_f64_e32 v[46:47], v[58:59], v[46:47]
	v_add_f64_e32 v[48:49], v[24:25], v[60:61]
	v_mul_f64_e32 v[24:25], v[30:31], v[28:29]
	s_delay_alu instid0(VALU_DEP_4) | instskip(NEXT) | instid1(VALU_DEP_2)
	v_fma_f64 v[22:23], v[30:31], v[26:27], -v[22:23]
	v_fmac_f64_e32 v[24:25], v[32:33], v[26:27]
	s_delay_alu instid0(VALU_DEP_2) | instskip(NEXT) | instid1(VALU_DEP_2)
	v_add_f64_e32 v[34:35], v[34:35], v[22:23]
	v_add_f64_e32 v[36:37], v[24:25], v[36:37]
	ds_load_b128 v[22:25], v44 offset:1024
	s_wait_dscnt 0x0
	v_mul_f64_e32 v[26:27], v[52:53], v[24:25]
	v_mul_f64_e32 v[28:29], v[50:51], v[24:25]
	s_delay_alu instid0(VALU_DEP_2) | instskip(NEXT) | instid1(VALU_DEP_2)
	v_fma_f64 v[26:27], v[50:51], v[22:23], -v[26:27]
	v_fmac_f64_e32 v[28:29], v[52:53], v[22:23]
	s_delay_alu instid0(VALU_DEP_2) | instskip(NEXT) | instid1(VALU_DEP_2)
	v_add_f64_e32 v[4:5], v[4:5], v[26:27]
	v_add_f64_e32 v[58:59], v[28:29], v[62:63]
	ds_load_b128 v[26:29], v44 offset:1280
	s_wait_dscnt 0x0
	v_mul_f64_e32 v[30:31], v[52:53], v[28:29]
	v_mul_f64_e32 v[32:33], v[50:51], v[28:29]
	s_delay_alu instid0(VALU_DEP_2) | instskip(NEXT) | instid1(VALU_DEP_2)
	v_fma_f64 v[30:31], v[50:51], v[26:27], -v[30:31]
	v_fmac_f64_e32 v[32:33], v[52:53], v[26:27]
	s_delay_alu instid0(VALU_DEP_2) | instskip(NEXT) | instid1(VALU_DEP_2)
	v_add_f64_e32 v[40:41], v[40:41], v[30:31]
	v_add_f64_e32 v[38:39], v[32:33], v[38:39]
	ds_load_b128 v[30:33], v45 offset:2080
	s_wait_dscnt 0x0
	v_mul_f64_e32 v[50:51], v[32:33], v[24:25]
	v_mul_f64_e32 v[24:25], v[30:31], v[24:25]
	s_delay_alu instid0(VALU_DEP_2) | instskip(NEXT) | instid1(VALU_DEP_2)
	v_fma_f64 v[50:51], v[30:31], v[22:23], -v[50:51]
	v_fmac_f64_e32 v[24:25], v[32:33], v[22:23]
	v_mul_f64_e32 v[22:23], v[32:33], v[28:29]
	s_delay_alu instid0(VALU_DEP_3) | instskip(NEXT) | instid1(VALU_DEP_3)
	v_add_f64_e32 v[46:47], v[46:47], v[50:51]
	v_add_f64_e32 v[48:49], v[24:25], v[48:49]
	v_mul_f64_e32 v[24:25], v[30:31], v[28:29]
	s_delay_alu instid0(VALU_DEP_4) | instskip(NEXT) | instid1(VALU_DEP_2)
	v_fma_f64 v[22:23], v[30:31], v[26:27], -v[22:23]
	v_fmac_f64_e32 v[24:25], v[32:33], v[26:27]
	s_delay_alu instid0(VALU_DEP_2) | instskip(NEXT) | instid1(VALU_DEP_2)
	v_add_f64_e32 v[34:35], v[34:35], v[22:23]
	;; [unrolled: 38-line block ×3, first 2 shown]
	v_add_f64_e32 v[36:37], v[24:25], v[36:37]
	ds_load_b128 v[22:25], v45 offset:64
	ds_load_b128 v[26:29], v44 offset:2048
	s_wait_dscnt 0x0
	v_mul_f64_e32 v[30:31], v[24:25], v[28:29]
	v_mul_f64_e32 v[32:33], v[22:23], v[28:29]
	s_delay_alu instid0(VALU_DEP_2) | instskip(NEXT) | instid1(VALU_DEP_2)
	v_fma_f64 v[30:31], v[22:23], v[26:27], -v[30:31]
	v_fmac_f64_e32 v[32:33], v[24:25], v[26:27]
	s_delay_alu instid0(VALU_DEP_2) | instskip(NEXT) | instid1(VALU_DEP_2)
	v_add_f64_e32 v[4:5], v[4:5], v[30:31]
	v_add_f64_e32 v[50:51], v[32:33], v[50:51]
	ds_load_b128 v[30:33], v44 offset:2304
	s_wait_dscnt 0x0
	v_mul_f64_e32 v[52:53], v[24:25], v[32:33]
	s_delay_alu instid0(VALU_DEP_1) | instskip(SKIP_1) | instid1(VALU_DEP_2)
	v_fma_f64 v[52:53], v[22:23], v[30:31], -v[52:53]
	v_mul_f64_e32 v[22:23], v[22:23], v[32:33]
	v_add_f64_e32 v[40:41], v[40:41], v[52:53]
	s_delay_alu instid0(VALU_DEP_2) | instskip(NEXT) | instid1(VALU_DEP_1)
	v_fmac_f64_e32 v[22:23], v[24:25], v[30:31]
	v_add_f64_e32 v[38:39], v[22:23], v[38:39]
	ds_load_b128 v[22:25], v45 offset:2112
	s_wait_dscnt 0x0
	v_mul_f64_e32 v[52:53], v[24:25], v[28:29]
	v_mul_f64_e32 v[28:29], v[22:23], v[28:29]
	s_delay_alu instid0(VALU_DEP_2) | instskip(NEXT) | instid1(VALU_DEP_2)
	v_fma_f64 v[52:53], v[22:23], v[26:27], -v[52:53]
	v_fmac_f64_e32 v[28:29], v[24:25], v[26:27]
	v_mul_f64_e32 v[26:27], v[24:25], v[32:33]
	s_delay_alu instid0(VALU_DEP_3) | instskip(NEXT) | instid1(VALU_DEP_3)
	v_add_f64_e32 v[46:47], v[46:47], v[52:53]
	v_add_f64_e32 v[48:49], v[28:29], v[48:49]
	s_delay_alu instid0(VALU_DEP_3) | instskip(SKIP_1) | instid1(VALU_DEP_2)
	v_fma_f64 v[26:27], v[22:23], v[30:31], -v[26:27]
	v_mul_f64_e32 v[22:23], v[22:23], v[32:33]
	v_add_f64_e32 v[34:35], v[34:35], v[26:27]
	s_delay_alu instid0(VALU_DEP_2) | instskip(NEXT) | instid1(VALU_DEP_1)
	v_fmac_f64_e32 v[22:23], v[24:25], v[30:31]
	v_add_f64_e32 v[36:37], v[22:23], v[36:37]
	ds_load_b128 v[22:25], v45 offset:80
	ds_load_b128 v[26:29], v44 offset:2560
	s_wait_dscnt 0x0
	v_mul_f64_e32 v[30:31], v[24:25], v[28:29]
	v_mul_f64_e32 v[32:33], v[22:23], v[28:29]
	s_delay_alu instid0(VALU_DEP_2) | instskip(NEXT) | instid1(VALU_DEP_2)
	v_fma_f64 v[30:31], v[22:23], v[26:27], -v[30:31]
	v_fmac_f64_e32 v[32:33], v[24:25], v[26:27]
	s_delay_alu instid0(VALU_DEP_2) | instskip(NEXT) | instid1(VALU_DEP_2)
	v_add_f64_e32 v[4:5], v[4:5], v[30:31]
	v_add_f64_e32 v[50:51], v[32:33], v[50:51]
	ds_load_b128 v[30:33], v44 offset:2816
	s_wait_dscnt 0x0
	v_mul_f64_e32 v[52:53], v[24:25], v[32:33]
	s_delay_alu instid0(VALU_DEP_1) | instskip(SKIP_1) | instid1(VALU_DEP_2)
	v_fma_f64 v[52:53], v[22:23], v[30:31], -v[52:53]
	v_mul_f64_e32 v[22:23], v[22:23], v[32:33]
	v_add_f64_e32 v[40:41], v[40:41], v[52:53]
	s_delay_alu instid0(VALU_DEP_2) | instskip(NEXT) | instid1(VALU_DEP_1)
	v_fmac_f64_e32 v[22:23], v[24:25], v[30:31]
	v_add_f64_e32 v[38:39], v[22:23], v[38:39]
	ds_load_b128 v[22:25], v45 offset:2128
	s_wait_dscnt 0x0
	v_mul_f64_e32 v[52:53], v[24:25], v[28:29]
	v_mul_f64_e32 v[28:29], v[22:23], v[28:29]
	s_delay_alu instid0(VALU_DEP_2) | instskip(NEXT) | instid1(VALU_DEP_2)
	v_fma_f64 v[52:53], v[22:23], v[26:27], -v[52:53]
	v_fmac_f64_e32 v[28:29], v[24:25], v[26:27]
	v_mul_f64_e32 v[26:27], v[24:25], v[32:33]
	s_delay_alu instid0(VALU_DEP_3) | instskip(NEXT) | instid1(VALU_DEP_3)
	v_add_f64_e32 v[46:47], v[46:47], v[52:53]
	v_add_f64_e32 v[48:49], v[28:29], v[48:49]
	s_delay_alu instid0(VALU_DEP_3) | instskip(SKIP_1) | instid1(VALU_DEP_2)
	v_fma_f64 v[26:27], v[22:23], v[30:31], -v[26:27]
	v_mul_f64_e32 v[22:23], v[22:23], v[32:33]
	v_add_f64_e32 v[34:35], v[34:35], v[26:27]
	s_delay_alu instid0(VALU_DEP_2) | instskip(NEXT) | instid1(VALU_DEP_1)
	v_fmac_f64_e32 v[22:23], v[24:25], v[30:31]
	;; [unrolled: 39-line block ×3, first 2 shown]
	v_add_f64_e32 v[54:55], v[22:23], v[36:37]
	ds_load_b128 v[22:25], v45 offset:112
	ds_load_b128 v[30:33], v44 offset:3584
	;; [unrolled: 1-line block ×3, first 2 shown]
	s_wait_dscnt 0x1
	v_mul_f64_e32 v[26:27], v[24:25], v[32:33]
	v_mul_f64_e32 v[28:29], v[22:23], v[32:33]
	s_delay_alu instid0(VALU_DEP_2) | instskip(NEXT) | instid1(VALU_DEP_2)
	v_fma_f64 v[26:27], v[22:23], v[30:31], -v[26:27]
	v_fmac_f64_e32 v[28:29], v[24:25], v[30:31]
	s_delay_alu instid0(VALU_DEP_2) | instskip(NEXT) | instid1(VALU_DEP_2)
	v_add_f64_e32 v[26:27], v[4:5], v[26:27]
	v_add_f64_e32 v[28:29], v[28:29], v[50:51]
	s_wait_dscnt 0x0
	v_mul_f64_e32 v[4:5], v[24:25], v[36:37]
	v_mul_f64_e32 v[50:51], v[22:23], v[36:37]
	s_delay_alu instid0(VALU_DEP_2) | instskip(NEXT) | instid1(VALU_DEP_2)
	v_fma_f64 v[4:5], v[22:23], v[34:35], -v[4:5]
	v_fmac_f64_e32 v[50:51], v[24:25], v[34:35]
	s_delay_alu instid0(VALU_DEP_2) | instskip(NEXT) | instid1(VALU_DEP_2)
	v_add_f64_e32 v[22:23], v[40:41], v[4:5]
	v_add_f64_e32 v[24:25], v[50:51], v[38:39]
	ds_load_b128 v[38:41], v45 offset:2160
	s_wait_dscnt 0x0
	s_barrier_signal -1
	s_barrier_wait -1
	v_mul_f64_e32 v[4:5], v[40:41], v[32:33]
	v_mul_f64_e32 v[32:33], v[38:39], v[32:33]
	s_delay_alu instid0(VALU_DEP_2) | instskip(NEXT) | instid1(VALU_DEP_2)
	v_fma_f64 v[4:5], v[38:39], v[30:31], -v[4:5]
	v_fmac_f64_e32 v[32:33], v[40:41], v[30:31]
	s_delay_alu instid0(VALU_DEP_2) | instskip(SKIP_2) | instid1(VALU_DEP_4)
	v_add_f64_e32 v[30:31], v[46:47], v[4:5]
	v_mul_f64_e32 v[4:5], v[40:41], v[36:37]
	v_mul_f64_e32 v[36:37], v[38:39], v[36:37]
	v_add_f64_e32 v[32:33], v[32:33], v[48:49]
	s_delay_alu instid0(VALU_DEP_3) | instskip(NEXT) | instid1(VALU_DEP_3)
	v_fma_f64 v[4:5], v[38:39], v[34:35], -v[4:5]
	v_fmac_f64_e32 v[36:37], v[40:41], v[34:35]
	s_delay_alu instid0(VALU_DEP_2) | instskip(NEXT) | instid1(VALU_DEP_2)
	v_add_f64_e32 v[34:35], v[52:53], v[4:5]
	v_add_f64_e32 v[36:37], v[36:37], v[54:55]
	s_cbranch_vccz .LBB548_16
.LBB548_7:                              ;   Parent Loop BB548_4 Depth=1
                                        ; =>  This Inner Loop Header: Depth=2
	v_add_nc_u64_e32 v[4:5], s[4:5], v[6:7]
	s_delay_alu instid0(VALU_DEP_1) | instskip(SKIP_1) | instid1(SALU_CYCLE_1)
	v_cmp_le_i64_e32 vcc_lo, s[12:13], v[4:5]
	s_or_b32 s31, s22, vcc_lo
	s_and_saveexec_b32 s33, s31
	s_delay_alu instid0(SALU_CYCLE_1)
	s_xor_b32 s31, exec_lo, s33
; %bb.8:                                ;   in Loop: Header=BB548_7 Depth=2
	v_dual_mov_b32 v3, v2 :: v_dual_mov_b32 v4, v2
	v_mov_b32_e32 v5, v2
	ds_store_b128 v42, v[2:5]
; %bb.9:                                ;   in Loop: Header=BB548_7 Depth=2
	s_and_not1_saveexec_b32 s31, s31
	s_cbranch_execz .LBB548_11
; %bb.10:                               ;   in Loop: Header=BB548_7 Depth=2
	global_load_b128 v[38:41], v[20:21], off
	s_wait_loadcnt 0x0
	ds_store_2addr_b64 v42, v[38:39], v[40:41] offset1:1
.LBB548_11:                             ;   in Loop: Header=BB548_7 Depth=2
	s_wait_xcnt 0x0
	s_or_b32 exec_lo, exec_lo, s31
	v_add_nc_u64_e32 v[4:5], s[4:5], v[0:1]
	s_delay_alu instid0(VALU_DEP_1) | instskip(SKIP_1) | instid1(SALU_CYCLE_1)
	v_cmp_le_i64_e32 vcc_lo, s[12:13], v[4:5]
	s_or_b32 s31, vcc_lo, s23
	s_and_saveexec_b32 s33, s31
	s_delay_alu instid0(SALU_CYCLE_1)
	s_xor_b32 s31, exec_lo, s33
; %bb.12:                               ;   in Loop: Header=BB548_7 Depth=2
	v_dual_mov_b32 v3, v2 :: v_dual_mov_b32 v4, v2
	v_mov_b32_e32 v5, v2
	ds_store_b128 v43, v[2:5]
; %bb.13:                               ;   in Loop: Header=BB548_7 Depth=2
	s_and_not1_saveexec_b32 s31, s31
	s_cbranch_execz .LBB548_6
; %bb.14:                               ;   in Loop: Header=BB548_7 Depth=2
	global_load_b128 v[38:41], v[18:19], off
	s_wait_loadcnt 0x0
	ds_store_2addr_b64 v43, v[38:39], v[40:41] offset1:1
	s_branch .LBB548_6
.LBB548_15:                             ;   in Loop: Header=BB548_4 Depth=1
	v_mov_b64_e32 v[26:27], 0
	v_mov_b64_e32 v[28:29], 0
	;; [unrolled: 1-line block ×8, first 2 shown]
.LBB548_16:                             ;   in Loop: Header=BB548_4 Depth=1
	s_wait_kmcnt 0x0
	s_mul_u64 s[4:5], s[20:21], s[6:7]
	s_and_not1_b32 vcc_lo, exec_lo, s29
	s_lshl_b64 s[4:5], s[4:5], 4
	s_mov_b32 s31, -1
	s_add_nc_u64 s[4:5], s[24:25], s[4:5]
	s_cbranch_vccz .LBB548_18
; %bb.17:                               ;   in Loop: Header=BB548_4 Depth=1
	s_and_not1_b32 vcc_lo, exec_lo, s31
	s_cbranch_vccnz .LBB548_3
	s_branch .LBB548_29
.LBB548_18:                             ;   in Loop: Header=BB548_4 Depth=1
	s_and_saveexec_b32 s31, s0
	s_cbranch_execz .LBB548_28
; %bb.19:                               ;   in Loop: Header=BB548_4 Depth=1
	v_lshl_add_u64 v[4:5], v[8:9], 4, s[4:5]
	s_delay_alu instid0(VALU_DEP_1)
	v_lshl_add_u64 v[18:19], v[10:11], 4, v[4:5]
	s_and_saveexec_b32 s33, s1
	s_cbranch_execnz .LBB548_22
; %bb.20:                               ;   in Loop: Header=BB548_4 Depth=1
	s_or_b32 exec_lo, exec_lo, s33
	s_and_saveexec_b32 s33, s2
	s_cbranch_execnz .LBB548_23
.LBB548_21:                             ;   in Loop: Header=BB548_4 Depth=1
	s_or_b32 exec_lo, exec_lo, s33
	s_delay_alu instid0(SALU_CYCLE_1)
	s_and_b32 exec_lo, exec_lo, s3
	s_cbranch_execnz .LBB548_24
	s_branch .LBB548_28
.LBB548_22:                             ;   in Loop: Header=BB548_4 Depth=1
	v_mul_f64_e32 v[20:21], s[16:17], v[28:29]
	v_mul_f64_e32 v[40:41], s[14:15], v[28:29]
	s_delay_alu instid0(VALU_DEP_2) | instskip(NEXT) | instid1(VALU_DEP_2)
	v_fma_f64 v[38:39], s[14:15], v[26:27], -v[20:21]
	v_fmac_f64_e32 v[40:41], s[16:17], v[26:27]
	global_store_b128 v[18:19], v[38:41], off
	s_wait_xcnt 0x0
	s_or_b32 exec_lo, exec_lo, s33
	s_and_saveexec_b32 s33, s2
	s_cbranch_execz .LBB548_21
.LBB548_23:                             ;   in Loop: Header=BB548_4 Depth=1
	v_mul_f64_e32 v[20:21], s[16:17], v[24:25]
	v_mul_f64_e32 v[40:41], s[14:15], v[24:25]
	s_delay_alu instid0(VALU_DEP_2) | instskip(NEXT) | instid1(VALU_DEP_2)
	v_fma_f64 v[38:39], s[14:15], v[22:23], -v[20:21]
	v_fmac_f64_e32 v[40:41], s[16:17], v[22:23]
	global_store_b128 v[18:19], v[38:41], off offset:256
	s_wait_xcnt 0x0
	s_or_b32 exec_lo, exec_lo, s33
	s_delay_alu instid0(SALU_CYCLE_1)
	s_and_b32 exec_lo, exec_lo, s3
	s_cbranch_execz .LBB548_28
.LBB548_24:                             ;   in Loop: Header=BB548_4 Depth=1
	v_lshl_add_u64 v[4:5], s[8:9], 4, v[4:5]
	s_delay_alu instid0(VALU_DEP_1)
	v_lshl_add_u64 v[4:5], v[10:11], 4, v[4:5]
	s_and_saveexec_b32 s33, s1
	s_cbranch_execz .LBB548_26
; %bb.25:                               ;   in Loop: Header=BB548_4 Depth=1
	v_mul_f64_e32 v[18:19], s[16:17], v[32:33]
	v_mul_f64_e32 v[20:21], s[14:15], v[32:33]
	s_delay_alu instid0(VALU_DEP_2) | instskip(NEXT) | instid1(VALU_DEP_2)
	v_fma_f64 v[18:19], s[14:15], v[30:31], -v[18:19]
	v_fmac_f64_e32 v[20:21], s[16:17], v[30:31]
	global_store_b128 v[4:5], v[18:21], off
.LBB548_26:                             ;   in Loop: Header=BB548_4 Depth=1
	s_wait_xcnt 0x0
	s_or_b32 exec_lo, exec_lo, s33
	s_delay_alu instid0(SALU_CYCLE_1)
	s_and_b32 exec_lo, exec_lo, s2
	s_cbranch_execz .LBB548_28
; %bb.27:                               ;   in Loop: Header=BB548_4 Depth=1
	v_mul_f64_e32 v[18:19], s[16:17], v[36:37]
	v_mul_f64_e32 v[20:21], s[14:15], v[36:37]
	s_delay_alu instid0(VALU_DEP_2) | instskip(NEXT) | instid1(VALU_DEP_2)
	v_fma_f64 v[18:19], s[14:15], v[34:35], -v[18:19]
	v_fmac_f64_e32 v[20:21], s[16:17], v[34:35]
	global_store_b128 v[4:5], v[18:21], off offset:256
.LBB548_28:                             ;   in Loop: Header=BB548_4 Depth=1
	s_wait_xcnt 0x0
	s_or_b32 exec_lo, exec_lo, s31
	s_cbranch_execnz .LBB548_3
.LBB548_29:                             ;   in Loop: Header=BB548_4 Depth=1
	s_and_saveexec_b32 s31, s0
	s_cbranch_execz .LBB548_2
; %bb.30:                               ;   in Loop: Header=BB548_4 Depth=1
	s_mul_u64 s[34:35], s[50:51], s[6:7]
	v_lshlrev_b64_e32 v[4:5], 4, v[10:11]
	v_lshl_add_u64 v[18:19], s[34:35], 4, v[12:13]
	v_lshl_add_u64 v[20:21], v[8:9], 4, s[4:5]
	s_delay_alu instid0(VALU_DEP_2) | instskip(NEXT) | instid1(VALU_DEP_2)
	v_add_nc_u64_e32 v[40:41], v[18:19], v[4:5]
	v_add_nc_u64_e32 v[38:39], v[20:21], v[4:5]
	s_and_saveexec_b32 s4, s1
	s_cbranch_execnz .LBB548_33
; %bb.31:                               ;   in Loop: Header=BB548_4 Depth=1
	s_or_b32 exec_lo, exec_lo, s4
	s_and_saveexec_b32 s4, s2
	s_cbranch_execnz .LBB548_34
.LBB548_32:                             ;   in Loop: Header=BB548_4 Depth=1
	s_or_b32 exec_lo, exec_lo, s4
	s_delay_alu instid0(SALU_CYCLE_1)
	s_and_b32 exec_lo, exec_lo, s3
	s_cbranch_execz .LBB548_2
	s_branch .LBB548_35
.LBB548_33:                             ;   in Loop: Header=BB548_4 Depth=1
	global_load_b128 v[46:49], v[40:41], off
	v_mul_f64_e32 v[50:51], s[16:17], v[28:29]
	v_mul_f64_e32 v[28:29], s[14:15], v[28:29]
	s_delay_alu instid0(VALU_DEP_2) | instskip(NEXT) | instid1(VALU_DEP_2)
	v_fma_f64 v[50:51], s[14:15], v[26:27], -v[50:51]
	v_fmac_f64_e32 v[28:29], s[16:17], v[26:27]
	s_wait_loadcnt 0x0
	v_mul_f64_e32 v[52:53], s[44:45], v[48:49]
	v_mul_f64_e32 v[48:49], s[42:43], v[48:49]
	s_delay_alu instid0(VALU_DEP_2) | instskip(NEXT) | instid1(VALU_DEP_2)
	v_fma_f64 v[26:27], s[42:43], v[46:47], -v[52:53]
	v_fmac_f64_e32 v[48:49], s[44:45], v[46:47]
	s_delay_alu instid0(VALU_DEP_2) | instskip(NEXT) | instid1(VALU_DEP_2)
	v_add_f64_e32 v[26:27], v[50:51], v[26:27]
	v_add_f64_e32 v[28:29], v[28:29], v[48:49]
	global_store_b128 v[38:39], v[26:29], off
	s_wait_xcnt 0x0
	s_or_b32 exec_lo, exec_lo, s4
	s_and_saveexec_b32 s4, s2
	s_cbranch_execz .LBB548_32
.LBB548_34:                             ;   in Loop: Header=BB548_4 Depth=1
	global_load_b128 v[26:29], v[40:41], off offset:256
	s_wait_xcnt 0x0
	v_mul_f64_e32 v[40:41], s[16:17], v[24:25]
	v_mul_f64_e32 v[24:25], s[14:15], v[24:25]
	s_delay_alu instid0(VALU_DEP_2) | instskip(NEXT) | instid1(VALU_DEP_2)
	v_fma_f64 v[40:41], s[14:15], v[22:23], -v[40:41]
	v_fmac_f64_e32 v[24:25], s[16:17], v[22:23]
	s_wait_loadcnt 0x0
	v_mul_f64_e32 v[46:47], s[44:45], v[28:29]
	v_mul_f64_e32 v[28:29], s[42:43], v[28:29]
	s_delay_alu instid0(VALU_DEP_2) | instskip(NEXT) | instid1(VALU_DEP_2)
	v_fma_f64 v[22:23], s[42:43], v[26:27], -v[46:47]
	v_fmac_f64_e32 v[28:29], s[44:45], v[26:27]
	s_delay_alu instid0(VALU_DEP_2) | instskip(NEXT) | instid1(VALU_DEP_2)
	v_add_f64_e32 v[22:23], v[40:41], v[22:23]
	v_add_f64_e32 v[24:25], v[24:25], v[28:29]
	global_store_b128 v[38:39], v[22:25], off offset:256
	s_wait_xcnt 0x0
	s_or_b32 exec_lo, exec_lo, s4
	s_delay_alu instid0(SALU_CYCLE_1)
	s_and_b32 exec_lo, exec_lo, s3
	s_cbranch_execz .LBB548_2
.LBB548_35:                             ;   in Loop: Header=BB548_4 Depth=1
	v_lshl_add_u64 v[18:19], s[10:11], 4, v[18:19]
	v_lshl_add_u64 v[20:21], s[8:9], 4, v[20:21]
	s_delay_alu instid0(VALU_DEP_2) | instskip(NEXT) | instid1(VALU_DEP_2)
	v_add_nc_u64_e32 v[18:19], v[18:19], v[4:5]
	v_add_nc_u64_e32 v[4:5], v[20:21], v[4:5]
	s_and_saveexec_b32 s4, s1
	s_cbranch_execz .LBB548_37
; %bb.36:                               ;   in Loop: Header=BB548_4 Depth=1
	global_load_b128 v[20:23], v[18:19], off
	v_mul_f64_e32 v[24:25], s[16:17], v[32:33]
	v_mul_f64_e32 v[26:27], s[14:15], v[32:33]
	s_delay_alu instid0(VALU_DEP_2) | instskip(NEXT) | instid1(VALU_DEP_2)
	v_fma_f64 v[24:25], s[14:15], v[30:31], -v[24:25]
	v_fmac_f64_e32 v[26:27], s[16:17], v[30:31]
	s_wait_loadcnt 0x0
	v_mul_f64_e32 v[28:29], s[44:45], v[22:23]
	v_mul_f64_e32 v[22:23], s[42:43], v[22:23]
	s_delay_alu instid0(VALU_DEP_2) | instskip(NEXT) | instid1(VALU_DEP_2)
	v_fma_f64 v[28:29], s[42:43], v[20:21], -v[28:29]
	v_fmac_f64_e32 v[22:23], s[44:45], v[20:21]
	s_delay_alu instid0(VALU_DEP_2) | instskip(NEXT) | instid1(VALU_DEP_2)
	v_add_f64_e32 v[20:21], v[24:25], v[28:29]
	v_add_f64_e32 v[22:23], v[26:27], v[22:23]
	global_store_b128 v[4:5], v[20:23], off
.LBB548_37:                             ;   in Loop: Header=BB548_4 Depth=1
	s_wait_xcnt 0x0
	s_or_b32 exec_lo, exec_lo, s4
	s_delay_alu instid0(SALU_CYCLE_1)
	s_and_b32 exec_lo, exec_lo, s2
	s_cbranch_execz .LBB548_2
; %bb.38:                               ;   in Loop: Header=BB548_4 Depth=1
	global_load_b128 v[18:21], v[18:19], off offset:256
	v_mul_f64_e32 v[22:23], s[16:17], v[36:37]
	v_mul_f64_e32 v[24:25], s[14:15], v[36:37]
	s_delay_alu instid0(VALU_DEP_2) | instskip(NEXT) | instid1(VALU_DEP_2)
	v_fma_f64 v[22:23], s[14:15], v[34:35], -v[22:23]
	v_fmac_f64_e32 v[24:25], s[16:17], v[34:35]
	s_wait_loadcnt 0x0
	v_mul_f64_e32 v[26:27], s[44:45], v[20:21]
	v_mul_f64_e32 v[20:21], s[42:43], v[20:21]
	s_delay_alu instid0(VALU_DEP_2) | instskip(NEXT) | instid1(VALU_DEP_2)
	v_fma_f64 v[26:27], s[42:43], v[18:19], -v[26:27]
	v_fmac_f64_e32 v[20:21], s[44:45], v[18:19]
	s_wait_xcnt 0x0
	s_delay_alu instid0(VALU_DEP_2) | instskip(NEXT) | instid1(VALU_DEP_2)
	v_add_f64_e32 v[18:19], v[22:23], v[26:27]
	v_add_f64_e32 v[20:21], v[24:25], v[20:21]
	global_store_b128 v[4:5], v[18:21], off offset:256
	s_branch .LBB548_2
.LBB548_39:
	s_sendmsg sendmsg(MSG_DEALLOC_VGPRS)
	s_endpgm
	.section	.rodata,"a",@progbits
	.p2align	6, 0x0
	.amdhsa_kernel _ZN12_GLOBAL__N_135rocblas_gemm_batched_general_kernelI19rocblas_complex_numIdELi16ELi16ELi32ELi32ELi8ELi32ELi8ELi8ELi32ELc84ELc78EKS2_S3_S2_EEvlllT_PT11_llS6_llS4_PT12_llPT13_lli
		.amdhsa_group_segment_fixed_size 8192
		.amdhsa_private_segment_fixed_size 0
		.amdhsa_kernarg_size 156
		.amdhsa_user_sgpr_count 2
		.amdhsa_user_sgpr_dispatch_ptr 0
		.amdhsa_user_sgpr_queue_ptr 0
		.amdhsa_user_sgpr_kernarg_segment_ptr 1
		.amdhsa_user_sgpr_dispatch_id 0
		.amdhsa_user_sgpr_kernarg_preload_length 0
		.amdhsa_user_sgpr_kernarg_preload_offset 0
		.amdhsa_user_sgpr_private_segment_size 0
		.amdhsa_wavefront_size32 1
		.amdhsa_uses_dynamic_stack 0
		.amdhsa_enable_private_segment 0
		.amdhsa_system_sgpr_workgroup_id_x 1
		.amdhsa_system_sgpr_workgroup_id_y 1
		.amdhsa_system_sgpr_workgroup_id_z 1
		.amdhsa_system_sgpr_workgroup_info 0
		.amdhsa_system_vgpr_workitem_id 1
		.amdhsa_next_free_vgpr 66
		.amdhsa_next_free_sgpr 52
		.amdhsa_named_barrier_count 0
		.amdhsa_reserve_vcc 1
		.amdhsa_float_round_mode_32 0
		.amdhsa_float_round_mode_16_64 0
		.amdhsa_float_denorm_mode_32 3
		.amdhsa_float_denorm_mode_16_64 3
		.amdhsa_fp16_overflow 0
		.amdhsa_memory_ordered 1
		.amdhsa_forward_progress 1
		.amdhsa_inst_pref_size 26
		.amdhsa_round_robin_scheduling 0
		.amdhsa_exception_fp_ieee_invalid_op 0
		.amdhsa_exception_fp_denorm_src 0
		.amdhsa_exception_fp_ieee_div_zero 0
		.amdhsa_exception_fp_ieee_overflow 0
		.amdhsa_exception_fp_ieee_underflow 0
		.amdhsa_exception_fp_ieee_inexact 0
		.amdhsa_exception_int_div_zero 0
	.end_amdhsa_kernel
	.section	.text._ZN12_GLOBAL__N_135rocblas_gemm_batched_general_kernelI19rocblas_complex_numIdELi16ELi16ELi32ELi32ELi8ELi32ELi8ELi8ELi32ELc84ELc78EKS2_S3_S2_EEvlllT_PT11_llS6_llS4_PT12_llPT13_lli,"axG",@progbits,_ZN12_GLOBAL__N_135rocblas_gemm_batched_general_kernelI19rocblas_complex_numIdELi16ELi16ELi32ELi32ELi8ELi32ELi8ELi8ELi32ELc84ELc78EKS2_S3_S2_EEvlllT_PT11_llS6_llS4_PT12_llPT13_lli,comdat
.Lfunc_end548:
	.size	_ZN12_GLOBAL__N_135rocblas_gemm_batched_general_kernelI19rocblas_complex_numIdELi16ELi16ELi32ELi32ELi8ELi32ELi8ELi8ELi32ELc84ELc78EKS2_S3_S2_EEvlllT_PT11_llS6_llS4_PT12_llPT13_lli, .Lfunc_end548-_ZN12_GLOBAL__N_135rocblas_gemm_batched_general_kernelI19rocblas_complex_numIdELi16ELi16ELi32ELi32ELi8ELi32ELi8ELi8ELi32ELc84ELc78EKS2_S3_S2_EEvlllT_PT11_llS6_llS4_PT12_llPT13_lli
                                        ; -- End function
	.set _ZN12_GLOBAL__N_135rocblas_gemm_batched_general_kernelI19rocblas_complex_numIdELi16ELi16ELi32ELi32ELi8ELi32ELi8ELi8ELi32ELc84ELc78EKS2_S3_S2_EEvlllT_PT11_llS6_llS4_PT12_llPT13_lli.num_vgpr, 66
	.set _ZN12_GLOBAL__N_135rocblas_gemm_batched_general_kernelI19rocblas_complex_numIdELi16ELi16ELi32ELi32ELi8ELi32ELi8ELi8ELi32ELc84ELc78EKS2_S3_S2_EEvlllT_PT11_llS6_llS4_PT12_llPT13_lli.num_agpr, 0
	.set _ZN12_GLOBAL__N_135rocblas_gemm_batched_general_kernelI19rocblas_complex_numIdELi16ELi16ELi32ELi32ELi8ELi32ELi8ELi8ELi32ELc84ELc78EKS2_S3_S2_EEvlllT_PT11_llS6_llS4_PT12_llPT13_lli.numbered_sgpr, 52
	.set _ZN12_GLOBAL__N_135rocblas_gemm_batched_general_kernelI19rocblas_complex_numIdELi16ELi16ELi32ELi32ELi8ELi32ELi8ELi8ELi32ELc84ELc78EKS2_S3_S2_EEvlllT_PT11_llS6_llS4_PT12_llPT13_lli.num_named_barrier, 0
	.set _ZN12_GLOBAL__N_135rocblas_gemm_batched_general_kernelI19rocblas_complex_numIdELi16ELi16ELi32ELi32ELi8ELi32ELi8ELi8ELi32ELc84ELc78EKS2_S3_S2_EEvlllT_PT11_llS6_llS4_PT12_llPT13_lli.private_seg_size, 0
	.set _ZN12_GLOBAL__N_135rocblas_gemm_batched_general_kernelI19rocblas_complex_numIdELi16ELi16ELi32ELi32ELi8ELi32ELi8ELi8ELi32ELc84ELc78EKS2_S3_S2_EEvlllT_PT11_llS6_llS4_PT12_llPT13_lli.uses_vcc, 1
	.set _ZN12_GLOBAL__N_135rocblas_gemm_batched_general_kernelI19rocblas_complex_numIdELi16ELi16ELi32ELi32ELi8ELi32ELi8ELi8ELi32ELc84ELc78EKS2_S3_S2_EEvlllT_PT11_llS6_llS4_PT12_llPT13_lli.uses_flat_scratch, 0
	.set _ZN12_GLOBAL__N_135rocblas_gemm_batched_general_kernelI19rocblas_complex_numIdELi16ELi16ELi32ELi32ELi8ELi32ELi8ELi8ELi32ELc84ELc78EKS2_S3_S2_EEvlllT_PT11_llS6_llS4_PT12_llPT13_lli.has_dyn_sized_stack, 0
	.set _ZN12_GLOBAL__N_135rocblas_gemm_batched_general_kernelI19rocblas_complex_numIdELi16ELi16ELi32ELi32ELi8ELi32ELi8ELi8ELi32ELc84ELc78EKS2_S3_S2_EEvlllT_PT11_llS6_llS4_PT12_llPT13_lli.has_recursion, 0
	.set _ZN12_GLOBAL__N_135rocblas_gemm_batched_general_kernelI19rocblas_complex_numIdELi16ELi16ELi32ELi32ELi8ELi32ELi8ELi8ELi32ELc84ELc78EKS2_S3_S2_EEvlllT_PT11_llS6_llS4_PT12_llPT13_lli.has_indirect_call, 0
	.section	.AMDGPU.csdata,"",@progbits
; Kernel info:
; codeLenInByte = 3312
; TotalNumSgprs: 54
; NumVgprs: 66
; ScratchSize: 0
; MemoryBound: 0
; FloatMode: 240
; IeeeMode: 1
; LDSByteSize: 8192 bytes/workgroup (compile time only)
; SGPRBlocks: 0
; VGPRBlocks: 4
; NumSGPRsForWavesPerEU: 54
; NumVGPRsForWavesPerEU: 66
; NamedBarCnt: 0
; Occupancy: 12
; WaveLimiterHint : 0
; COMPUTE_PGM_RSRC2:SCRATCH_EN: 0
; COMPUTE_PGM_RSRC2:USER_SGPR: 2
; COMPUTE_PGM_RSRC2:TRAP_HANDLER: 0
; COMPUTE_PGM_RSRC2:TGID_X_EN: 1
; COMPUTE_PGM_RSRC2:TGID_Y_EN: 1
; COMPUTE_PGM_RSRC2:TGID_Z_EN: 1
; COMPUTE_PGM_RSRC2:TIDIG_COMP_CNT: 1
	.section	.text._ZN12_GLOBAL__N_135rocblas_gemm_batched_general_kernelI19rocblas_complex_numIdELi16ELi16ELi32ELi32ELi8ELi32ELi8ELi8ELi32ELc78ELc84EKS2_S3_S2_EEvlllT_PT11_llS6_llS4_PT12_llPT13_lli,"axG",@progbits,_ZN12_GLOBAL__N_135rocblas_gemm_batched_general_kernelI19rocblas_complex_numIdELi16ELi16ELi32ELi32ELi8ELi32ELi8ELi8ELi32ELc78ELc84EKS2_S3_S2_EEvlllT_PT11_llS6_llS4_PT12_llPT13_lli,comdat
	.globl	_ZN12_GLOBAL__N_135rocblas_gemm_batched_general_kernelI19rocblas_complex_numIdELi16ELi16ELi32ELi32ELi8ELi32ELi8ELi8ELi32ELc78ELc84EKS2_S3_S2_EEvlllT_PT11_llS6_llS4_PT12_llPT13_lli ; -- Begin function _ZN12_GLOBAL__N_135rocblas_gemm_batched_general_kernelI19rocblas_complex_numIdELi16ELi16ELi32ELi32ELi8ELi32ELi8ELi8ELi32ELc78ELc84EKS2_S3_S2_EEvlllT_PT11_llS6_llS4_PT12_llPT13_lli
	.p2align	8
	.type	_ZN12_GLOBAL__N_135rocblas_gemm_batched_general_kernelI19rocblas_complex_numIdELi16ELi16ELi32ELi32ELi8ELi32ELi8ELi8ELi32ELc78ELc84EKS2_S3_S2_EEvlllT_PT11_llS6_llS4_PT12_llPT13_lli,@function
_ZN12_GLOBAL__N_135rocblas_gemm_batched_general_kernelI19rocblas_complex_numIdELi16ELi16ELi32ELi32ELi8ELi32ELi8ELi8ELi32ELc78ELc84EKS2_S3_S2_EEvlllT_PT11_llS6_llS4_PT12_llPT13_lli: ; @_ZN12_GLOBAL__N_135rocblas_gemm_batched_general_kernelI19rocblas_complex_numIdELi16ELi16ELi32ELi32ELi8ELi32ELi8ELi8ELi32ELc78ELc84EKS2_S3_S2_EEvlllT_PT11_llS6_llS4_PT12_llPT13_lli
; %bb.0:
	s_load_b32 s30, s[0:1], 0x98
	s_bfe_u32 s2, ttmp6, 0x40014
	s_lshr_b32 s3, ttmp7, 16
	s_add_co_i32 s2, s2, 1
	s_bfe_u32 s5, ttmp6, 0x40008
	s_mul_i32 s4, s3, s2
	s_getreg_b32 s2, hwreg(HW_REG_IB_STS2, 6, 4)
	s_add_co_i32 s5, s5, s4
	s_cmp_eq_u32 s2, 0
	s_mov_b32 s7, 0
	s_cselect_b32 s6, s3, s5
	s_wait_kmcnt 0x0
	s_cmp_ge_i32 s6, s30
	s_cbranch_scc1 .LBB549_39
; %bb.1:
	s_clause 0x2
	s_load_b512 s[8:23], s[0:1], 0x40
	s_load_b512 s[36:51], s[0:1], 0x0
	s_load_b128 s[24:27], s[0:1], 0x80
	s_bfe_u32 s3, ttmp6, 0x4000c
	s_bfe_u32 s5, ttmp6, 0x40010
	s_add_co_i32 s3, s3, 1
	s_and_b32 s28, ttmp7, 0xffff
	s_add_co_i32 s5, s5, 1
	v_bfe_u32 v4, v0, 10, 10
	v_and_b32_e32 v10, 0x3ff, v0
	s_and_b32 s4, ttmp6, 15
	s_mul_i32 s3, ttmp9, s3
	s_mul_i32 s5, s28, s5
	s_bfe_u32 s29, ttmp6, 0x40004
	s_add_co_i32 s4, s4, s3
	s_add_co_i32 s29, s29, s5
	s_cmp_eq_u32 s2, 0
	v_lshl_add_u32 v1, v4, 4, v10
	v_mov_b32_e32 v2, 0
	s_cselect_b32 s2, ttmp9, s4
	s_cselect_b32 s52, s28, s29
	s_ashr_i32 s3, s2, 31
	s_delay_alu instid0(VALU_DEP_1) | instskip(SKIP_4) | instid1(SALU_CYCLE_1)
	v_dual_mov_b32 v5, v2 :: v_dual_bitop2_b32 v3, 31, v1 bitop3:0x40
	v_dual_mov_b32 v7, v2 :: v_dual_lshrrev_b32 v6, 5, v1
	v_dual_lshrrev_b32 v12, 3, v1 :: v_dual_bitop2_b32 v0, 7, v0 bitop3:0x40
	v_mov_b32_e32 v13, v2
	s_lshl_b64 s[34:35], s[2:3], 5
	v_dual_mov_b32 v1, v2 :: v_dual_bitop2_b32 v8, s34, v3 bitop3:0x54
	s_wait_kmcnt 0x0
	v_mul_u64_e32 v[16:17], s[48:49], v[6:7]
	s_lshl_b32 s4, s52, 5
	s_mov_b32 s5, s7
	v_mul_u64_e32 v[14:15], s[10:11], v[0:1]
	v_add_nc_u64_e32 v[18:19], s[4:5], v[4:5]
	v_cmp_eq_f64_e64 s31, s[14:15], 0
	v_cmp_eq_f64_e64 s33, s[16:17], 0
	v_dual_mov_b32 v9, s35 :: v_dual_lshlrev_b32 v5, 4, v0
	v_dual_mov_b32 v11, v2 :: v_dual_lshlrev_b32 v24, 4, v3
	v_mul_u64_e32 v[22:23], s[20:21], v[18:19]
	s_delay_alu instid0(VALU_DEP_3)
	v_cmp_gt_i64_e32 vcc_lo, s[36:37], v[8:9]
	v_lshlrev_b32_e32 v44, 4, v10
	v_add_nc_u64_e32 v[20:21], s[4:5], v[12:13]
	v_add_nc_u64_e32 v[8:9], s[34:35], v[10:11]
	v_mul_u64_e32 v[10:11], s[26:27], v[18:19]
	s_load_b64 s[28:29], s[0:1], 0x90
	v_lshl_or_b32 v3, v12, 7, v5
	v_lshl_add_u32 v45, v4, 7, 0x1000
	s_wait_xcnt 0x0
	s_lshl_b32 s0, s52, 9
	s_mov_b32 s1, s7
	v_add_nc_u64_e32 v[4:5], 16, v[8:9]
	s_lshl_b64 s[2:3], s[2:3], 9
	v_dual_mov_b32 v25, v2 :: v_dual_lshlrev_b32 v12, 4, v12
	v_cmp_gt_i64_e64 s4, s[38:39], v[20:21]
	v_add_nc_u64_e32 v[20:21], 16, v[18:19]
	v_lshl_or_b32 v42, v6, 9, v24
	v_add_nc_u32_e32 v43, 0x1000, v3
	s_lshl_b64 s[26:27], s[26:27], 4
	s_lshl_b64 s[20:21], s[20:21], 4
	v_lshl_add_u64 v[16:17], v[16:17], 4, s[2:3]
	v_cmp_gt_i64_e64 s2, s[36:37], v[4:5]
	v_cmp_gt_i64_e64 s3, s[38:39], v[20:21]
	v_lshl_add_u64 v[14:15], v[14:15], 4, s[0:1]
	v_cmp_gt_i64_e64 s0, s[38:39], v[18:19]
	v_add_nc_u64_e32 v[4:5], v[16:17], v[24:25]
	s_and_b32 s31, s31, s33
	v_cmp_gt_i64_e64 s1, s[36:37], v[8:9]
	v_add_nc_u64_e32 v[14:15], v[14:15], v[12:13]
	v_cmp_gt_i64_e64 s33, s[40:41], 0
	s_lshl_b64 s[10:11], s[10:11], 7
	v_lshl_add_u64 v[12:13], v[22:23], 4, s[18:19]
	v_add_nc_u64_e32 v[16:17], s[46:47], v[4:5]
	s_lshl_b64 s[18:19], s[48:49], 7
	s_xor_b32 s34, vcc_lo, -1
	v_add_nc_u64_e32 v[14:15], s[8:9], v[14:15]
	s_lshl_b64 s[8:9], s[12:13], 4
	s_lshl_b64 s[12:13], s[50:51], 4
	s_xor_b32 s35, s4, -1
	s_branch .LBB549_4
.LBB549_2:                              ;   in Loop: Header=BB549_4 Depth=1
	s_wait_xcnt 0x0
	s_or_b32 exec_lo, exec_lo, s36
.LBB549_3:                              ;   in Loop: Header=BB549_4 Depth=1
	s_add_co_i32 s6, s6, 0x10000
	s_delay_alu instid0(SALU_CYCLE_1)
	s_cmp_lt_i32 s6, s30
	s_cbranch_scc0 .LBB549_39
.LBB549_4:                              ; =>This Loop Header: Depth=1
                                        ;     Child Loop BB549_7 Depth 2
	s_and_not1_b32 vcc_lo, exec_lo, s33
	s_cbranch_vccnz .LBB549_15
; %bb.5:                                ;   in Loop: Header=BB549_4 Depth=1
	v_mad_nc_u64_u32 v[18:19], s8, s6, v[14:15]
	v_mad_nc_u64_u32 v[20:21], s12, s6, v[16:17]
	v_mov_b64_e32 v[36:37], 0
	v_mov_b64_e32 v[34:35], 0
	;; [unrolled: 1-line block ×8, first 2 shown]
	s_mov_b64 s[4:5], 0
	v_mad_u32 v19, s9, s6, v19
	v_mad_u32 v21, s13, s6, v21
	s_branch .LBB549_7
.LBB549_6:                              ;   in Loop: Header=BB549_7 Depth=2
	s_wait_xcnt 0x0
	s_or_b32 exec_lo, exec_lo, s36
	s_wait_dscnt 0x0
	s_barrier_signal -1
	s_barrier_wait -1
	ds_load_b128 v[38:41], v45
	ds_load_b128 v[46:49], v45 offset:16
	ds_load_b128 v[50:53], v45 offset:32
	;; [unrolled: 1-line block ×3, first 2 shown]
	ds_load_b128 v[58:61], v44
	s_add_nc_u64 s[4:5], s[4:5], 8
	v_add_nc_u64_e32 v[18:19], s[10:11], v[18:19]
	v_cmp_lt_i64_e64 s36, s[4:5], s[40:41]
	v_add_nc_u64_e32 v[20:21], s[18:19], v[20:21]
	s_and_b32 vcc_lo, exec_lo, s36
	s_wait_dscnt 0x0
	v_mul_f64_e32 v[4:5], v[40:41], v[60:61]
	v_mul_f64_e32 v[62:63], v[38:39], v[60:61]
	s_delay_alu instid0(VALU_DEP_2) | instskip(NEXT) | instid1(VALU_DEP_2)
	v_fma_f64 v[4:5], v[38:39], v[58:59], -v[4:5]
	v_fmac_f64_e32 v[62:63], v[40:41], v[58:59]
	s_delay_alu instid0(VALU_DEP_2) | instskip(NEXT) | instid1(VALU_DEP_2)
	v_add_f64_e32 v[4:5], v[26:27], v[4:5]
	v_add_f64_e32 v[62:63], v[62:63], v[28:29]
	ds_load_b128 v[26:29], v44 offset:256
	s_wait_dscnt 0x0
	v_mul_f64_e32 v[64:65], v[40:41], v[28:29]
	s_delay_alu instid0(VALU_DEP_1) | instskip(SKIP_1) | instid1(VALU_DEP_1)
	v_fma_f64 v[64:65], v[38:39], v[26:27], -v[64:65]
	v_mul_f64_e32 v[38:39], v[38:39], v[28:29]
	v_fmac_f64_e32 v[38:39], v[40:41], v[26:27]
	s_delay_alu instid0(VALU_DEP_3) | instskip(NEXT) | instid1(VALU_DEP_2)
	v_add_f64_e32 v[40:41], v[22:23], v[64:65]
	v_add_f64_e32 v[38:39], v[38:39], v[24:25]
	ds_load_b128 v[22:25], v45 offset:2048
	s_wait_dscnt 0x0
	v_mul_f64_e32 v[64:65], v[24:25], v[60:61]
	v_mul_f64_e32 v[60:61], v[22:23], v[60:61]
	s_delay_alu instid0(VALU_DEP_2) | instskip(NEXT) | instid1(VALU_DEP_2)
	v_fma_f64 v[64:65], v[22:23], v[58:59], -v[64:65]
	v_fmac_f64_e32 v[60:61], v[24:25], v[58:59]
	s_delay_alu instid0(VALU_DEP_2) | instskip(SKIP_1) | instid1(VALU_DEP_3)
	v_add_f64_e32 v[58:59], v[30:31], v[64:65]
	v_mul_f64_e32 v[30:31], v[24:25], v[28:29]
	v_add_f64_e32 v[60:61], v[60:61], v[32:33]
	s_delay_alu instid0(VALU_DEP_2) | instskip(SKIP_1) | instid1(VALU_DEP_2)
	v_fma_f64 v[30:31], v[22:23], v[26:27], -v[30:31]
	v_mul_f64_e32 v[22:23], v[22:23], v[28:29]
	v_add_f64_e32 v[34:35], v[34:35], v[30:31]
	s_delay_alu instid0(VALU_DEP_2) | instskip(NEXT) | instid1(VALU_DEP_1)
	v_fmac_f64_e32 v[22:23], v[24:25], v[26:27]
	v_add_f64_e32 v[36:37], v[22:23], v[36:37]
	ds_load_b128 v[22:25], v44 offset:512
	s_wait_dscnt 0x0
	v_mul_f64_e32 v[26:27], v[48:49], v[24:25]
	v_mul_f64_e32 v[28:29], v[46:47], v[24:25]
	s_delay_alu instid0(VALU_DEP_2) | instskip(NEXT) | instid1(VALU_DEP_2)
	v_fma_f64 v[26:27], v[46:47], v[22:23], -v[26:27]
	v_fmac_f64_e32 v[28:29], v[48:49], v[22:23]
	s_delay_alu instid0(VALU_DEP_2) | instskip(NEXT) | instid1(VALU_DEP_2)
	v_add_f64_e32 v[4:5], v[4:5], v[26:27]
	v_add_f64_e32 v[62:63], v[28:29], v[62:63]
	ds_load_b128 v[26:29], v44 offset:768
	s_wait_dscnt 0x0
	v_mul_f64_e32 v[30:31], v[48:49], v[28:29]
	v_mul_f64_e32 v[32:33], v[46:47], v[28:29]
	s_delay_alu instid0(VALU_DEP_2) | instskip(NEXT) | instid1(VALU_DEP_2)
	v_fma_f64 v[30:31], v[46:47], v[26:27], -v[30:31]
	v_fmac_f64_e32 v[32:33], v[48:49], v[26:27]
	s_delay_alu instid0(VALU_DEP_2) | instskip(NEXT) | instid1(VALU_DEP_2)
	v_add_f64_e32 v[40:41], v[40:41], v[30:31]
	v_add_f64_e32 v[38:39], v[32:33], v[38:39]
	ds_load_b128 v[30:33], v45 offset:2064
	s_wait_dscnt 0x0
	v_mul_f64_e32 v[46:47], v[32:33], v[24:25]
	v_mul_f64_e32 v[24:25], v[30:31], v[24:25]
	s_delay_alu instid0(VALU_DEP_2) | instskip(NEXT) | instid1(VALU_DEP_2)
	v_fma_f64 v[46:47], v[30:31], v[22:23], -v[46:47]
	v_fmac_f64_e32 v[24:25], v[32:33], v[22:23]
	v_mul_f64_e32 v[22:23], v[32:33], v[28:29]
	s_delay_alu instid0(VALU_DEP_3) | instskip(NEXT) | instid1(VALU_DEP_3)
	v_add_f64_e32 v[46:47], v[58:59], v[46:47]
	v_add_f64_e32 v[48:49], v[24:25], v[60:61]
	v_mul_f64_e32 v[24:25], v[30:31], v[28:29]
	s_delay_alu instid0(VALU_DEP_4) | instskip(NEXT) | instid1(VALU_DEP_2)
	v_fma_f64 v[22:23], v[30:31], v[26:27], -v[22:23]
	v_fmac_f64_e32 v[24:25], v[32:33], v[26:27]
	s_delay_alu instid0(VALU_DEP_2) | instskip(NEXT) | instid1(VALU_DEP_2)
	v_add_f64_e32 v[34:35], v[34:35], v[22:23]
	v_add_f64_e32 v[36:37], v[24:25], v[36:37]
	ds_load_b128 v[22:25], v44 offset:1024
	s_wait_dscnt 0x0
	v_mul_f64_e32 v[26:27], v[52:53], v[24:25]
	v_mul_f64_e32 v[28:29], v[50:51], v[24:25]
	s_delay_alu instid0(VALU_DEP_2) | instskip(NEXT) | instid1(VALU_DEP_2)
	v_fma_f64 v[26:27], v[50:51], v[22:23], -v[26:27]
	v_fmac_f64_e32 v[28:29], v[52:53], v[22:23]
	s_delay_alu instid0(VALU_DEP_2) | instskip(NEXT) | instid1(VALU_DEP_2)
	v_add_f64_e32 v[4:5], v[4:5], v[26:27]
	v_add_f64_e32 v[58:59], v[28:29], v[62:63]
	ds_load_b128 v[26:29], v44 offset:1280
	s_wait_dscnt 0x0
	v_mul_f64_e32 v[30:31], v[52:53], v[28:29]
	v_mul_f64_e32 v[32:33], v[50:51], v[28:29]
	s_delay_alu instid0(VALU_DEP_2) | instskip(NEXT) | instid1(VALU_DEP_2)
	v_fma_f64 v[30:31], v[50:51], v[26:27], -v[30:31]
	v_fmac_f64_e32 v[32:33], v[52:53], v[26:27]
	s_delay_alu instid0(VALU_DEP_2) | instskip(NEXT) | instid1(VALU_DEP_2)
	v_add_f64_e32 v[40:41], v[40:41], v[30:31]
	v_add_f64_e32 v[38:39], v[32:33], v[38:39]
	ds_load_b128 v[30:33], v45 offset:2080
	s_wait_dscnt 0x0
	v_mul_f64_e32 v[50:51], v[32:33], v[24:25]
	v_mul_f64_e32 v[24:25], v[30:31], v[24:25]
	s_delay_alu instid0(VALU_DEP_2) | instskip(NEXT) | instid1(VALU_DEP_2)
	v_fma_f64 v[50:51], v[30:31], v[22:23], -v[50:51]
	v_fmac_f64_e32 v[24:25], v[32:33], v[22:23]
	v_mul_f64_e32 v[22:23], v[32:33], v[28:29]
	s_delay_alu instid0(VALU_DEP_3) | instskip(NEXT) | instid1(VALU_DEP_3)
	v_add_f64_e32 v[46:47], v[46:47], v[50:51]
	v_add_f64_e32 v[48:49], v[24:25], v[48:49]
	v_mul_f64_e32 v[24:25], v[30:31], v[28:29]
	s_delay_alu instid0(VALU_DEP_4) | instskip(NEXT) | instid1(VALU_DEP_2)
	v_fma_f64 v[22:23], v[30:31], v[26:27], -v[22:23]
	v_fmac_f64_e32 v[24:25], v[32:33], v[26:27]
	s_delay_alu instid0(VALU_DEP_2) | instskip(NEXT) | instid1(VALU_DEP_2)
	v_add_f64_e32 v[34:35], v[34:35], v[22:23]
	v_add_f64_e32 v[36:37], v[24:25], v[36:37]
	ds_load_b128 v[22:25], v44 offset:1536
	s_wait_dscnt 0x0
	v_mul_f64_e32 v[26:27], v[56:57], v[24:25]
	v_mul_f64_e32 v[28:29], v[54:55], v[24:25]
	s_delay_alu instid0(VALU_DEP_2) | instskip(NEXT) | instid1(VALU_DEP_2)
	v_fma_f64 v[26:27], v[54:55], v[22:23], -v[26:27]
	v_fmac_f64_e32 v[28:29], v[56:57], v[22:23]
	s_delay_alu instid0(VALU_DEP_2) | instskip(NEXT) | instid1(VALU_DEP_2)
	v_add_f64_e32 v[4:5], v[4:5], v[26:27]
	v_add_f64_e32 v[50:51], v[28:29], v[58:59]
	ds_load_b128 v[26:29], v44 offset:1792
	s_wait_dscnt 0x0
	v_mul_f64_e32 v[30:31], v[56:57], v[28:29]
	v_mul_f64_e32 v[32:33], v[54:55], v[28:29]
	s_delay_alu instid0(VALU_DEP_2) | instskip(NEXT) | instid1(VALU_DEP_2)
	v_fma_f64 v[30:31], v[54:55], v[26:27], -v[30:31]
	v_fmac_f64_e32 v[32:33], v[56:57], v[26:27]
	s_delay_alu instid0(VALU_DEP_2) | instskip(NEXT) | instid1(VALU_DEP_2)
	v_add_f64_e32 v[40:41], v[40:41], v[30:31]
	v_add_f64_e32 v[38:39], v[32:33], v[38:39]
	ds_load_b128 v[30:33], v45 offset:2096
	s_wait_dscnt 0x0
	v_mul_f64_e32 v[52:53], v[32:33], v[24:25]
	v_mul_f64_e32 v[24:25], v[30:31], v[24:25]
	s_delay_alu instid0(VALU_DEP_2) | instskip(NEXT) | instid1(VALU_DEP_2)
	v_fma_f64 v[52:53], v[30:31], v[22:23], -v[52:53]
	v_fmac_f64_e32 v[24:25], v[32:33], v[22:23]
	v_mul_f64_e32 v[22:23], v[32:33], v[28:29]
	s_delay_alu instid0(VALU_DEP_3) | instskip(NEXT) | instid1(VALU_DEP_3)
	v_add_f64_e32 v[46:47], v[46:47], v[52:53]
	v_add_f64_e32 v[48:49], v[24:25], v[48:49]
	v_mul_f64_e32 v[24:25], v[30:31], v[28:29]
	s_delay_alu instid0(VALU_DEP_4) | instskip(NEXT) | instid1(VALU_DEP_2)
	v_fma_f64 v[22:23], v[30:31], v[26:27], -v[22:23]
	v_fmac_f64_e32 v[24:25], v[32:33], v[26:27]
	s_delay_alu instid0(VALU_DEP_2) | instskip(NEXT) | instid1(VALU_DEP_2)
	v_add_f64_e32 v[34:35], v[34:35], v[22:23]
	v_add_f64_e32 v[36:37], v[24:25], v[36:37]
	ds_load_b128 v[22:25], v45 offset:64
	ds_load_b128 v[26:29], v44 offset:2048
	s_wait_dscnt 0x0
	v_mul_f64_e32 v[30:31], v[24:25], v[28:29]
	v_mul_f64_e32 v[32:33], v[22:23], v[28:29]
	s_delay_alu instid0(VALU_DEP_2) | instskip(NEXT) | instid1(VALU_DEP_2)
	v_fma_f64 v[30:31], v[22:23], v[26:27], -v[30:31]
	v_fmac_f64_e32 v[32:33], v[24:25], v[26:27]
	s_delay_alu instid0(VALU_DEP_2) | instskip(NEXT) | instid1(VALU_DEP_2)
	v_add_f64_e32 v[4:5], v[4:5], v[30:31]
	v_add_f64_e32 v[50:51], v[32:33], v[50:51]
	ds_load_b128 v[30:33], v44 offset:2304
	s_wait_dscnt 0x0
	v_mul_f64_e32 v[52:53], v[24:25], v[32:33]
	s_delay_alu instid0(VALU_DEP_1) | instskip(SKIP_1) | instid1(VALU_DEP_2)
	v_fma_f64 v[52:53], v[22:23], v[30:31], -v[52:53]
	v_mul_f64_e32 v[22:23], v[22:23], v[32:33]
	v_add_f64_e32 v[40:41], v[40:41], v[52:53]
	s_delay_alu instid0(VALU_DEP_2) | instskip(NEXT) | instid1(VALU_DEP_1)
	v_fmac_f64_e32 v[22:23], v[24:25], v[30:31]
	v_add_f64_e32 v[38:39], v[22:23], v[38:39]
	ds_load_b128 v[22:25], v45 offset:2112
	s_wait_dscnt 0x0
	v_mul_f64_e32 v[52:53], v[24:25], v[28:29]
	v_mul_f64_e32 v[28:29], v[22:23], v[28:29]
	s_delay_alu instid0(VALU_DEP_2) | instskip(NEXT) | instid1(VALU_DEP_2)
	v_fma_f64 v[52:53], v[22:23], v[26:27], -v[52:53]
	v_fmac_f64_e32 v[28:29], v[24:25], v[26:27]
	v_mul_f64_e32 v[26:27], v[24:25], v[32:33]
	s_delay_alu instid0(VALU_DEP_3) | instskip(NEXT) | instid1(VALU_DEP_3)
	v_add_f64_e32 v[46:47], v[46:47], v[52:53]
	v_add_f64_e32 v[48:49], v[28:29], v[48:49]
	s_delay_alu instid0(VALU_DEP_3) | instskip(SKIP_1) | instid1(VALU_DEP_2)
	v_fma_f64 v[26:27], v[22:23], v[30:31], -v[26:27]
	v_mul_f64_e32 v[22:23], v[22:23], v[32:33]
	v_add_f64_e32 v[34:35], v[34:35], v[26:27]
	s_delay_alu instid0(VALU_DEP_2) | instskip(NEXT) | instid1(VALU_DEP_1)
	v_fmac_f64_e32 v[22:23], v[24:25], v[30:31]
	v_add_f64_e32 v[36:37], v[22:23], v[36:37]
	ds_load_b128 v[22:25], v45 offset:80
	ds_load_b128 v[26:29], v44 offset:2560
	s_wait_dscnt 0x0
	v_mul_f64_e32 v[30:31], v[24:25], v[28:29]
	v_mul_f64_e32 v[32:33], v[22:23], v[28:29]
	s_delay_alu instid0(VALU_DEP_2) | instskip(NEXT) | instid1(VALU_DEP_2)
	v_fma_f64 v[30:31], v[22:23], v[26:27], -v[30:31]
	v_fmac_f64_e32 v[32:33], v[24:25], v[26:27]
	s_delay_alu instid0(VALU_DEP_2) | instskip(NEXT) | instid1(VALU_DEP_2)
	v_add_f64_e32 v[4:5], v[4:5], v[30:31]
	v_add_f64_e32 v[50:51], v[32:33], v[50:51]
	ds_load_b128 v[30:33], v44 offset:2816
	s_wait_dscnt 0x0
	v_mul_f64_e32 v[52:53], v[24:25], v[32:33]
	s_delay_alu instid0(VALU_DEP_1) | instskip(SKIP_1) | instid1(VALU_DEP_2)
	v_fma_f64 v[52:53], v[22:23], v[30:31], -v[52:53]
	v_mul_f64_e32 v[22:23], v[22:23], v[32:33]
	v_add_f64_e32 v[40:41], v[40:41], v[52:53]
	s_delay_alu instid0(VALU_DEP_2) | instskip(NEXT) | instid1(VALU_DEP_1)
	v_fmac_f64_e32 v[22:23], v[24:25], v[30:31]
	v_add_f64_e32 v[38:39], v[22:23], v[38:39]
	ds_load_b128 v[22:25], v45 offset:2128
	s_wait_dscnt 0x0
	v_mul_f64_e32 v[52:53], v[24:25], v[28:29]
	v_mul_f64_e32 v[28:29], v[22:23], v[28:29]
	s_delay_alu instid0(VALU_DEP_2) | instskip(NEXT) | instid1(VALU_DEP_2)
	v_fma_f64 v[52:53], v[22:23], v[26:27], -v[52:53]
	v_fmac_f64_e32 v[28:29], v[24:25], v[26:27]
	v_mul_f64_e32 v[26:27], v[24:25], v[32:33]
	s_delay_alu instid0(VALU_DEP_3) | instskip(NEXT) | instid1(VALU_DEP_3)
	v_add_f64_e32 v[46:47], v[46:47], v[52:53]
	v_add_f64_e32 v[48:49], v[28:29], v[48:49]
	s_delay_alu instid0(VALU_DEP_3) | instskip(SKIP_1) | instid1(VALU_DEP_2)
	v_fma_f64 v[26:27], v[22:23], v[30:31], -v[26:27]
	v_mul_f64_e32 v[22:23], v[22:23], v[32:33]
	v_add_f64_e32 v[34:35], v[34:35], v[26:27]
	s_delay_alu instid0(VALU_DEP_2) | instskip(NEXT) | instid1(VALU_DEP_1)
	v_fmac_f64_e32 v[22:23], v[24:25], v[30:31]
	;; [unrolled: 39-line block ×3, first 2 shown]
	v_add_f64_e32 v[54:55], v[22:23], v[36:37]
	ds_load_b128 v[22:25], v45 offset:112
	ds_load_b128 v[30:33], v44 offset:3584
	;; [unrolled: 1-line block ×3, first 2 shown]
	s_wait_dscnt 0x1
	v_mul_f64_e32 v[26:27], v[24:25], v[32:33]
	v_mul_f64_e32 v[28:29], v[22:23], v[32:33]
	s_delay_alu instid0(VALU_DEP_2) | instskip(NEXT) | instid1(VALU_DEP_2)
	v_fma_f64 v[26:27], v[22:23], v[30:31], -v[26:27]
	v_fmac_f64_e32 v[28:29], v[24:25], v[30:31]
	s_delay_alu instid0(VALU_DEP_2) | instskip(NEXT) | instid1(VALU_DEP_2)
	v_add_f64_e32 v[26:27], v[4:5], v[26:27]
	v_add_f64_e32 v[28:29], v[28:29], v[50:51]
	s_wait_dscnt 0x0
	v_mul_f64_e32 v[4:5], v[24:25], v[36:37]
	v_mul_f64_e32 v[50:51], v[22:23], v[36:37]
	s_delay_alu instid0(VALU_DEP_2) | instskip(NEXT) | instid1(VALU_DEP_2)
	v_fma_f64 v[4:5], v[22:23], v[34:35], -v[4:5]
	v_fmac_f64_e32 v[50:51], v[24:25], v[34:35]
	s_delay_alu instid0(VALU_DEP_2) | instskip(NEXT) | instid1(VALU_DEP_2)
	v_add_f64_e32 v[22:23], v[40:41], v[4:5]
	v_add_f64_e32 v[24:25], v[50:51], v[38:39]
	ds_load_b128 v[38:41], v45 offset:2160
	s_wait_dscnt 0x0
	s_barrier_signal -1
	s_barrier_wait -1
	v_mul_f64_e32 v[4:5], v[40:41], v[32:33]
	v_mul_f64_e32 v[32:33], v[38:39], v[32:33]
	s_delay_alu instid0(VALU_DEP_2) | instskip(NEXT) | instid1(VALU_DEP_2)
	v_fma_f64 v[4:5], v[38:39], v[30:31], -v[4:5]
	v_fmac_f64_e32 v[32:33], v[40:41], v[30:31]
	s_delay_alu instid0(VALU_DEP_2) | instskip(SKIP_2) | instid1(VALU_DEP_4)
	v_add_f64_e32 v[30:31], v[46:47], v[4:5]
	v_mul_f64_e32 v[4:5], v[40:41], v[36:37]
	v_mul_f64_e32 v[36:37], v[38:39], v[36:37]
	v_add_f64_e32 v[32:33], v[32:33], v[48:49]
	s_delay_alu instid0(VALU_DEP_3) | instskip(NEXT) | instid1(VALU_DEP_3)
	v_fma_f64 v[4:5], v[38:39], v[34:35], -v[4:5]
	v_fmac_f64_e32 v[36:37], v[40:41], v[34:35]
	s_delay_alu instid0(VALU_DEP_2) | instskip(NEXT) | instid1(VALU_DEP_2)
	v_add_f64_e32 v[34:35], v[52:53], v[4:5]
	v_add_f64_e32 v[36:37], v[36:37], v[54:55]
	s_cbranch_vccz .LBB549_16
.LBB549_7:                              ;   Parent Loop BB549_4 Depth=1
                                        ; =>  This Inner Loop Header: Depth=2
	v_add_nc_u64_e32 v[4:5], s[4:5], v[6:7]
	s_delay_alu instid0(VALU_DEP_1) | instskip(SKIP_1) | instid1(SALU_CYCLE_1)
	v_cmp_le_i64_e32 vcc_lo, s[40:41], v[4:5]
	s_or_b32 s36, s34, vcc_lo
	s_and_saveexec_b32 s37, s36
	s_delay_alu instid0(SALU_CYCLE_1)
	s_xor_b32 s36, exec_lo, s37
; %bb.8:                                ;   in Loop: Header=BB549_7 Depth=2
	v_dual_mov_b32 v3, v2 :: v_dual_mov_b32 v4, v2
	v_mov_b32_e32 v5, v2
	ds_store_b128 v42, v[2:5]
; %bb.9:                                ;   in Loop: Header=BB549_7 Depth=2
	s_and_not1_saveexec_b32 s36, s36
	s_cbranch_execz .LBB549_11
; %bb.10:                               ;   in Loop: Header=BB549_7 Depth=2
	global_load_b128 v[38:41], v[20:21], off
	s_wait_loadcnt 0x0
	ds_store_2addr_b64 v42, v[38:39], v[40:41] offset1:1
.LBB549_11:                             ;   in Loop: Header=BB549_7 Depth=2
	s_wait_xcnt 0x0
	s_or_b32 exec_lo, exec_lo, s36
	v_add_nc_u64_e32 v[4:5], s[4:5], v[0:1]
	s_delay_alu instid0(VALU_DEP_1) | instskip(SKIP_1) | instid1(SALU_CYCLE_1)
	v_cmp_le_i64_e32 vcc_lo, s[40:41], v[4:5]
	s_or_b32 s36, vcc_lo, s35
	s_and_saveexec_b32 s37, s36
	s_delay_alu instid0(SALU_CYCLE_1)
	s_xor_b32 s36, exec_lo, s37
; %bb.12:                               ;   in Loop: Header=BB549_7 Depth=2
	v_dual_mov_b32 v3, v2 :: v_dual_mov_b32 v4, v2
	v_mov_b32_e32 v5, v2
	ds_store_b128 v43, v[2:5]
; %bb.13:                               ;   in Loop: Header=BB549_7 Depth=2
	s_and_not1_saveexec_b32 s36, s36
	s_cbranch_execz .LBB549_6
; %bb.14:                               ;   in Loop: Header=BB549_7 Depth=2
	global_load_b128 v[38:41], v[18:19], off
	s_wait_loadcnt 0x0
	ds_store_2addr_b64 v43, v[38:39], v[40:41] offset1:1
	s_branch .LBB549_6
.LBB549_15:                             ;   in Loop: Header=BB549_4 Depth=1
	v_mov_b64_e32 v[26:27], 0
	v_mov_b64_e32 v[28:29], 0
	;; [unrolled: 1-line block ×8, first 2 shown]
.LBB549_16:                             ;   in Loop: Header=BB549_4 Depth=1
	s_wait_kmcnt 0x0
	s_mul_u64 s[4:5], s[28:29], s[6:7]
	s_and_not1_b32 vcc_lo, exec_lo, s31
	s_lshl_b64 s[4:5], s[4:5], 4
	s_mov_b32 s36, -1
	s_add_nc_u64 s[4:5], s[24:25], s[4:5]
	s_cbranch_vccz .LBB549_18
; %bb.17:                               ;   in Loop: Header=BB549_4 Depth=1
	s_and_not1_b32 vcc_lo, exec_lo, s36
	s_cbranch_vccnz .LBB549_3
	s_branch .LBB549_29
.LBB549_18:                             ;   in Loop: Header=BB549_4 Depth=1
	s_and_saveexec_b32 s36, s0
	s_cbranch_execz .LBB549_28
; %bb.19:                               ;   in Loop: Header=BB549_4 Depth=1
	v_lshl_add_u64 v[4:5], v[10:11], 4, s[4:5]
	s_delay_alu instid0(VALU_DEP_1)
	v_lshl_add_u64 v[18:19], v[8:9], 4, v[4:5]
	s_and_saveexec_b32 s37, s1
	s_cbranch_execnz .LBB549_22
; %bb.20:                               ;   in Loop: Header=BB549_4 Depth=1
	s_or_b32 exec_lo, exec_lo, s37
	s_and_saveexec_b32 s37, s2
	s_cbranch_execnz .LBB549_23
.LBB549_21:                             ;   in Loop: Header=BB549_4 Depth=1
	s_or_b32 exec_lo, exec_lo, s37
	s_delay_alu instid0(SALU_CYCLE_1)
	s_and_b32 exec_lo, exec_lo, s3
	s_cbranch_execnz .LBB549_24
	s_branch .LBB549_28
.LBB549_22:                             ;   in Loop: Header=BB549_4 Depth=1
	v_mul_f64_e32 v[20:21], s[44:45], v[28:29]
	v_mul_f64_e32 v[40:41], s[42:43], v[28:29]
	s_delay_alu instid0(VALU_DEP_2) | instskip(NEXT) | instid1(VALU_DEP_2)
	v_fma_f64 v[38:39], s[42:43], v[26:27], -v[20:21]
	v_fmac_f64_e32 v[40:41], s[44:45], v[26:27]
	global_store_b128 v[18:19], v[38:41], off
	s_wait_xcnt 0x0
	s_or_b32 exec_lo, exec_lo, s37
	s_and_saveexec_b32 s37, s2
	s_cbranch_execz .LBB549_21
.LBB549_23:                             ;   in Loop: Header=BB549_4 Depth=1
	v_mul_f64_e32 v[20:21], s[44:45], v[24:25]
	v_mul_f64_e32 v[40:41], s[42:43], v[24:25]
	s_delay_alu instid0(VALU_DEP_2) | instskip(NEXT) | instid1(VALU_DEP_2)
	v_fma_f64 v[38:39], s[42:43], v[22:23], -v[20:21]
	v_fmac_f64_e32 v[40:41], s[44:45], v[22:23]
	global_store_b128 v[18:19], v[38:41], off offset:256
	s_wait_xcnt 0x0
	s_or_b32 exec_lo, exec_lo, s37
	s_delay_alu instid0(SALU_CYCLE_1)
	s_and_b32 exec_lo, exec_lo, s3
	s_cbranch_execz .LBB549_28
.LBB549_24:                             ;   in Loop: Header=BB549_4 Depth=1
	v_lshl_add_u64 v[4:5], s[26:27], 4, v[4:5]
	s_delay_alu instid0(VALU_DEP_1)
	v_lshl_add_u64 v[4:5], v[8:9], 4, v[4:5]
	s_and_saveexec_b32 s37, s1
	s_cbranch_execz .LBB549_26
; %bb.25:                               ;   in Loop: Header=BB549_4 Depth=1
	v_mul_f64_e32 v[18:19], s[44:45], v[32:33]
	v_mul_f64_e32 v[20:21], s[42:43], v[32:33]
	s_delay_alu instid0(VALU_DEP_2) | instskip(NEXT) | instid1(VALU_DEP_2)
	v_fma_f64 v[18:19], s[42:43], v[30:31], -v[18:19]
	v_fmac_f64_e32 v[20:21], s[44:45], v[30:31]
	global_store_b128 v[4:5], v[18:21], off
.LBB549_26:                             ;   in Loop: Header=BB549_4 Depth=1
	s_wait_xcnt 0x0
	s_or_b32 exec_lo, exec_lo, s37
	s_delay_alu instid0(SALU_CYCLE_1)
	s_and_b32 exec_lo, exec_lo, s2
	s_cbranch_execz .LBB549_28
; %bb.27:                               ;   in Loop: Header=BB549_4 Depth=1
	v_mul_f64_e32 v[18:19], s[44:45], v[36:37]
	v_mul_f64_e32 v[20:21], s[42:43], v[36:37]
	s_delay_alu instid0(VALU_DEP_2) | instskip(NEXT) | instid1(VALU_DEP_2)
	v_fma_f64 v[18:19], s[42:43], v[34:35], -v[18:19]
	v_fmac_f64_e32 v[20:21], s[44:45], v[34:35]
	global_store_b128 v[4:5], v[18:21], off offset:256
.LBB549_28:                             ;   in Loop: Header=BB549_4 Depth=1
	s_wait_xcnt 0x0
	s_or_b32 exec_lo, exec_lo, s36
	s_cbranch_execnz .LBB549_3
.LBB549_29:                             ;   in Loop: Header=BB549_4 Depth=1
	s_and_saveexec_b32 s36, s0
	s_cbranch_execz .LBB549_2
; %bb.30:                               ;   in Loop: Header=BB549_4 Depth=1
	s_mul_u64 s[38:39], s[22:23], s[6:7]
	v_lshlrev_b64_e32 v[4:5], 4, v[8:9]
	v_lshl_add_u64 v[18:19], s[38:39], 4, v[12:13]
	v_lshl_add_u64 v[20:21], v[10:11], 4, s[4:5]
	s_delay_alu instid0(VALU_DEP_2) | instskip(NEXT) | instid1(VALU_DEP_2)
	v_add_nc_u64_e32 v[40:41], v[18:19], v[4:5]
	v_add_nc_u64_e32 v[38:39], v[20:21], v[4:5]
	s_and_saveexec_b32 s4, s1
	s_cbranch_execnz .LBB549_33
; %bb.31:                               ;   in Loop: Header=BB549_4 Depth=1
	s_or_b32 exec_lo, exec_lo, s4
	s_and_saveexec_b32 s4, s2
	s_cbranch_execnz .LBB549_34
.LBB549_32:                             ;   in Loop: Header=BB549_4 Depth=1
	s_or_b32 exec_lo, exec_lo, s4
	s_delay_alu instid0(SALU_CYCLE_1)
	s_and_b32 exec_lo, exec_lo, s3
	s_cbranch_execz .LBB549_2
	s_branch .LBB549_35
.LBB549_33:                             ;   in Loop: Header=BB549_4 Depth=1
	global_load_b128 v[46:49], v[40:41], off
	v_mul_f64_e32 v[50:51], s[44:45], v[28:29]
	v_mul_f64_e32 v[28:29], s[42:43], v[28:29]
	s_delay_alu instid0(VALU_DEP_2) | instskip(NEXT) | instid1(VALU_DEP_2)
	v_fma_f64 v[50:51], s[42:43], v[26:27], -v[50:51]
	v_fmac_f64_e32 v[28:29], s[44:45], v[26:27]
	s_wait_loadcnt 0x0
	v_mul_f64_e32 v[52:53], s[16:17], v[48:49]
	v_mul_f64_e32 v[48:49], s[14:15], v[48:49]
	s_delay_alu instid0(VALU_DEP_2) | instskip(NEXT) | instid1(VALU_DEP_2)
	v_fma_f64 v[26:27], s[14:15], v[46:47], -v[52:53]
	v_fmac_f64_e32 v[48:49], s[16:17], v[46:47]
	s_delay_alu instid0(VALU_DEP_2) | instskip(NEXT) | instid1(VALU_DEP_2)
	v_add_f64_e32 v[26:27], v[50:51], v[26:27]
	v_add_f64_e32 v[28:29], v[28:29], v[48:49]
	global_store_b128 v[38:39], v[26:29], off
	s_wait_xcnt 0x0
	s_or_b32 exec_lo, exec_lo, s4
	s_and_saveexec_b32 s4, s2
	s_cbranch_execz .LBB549_32
.LBB549_34:                             ;   in Loop: Header=BB549_4 Depth=1
	global_load_b128 v[26:29], v[40:41], off offset:256
	s_wait_xcnt 0x0
	v_mul_f64_e32 v[40:41], s[44:45], v[24:25]
	v_mul_f64_e32 v[24:25], s[42:43], v[24:25]
	s_delay_alu instid0(VALU_DEP_2) | instskip(NEXT) | instid1(VALU_DEP_2)
	v_fma_f64 v[40:41], s[42:43], v[22:23], -v[40:41]
	v_fmac_f64_e32 v[24:25], s[44:45], v[22:23]
	s_wait_loadcnt 0x0
	v_mul_f64_e32 v[46:47], s[16:17], v[28:29]
	v_mul_f64_e32 v[28:29], s[14:15], v[28:29]
	s_delay_alu instid0(VALU_DEP_2) | instskip(NEXT) | instid1(VALU_DEP_2)
	v_fma_f64 v[22:23], s[14:15], v[26:27], -v[46:47]
	v_fmac_f64_e32 v[28:29], s[16:17], v[26:27]
	s_delay_alu instid0(VALU_DEP_2) | instskip(NEXT) | instid1(VALU_DEP_2)
	v_add_f64_e32 v[22:23], v[40:41], v[22:23]
	v_add_f64_e32 v[24:25], v[24:25], v[28:29]
	global_store_b128 v[38:39], v[22:25], off offset:256
	s_wait_xcnt 0x0
	s_or_b32 exec_lo, exec_lo, s4
	s_delay_alu instid0(SALU_CYCLE_1)
	s_and_b32 exec_lo, exec_lo, s3
	s_cbranch_execz .LBB549_2
.LBB549_35:                             ;   in Loop: Header=BB549_4 Depth=1
	v_lshl_add_u64 v[18:19], s[20:21], 4, v[18:19]
	v_lshl_add_u64 v[20:21], s[26:27], 4, v[20:21]
	s_delay_alu instid0(VALU_DEP_2) | instskip(NEXT) | instid1(VALU_DEP_2)
	v_add_nc_u64_e32 v[18:19], v[18:19], v[4:5]
	v_add_nc_u64_e32 v[4:5], v[20:21], v[4:5]
	s_and_saveexec_b32 s4, s1
	s_cbranch_execz .LBB549_37
; %bb.36:                               ;   in Loop: Header=BB549_4 Depth=1
	global_load_b128 v[20:23], v[18:19], off
	v_mul_f64_e32 v[24:25], s[44:45], v[32:33]
	v_mul_f64_e32 v[26:27], s[42:43], v[32:33]
	s_delay_alu instid0(VALU_DEP_2) | instskip(NEXT) | instid1(VALU_DEP_2)
	v_fma_f64 v[24:25], s[42:43], v[30:31], -v[24:25]
	v_fmac_f64_e32 v[26:27], s[44:45], v[30:31]
	s_wait_loadcnt 0x0
	v_mul_f64_e32 v[28:29], s[16:17], v[22:23]
	v_mul_f64_e32 v[22:23], s[14:15], v[22:23]
	s_delay_alu instid0(VALU_DEP_2) | instskip(NEXT) | instid1(VALU_DEP_2)
	v_fma_f64 v[28:29], s[14:15], v[20:21], -v[28:29]
	v_fmac_f64_e32 v[22:23], s[16:17], v[20:21]
	s_delay_alu instid0(VALU_DEP_2) | instskip(NEXT) | instid1(VALU_DEP_2)
	v_add_f64_e32 v[20:21], v[24:25], v[28:29]
	v_add_f64_e32 v[22:23], v[26:27], v[22:23]
	global_store_b128 v[4:5], v[20:23], off
.LBB549_37:                             ;   in Loop: Header=BB549_4 Depth=1
	s_wait_xcnt 0x0
	s_or_b32 exec_lo, exec_lo, s4
	s_delay_alu instid0(SALU_CYCLE_1)
	s_and_b32 exec_lo, exec_lo, s2
	s_cbranch_execz .LBB549_2
; %bb.38:                               ;   in Loop: Header=BB549_4 Depth=1
	global_load_b128 v[18:21], v[18:19], off offset:256
	v_mul_f64_e32 v[22:23], s[44:45], v[36:37]
	v_mul_f64_e32 v[24:25], s[42:43], v[36:37]
	s_delay_alu instid0(VALU_DEP_2) | instskip(NEXT) | instid1(VALU_DEP_2)
	v_fma_f64 v[22:23], s[42:43], v[34:35], -v[22:23]
	v_fmac_f64_e32 v[24:25], s[44:45], v[34:35]
	s_wait_loadcnt 0x0
	v_mul_f64_e32 v[26:27], s[16:17], v[20:21]
	v_mul_f64_e32 v[20:21], s[14:15], v[20:21]
	s_delay_alu instid0(VALU_DEP_2) | instskip(NEXT) | instid1(VALU_DEP_2)
	v_fma_f64 v[26:27], s[14:15], v[18:19], -v[26:27]
	v_fmac_f64_e32 v[20:21], s[16:17], v[18:19]
	s_wait_xcnt 0x0
	s_delay_alu instid0(VALU_DEP_2) | instskip(NEXT) | instid1(VALU_DEP_2)
	v_add_f64_e32 v[18:19], v[22:23], v[26:27]
	v_add_f64_e32 v[20:21], v[24:25], v[20:21]
	global_store_b128 v[4:5], v[18:21], off offset:256
	s_branch .LBB549_2
.LBB549_39:
	s_sendmsg sendmsg(MSG_DEALLOC_VGPRS)
	s_endpgm
	.section	.rodata,"a",@progbits
	.p2align	6, 0x0
	.amdhsa_kernel _ZN12_GLOBAL__N_135rocblas_gemm_batched_general_kernelI19rocblas_complex_numIdELi16ELi16ELi32ELi32ELi8ELi32ELi8ELi8ELi32ELc78ELc84EKS2_S3_S2_EEvlllT_PT11_llS6_llS4_PT12_llPT13_lli
		.amdhsa_group_segment_fixed_size 8192
		.amdhsa_private_segment_fixed_size 0
		.amdhsa_kernarg_size 156
		.amdhsa_user_sgpr_count 2
		.amdhsa_user_sgpr_dispatch_ptr 0
		.amdhsa_user_sgpr_queue_ptr 0
		.amdhsa_user_sgpr_kernarg_segment_ptr 1
		.amdhsa_user_sgpr_dispatch_id 0
		.amdhsa_user_sgpr_kernarg_preload_length 0
		.amdhsa_user_sgpr_kernarg_preload_offset 0
		.amdhsa_user_sgpr_private_segment_size 0
		.amdhsa_wavefront_size32 1
		.amdhsa_uses_dynamic_stack 0
		.amdhsa_enable_private_segment 0
		.amdhsa_system_sgpr_workgroup_id_x 1
		.amdhsa_system_sgpr_workgroup_id_y 1
		.amdhsa_system_sgpr_workgroup_id_z 1
		.amdhsa_system_sgpr_workgroup_info 0
		.amdhsa_system_vgpr_workitem_id 1
		.amdhsa_next_free_vgpr 66
		.amdhsa_next_free_sgpr 53
		.amdhsa_named_barrier_count 0
		.amdhsa_reserve_vcc 1
		.amdhsa_float_round_mode_32 0
		.amdhsa_float_round_mode_16_64 0
		.amdhsa_float_denorm_mode_32 3
		.amdhsa_float_denorm_mode_16_64 3
		.amdhsa_fp16_overflow 0
		.amdhsa_memory_ordered 1
		.amdhsa_forward_progress 1
		.amdhsa_inst_pref_size 26
		.amdhsa_round_robin_scheduling 0
		.amdhsa_exception_fp_ieee_invalid_op 0
		.amdhsa_exception_fp_denorm_src 0
		.amdhsa_exception_fp_ieee_div_zero 0
		.amdhsa_exception_fp_ieee_overflow 0
		.amdhsa_exception_fp_ieee_underflow 0
		.amdhsa_exception_fp_ieee_inexact 0
		.amdhsa_exception_int_div_zero 0
	.end_amdhsa_kernel
	.section	.text._ZN12_GLOBAL__N_135rocblas_gemm_batched_general_kernelI19rocblas_complex_numIdELi16ELi16ELi32ELi32ELi8ELi32ELi8ELi8ELi32ELc78ELc84EKS2_S3_S2_EEvlllT_PT11_llS6_llS4_PT12_llPT13_lli,"axG",@progbits,_ZN12_GLOBAL__N_135rocblas_gemm_batched_general_kernelI19rocblas_complex_numIdELi16ELi16ELi32ELi32ELi8ELi32ELi8ELi8ELi32ELc78ELc84EKS2_S3_S2_EEvlllT_PT11_llS6_llS4_PT12_llPT13_lli,comdat
.Lfunc_end549:
	.size	_ZN12_GLOBAL__N_135rocblas_gemm_batched_general_kernelI19rocblas_complex_numIdELi16ELi16ELi32ELi32ELi8ELi32ELi8ELi8ELi32ELc78ELc84EKS2_S3_S2_EEvlllT_PT11_llS6_llS4_PT12_llPT13_lli, .Lfunc_end549-_ZN12_GLOBAL__N_135rocblas_gemm_batched_general_kernelI19rocblas_complex_numIdELi16ELi16ELi32ELi32ELi8ELi32ELi8ELi8ELi32ELc78ELc84EKS2_S3_S2_EEvlllT_PT11_llS6_llS4_PT12_llPT13_lli
                                        ; -- End function
	.set _ZN12_GLOBAL__N_135rocblas_gemm_batched_general_kernelI19rocblas_complex_numIdELi16ELi16ELi32ELi32ELi8ELi32ELi8ELi8ELi32ELc78ELc84EKS2_S3_S2_EEvlllT_PT11_llS6_llS4_PT12_llPT13_lli.num_vgpr, 66
	.set _ZN12_GLOBAL__N_135rocblas_gemm_batched_general_kernelI19rocblas_complex_numIdELi16ELi16ELi32ELi32ELi8ELi32ELi8ELi8ELi32ELc78ELc84EKS2_S3_S2_EEvlllT_PT11_llS6_llS4_PT12_llPT13_lli.num_agpr, 0
	.set _ZN12_GLOBAL__N_135rocblas_gemm_batched_general_kernelI19rocblas_complex_numIdELi16ELi16ELi32ELi32ELi8ELi32ELi8ELi8ELi32ELc78ELc84EKS2_S3_S2_EEvlllT_PT11_llS6_llS4_PT12_llPT13_lli.numbered_sgpr, 53
	.set _ZN12_GLOBAL__N_135rocblas_gemm_batched_general_kernelI19rocblas_complex_numIdELi16ELi16ELi32ELi32ELi8ELi32ELi8ELi8ELi32ELc78ELc84EKS2_S3_S2_EEvlllT_PT11_llS6_llS4_PT12_llPT13_lli.num_named_barrier, 0
	.set _ZN12_GLOBAL__N_135rocblas_gemm_batched_general_kernelI19rocblas_complex_numIdELi16ELi16ELi32ELi32ELi8ELi32ELi8ELi8ELi32ELc78ELc84EKS2_S3_S2_EEvlllT_PT11_llS6_llS4_PT12_llPT13_lli.private_seg_size, 0
	.set _ZN12_GLOBAL__N_135rocblas_gemm_batched_general_kernelI19rocblas_complex_numIdELi16ELi16ELi32ELi32ELi8ELi32ELi8ELi8ELi32ELc78ELc84EKS2_S3_S2_EEvlllT_PT11_llS6_llS4_PT12_llPT13_lli.uses_vcc, 1
	.set _ZN12_GLOBAL__N_135rocblas_gemm_batched_general_kernelI19rocblas_complex_numIdELi16ELi16ELi32ELi32ELi8ELi32ELi8ELi8ELi32ELc78ELc84EKS2_S3_S2_EEvlllT_PT11_llS6_llS4_PT12_llPT13_lli.uses_flat_scratch, 0
	.set _ZN12_GLOBAL__N_135rocblas_gemm_batched_general_kernelI19rocblas_complex_numIdELi16ELi16ELi32ELi32ELi8ELi32ELi8ELi8ELi32ELc78ELc84EKS2_S3_S2_EEvlllT_PT11_llS6_llS4_PT12_llPT13_lli.has_dyn_sized_stack, 0
	.set _ZN12_GLOBAL__N_135rocblas_gemm_batched_general_kernelI19rocblas_complex_numIdELi16ELi16ELi32ELi32ELi8ELi32ELi8ELi8ELi32ELc78ELc84EKS2_S3_S2_EEvlllT_PT11_llS6_llS4_PT12_llPT13_lli.has_recursion, 0
	.set _ZN12_GLOBAL__N_135rocblas_gemm_batched_general_kernelI19rocblas_complex_numIdELi16ELi16ELi32ELi32ELi8ELi32ELi8ELi8ELi32ELc78ELc84EKS2_S3_S2_EEvlllT_PT11_llS6_llS4_PT12_llPT13_lli.has_indirect_call, 0
	.section	.AMDGPU.csdata,"",@progbits
; Kernel info:
; codeLenInByte = 3316
; TotalNumSgprs: 55
; NumVgprs: 66
; ScratchSize: 0
; MemoryBound: 0
; FloatMode: 240
; IeeeMode: 1
; LDSByteSize: 8192 bytes/workgroup (compile time only)
; SGPRBlocks: 0
; VGPRBlocks: 4
; NumSGPRsForWavesPerEU: 55
; NumVGPRsForWavesPerEU: 66
; NamedBarCnt: 0
; Occupancy: 12
; WaveLimiterHint : 0
; COMPUTE_PGM_RSRC2:SCRATCH_EN: 0
; COMPUTE_PGM_RSRC2:USER_SGPR: 2
; COMPUTE_PGM_RSRC2:TRAP_HANDLER: 0
; COMPUTE_PGM_RSRC2:TGID_X_EN: 1
; COMPUTE_PGM_RSRC2:TGID_Y_EN: 1
; COMPUTE_PGM_RSRC2:TGID_Z_EN: 1
; COMPUTE_PGM_RSRC2:TIDIG_COMP_CNT: 1
	.section	.text._ZN12_GLOBAL__N_135rocblas_gemm_batched_general_kernelI19rocblas_complex_numIdELi16ELi16ELi32ELi32ELi8ELi32ELi8ELi8ELi32ELc84ELc84EKS2_S3_S2_EEvlllT_PT11_llS6_llS4_PT12_llPT13_lli,"axG",@progbits,_ZN12_GLOBAL__N_135rocblas_gemm_batched_general_kernelI19rocblas_complex_numIdELi16ELi16ELi32ELi32ELi8ELi32ELi8ELi8ELi32ELc84ELc84EKS2_S3_S2_EEvlllT_PT11_llS6_llS4_PT12_llPT13_lli,comdat
	.globl	_ZN12_GLOBAL__N_135rocblas_gemm_batched_general_kernelI19rocblas_complex_numIdELi16ELi16ELi32ELi32ELi8ELi32ELi8ELi8ELi32ELc84ELc84EKS2_S3_S2_EEvlllT_PT11_llS6_llS4_PT12_llPT13_lli ; -- Begin function _ZN12_GLOBAL__N_135rocblas_gemm_batched_general_kernelI19rocblas_complex_numIdELi16ELi16ELi32ELi32ELi8ELi32ELi8ELi8ELi32ELc84ELc84EKS2_S3_S2_EEvlllT_PT11_llS6_llS4_PT12_llPT13_lli
	.p2align	8
	.type	_ZN12_GLOBAL__N_135rocblas_gemm_batched_general_kernelI19rocblas_complex_numIdELi16ELi16ELi32ELi32ELi8ELi32ELi8ELi8ELi32ELc84ELc84EKS2_S3_S2_EEvlllT_PT11_llS6_llS4_PT12_llPT13_lli,@function
_ZN12_GLOBAL__N_135rocblas_gemm_batched_general_kernelI19rocblas_complex_numIdELi16ELi16ELi32ELi32ELi8ELi32ELi8ELi8ELi32ELc84ELc84EKS2_S3_S2_EEvlllT_PT11_llS6_llS4_PT12_llPT13_lli: ; @_ZN12_GLOBAL__N_135rocblas_gemm_batched_general_kernelI19rocblas_complex_numIdELi16ELi16ELi32ELi32ELi8ELi32ELi8ELi8ELi32ELc84ELc84EKS2_S3_S2_EEvlllT_PT11_llS6_llS4_PT12_llPT13_lli
; %bb.0:
	s_load_b32 s30, s[0:1], 0x98
	s_bfe_u32 s2, ttmp6, 0x40014
	s_lshr_b32 s3, ttmp7, 16
	s_add_co_i32 s2, s2, 1
	s_bfe_u32 s5, ttmp6, 0x40008
	s_mul_i32 s4, s3, s2
	s_getreg_b32 s2, hwreg(HW_REG_IB_STS2, 6, 4)
	s_add_co_i32 s5, s5, s4
	s_cmp_eq_u32 s2, 0
	s_mov_b32 s7, 0
	s_cselect_b32 s6, s3, s5
	s_wait_kmcnt 0x0
	s_cmp_ge_i32 s6, s30
	s_cbranch_scc1 .LBB550_39
; %bb.1:
	s_clause 0x3
	s_load_b512 s[36:51], s[0:1], 0x40
	s_load_b64 s[28:29], s[0:1], 0x90
	s_load_b128 s[24:27], s[0:1], 0x80
	s_load_b512 s[8:23], s[0:1], 0x0
	v_bfe_u32 v4, v0, 10, 10
	v_and_b32_e32 v10, 0x3ff, v0
	v_dual_mov_b32 v2, 0 :: v_dual_bitop2_b32 v0, 7, v0 bitop3:0x40
	s_wait_xcnt 0x0
	s_bfe_u32 s0, ttmp6, 0x4000c
	s_bfe_u32 s3, ttmp6, 0x40010
	s_add_co_i32 s0, s0, 1
	s_and_b32 s4, ttmp7, 0xffff
	s_add_co_i32 s3, s3, 1
	s_and_b32 s1, ttmp6, 15
	s_mul_i32 s0, ttmp9, s0
	s_mul_i32 s3, s4, s3
	s_bfe_u32 s5, ttmp6, 0x40004
	v_lshl_add_u32 v3, v4, 4, v10
	v_mov_b32_e32 v1, v2
	s_add_co_i32 s1, s1, s0
	s_add_co_i32 s5, s5, s3
	s_cmp_eq_u32 s2, 0
	v_and_b32_e32 v7, 31, v3
	s_cselect_b32 s0, ttmp9, s1
	s_wait_kmcnt 0x0
	v_mul_u64_e32 v[12:13], s[38:39], v[0:1]
	s_cselect_b32 s5, s4, s5
	s_ashr_i32 s1, s0, 31
	s_lshl_b32 s2, s5, 5
	s_lshl_b64 s[0:1], s[0:1], 5
	s_delay_alu instid0(SALU_CYCLE_1) | instskip(SKIP_3) | instid1(VALU_DEP_3)
	v_dual_mov_b32 v5, v2 :: v_dual_bitop2_b32 v8, s0, v7 bitop3:0x54
	v_dual_mov_b32 v9, s1 :: v_dual_lshrrev_b32 v16, 3, v3
	s_mov_b32 s3, s7
	v_cmp_eq_f64_e64 s31, s[42:43], 0
	v_add_nc_u64_e32 v[14:15], s[2:3], v[4:5]
	s_delay_alu instid0(VALU_DEP_3)
	v_mul_u64_e32 v[18:19], s[20:21], v[8:9]
	v_cmp_eq_f64_e64 s33, s[44:45], 0
	v_cmp_gt_i64_e32 vcc_lo, s[8:9], v[8:9]
	v_dual_mov_b32 v11, v2 :: v_dual_mov_b32 v17, v2
	v_lshrrev_b32_e32 v6, 5, v3
	v_mul_u64_e32 v[20:21], s[48:49], v[14:15]
	v_mul_u64_e32 v[8:9], s[26:27], v[14:15]
	v_dual_lshlrev_b32 v3, 4, v0 :: v_dual_lshlrev_b32 v5, 4, v7
	v_dual_mov_b32 v7, v2 :: v_dual_lshlrev_b32 v44, 4, v10
	v_add_nc_u64_e32 v[10:11], s[0:1], v[10:11]
	s_lshl_b32 s0, s5, 9
	s_mov_b32 s1, s7
	v_lshl_or_b32 v42, v6, 9, v5
	v_lshl_add_u32 v45, v4, 7, 0x1000
	v_add_nc_u64_e32 v[22:23], s[2:3], v[16:17]
	v_lshl_or_b32 v3, v16, 7, v3
	s_lshl_b64 s[20:21], s[40:41], 4
	v_lshl_add_u64 v[4:5], v[12:13], 4, s[0:1]
	v_dual_mov_b32 v13, v2 :: v_dual_lshlrev_b32 v12, 4, v16
	v_add_nc_u64_e32 v[16:17], 16, v[10:11]
	v_cmp_gt_i64_e64 s4, s[10:11], v[22:23]
	v_add_nc_u64_e32 v[22:23], 16, v[14:15]
	v_cmp_gt_i64_e64 s0, s[10:11], v[14:15]
	v_add_nc_u64_e32 v[4:5], v[4:5], v[12:13]
	v_lshlrev_b32_e32 v12, 4, v6
	v_cmp_gt_i64_e64 s1, s[8:9], v[10:11]
	v_cmp_gt_i64_e64 s2, s[8:9], v[16:17]
	v_add_nc_u32_e32 v43, 0x1000, v3
	v_cmp_gt_i64_e64 s3, s[10:11], v[22:23]
	v_lshl_add_u64 v[16:17], v[18:19], 4, v[12:13]
	s_and_b32 s31, s31, s33
	v_add_nc_u64_e32 v[14:15], s[36:37], v[4:5]
	v_cmp_gt_i64_e64 s33, s[12:13], 0
	s_lshl_b64 s[8:9], s[26:27], 4
	v_add_nc_u64_e32 v[16:17], s[18:19], v[16:17]
	v_lshl_add_u64 v[12:13], v[20:21], 4, s[46:47]
	s_lshl_b64 s[10:11], s[48:49], 4
	s_lshl_b64 s[26:27], s[38:39], 7
	;; [unrolled: 1-line block ×3, first 2 shown]
	s_xor_b32 s22, vcc_lo, -1
	s_xor_b32 s23, s4, -1
	s_branch .LBB550_4
.LBB550_2:                              ;   in Loop: Header=BB550_4 Depth=1
	s_wait_xcnt 0x0
	s_or_b32 exec_lo, exec_lo, s34
.LBB550_3:                              ;   in Loop: Header=BB550_4 Depth=1
	s_add_co_i32 s6, s6, 0x10000
	s_delay_alu instid0(SALU_CYCLE_1)
	s_cmp_lt_i32 s6, s30
	s_cbranch_scc0 .LBB550_39
.LBB550_4:                              ; =>This Loop Header: Depth=1
                                        ;     Child Loop BB550_7 Depth 2
	s_and_not1_b32 vcc_lo, exec_lo, s33
	s_cbranch_vccnz .LBB550_15
; %bb.5:                                ;   in Loop: Header=BB550_4 Depth=1
	v_mad_nc_u64_u32 v[18:19], s20, s6, v[14:15]
	v_mad_nc_u64_u32 v[20:21], s18, s6, v[16:17]
	v_mov_b64_e32 v[36:37], 0
	v_mov_b64_e32 v[34:35], 0
	;; [unrolled: 1-line block ×8, first 2 shown]
	s_mov_b64 s[4:5], 0
	v_mad_u32 v19, s21, s6, v19
	v_mad_u32 v21, s19, s6, v21
	s_branch .LBB550_7
.LBB550_6:                              ;   in Loop: Header=BB550_7 Depth=2
	s_wait_xcnt 0x0
	s_or_b32 exec_lo, exec_lo, s34
	s_wait_dscnt 0x0
	s_barrier_signal -1
	s_barrier_wait -1
	ds_load_b128 v[38:41], v45
	ds_load_b128 v[46:49], v45 offset:16
	ds_load_b128 v[50:53], v45 offset:32
	;; [unrolled: 1-line block ×3, first 2 shown]
	ds_load_b128 v[58:61], v44
	s_add_nc_u64 s[4:5], s[4:5], 8
	v_add_nc_u64_e32 v[18:19], s[26:27], v[18:19]
	v_cmp_lt_i64_e64 s34, s[4:5], s[12:13]
	v_add_nc_u64_e32 v[20:21], 0x80, v[20:21]
	s_and_b32 vcc_lo, exec_lo, s34
	s_wait_dscnt 0x0
	v_mul_f64_e32 v[4:5], v[40:41], v[60:61]
	v_mul_f64_e32 v[62:63], v[38:39], v[60:61]
	s_delay_alu instid0(VALU_DEP_2) | instskip(NEXT) | instid1(VALU_DEP_2)
	v_fma_f64 v[4:5], v[38:39], v[58:59], -v[4:5]
	v_fmac_f64_e32 v[62:63], v[40:41], v[58:59]
	s_delay_alu instid0(VALU_DEP_2) | instskip(NEXT) | instid1(VALU_DEP_2)
	v_add_f64_e32 v[4:5], v[26:27], v[4:5]
	v_add_f64_e32 v[62:63], v[62:63], v[28:29]
	ds_load_b128 v[26:29], v44 offset:256
	s_wait_dscnt 0x0
	v_mul_f64_e32 v[64:65], v[40:41], v[28:29]
	s_delay_alu instid0(VALU_DEP_1) | instskip(SKIP_1) | instid1(VALU_DEP_1)
	v_fma_f64 v[64:65], v[38:39], v[26:27], -v[64:65]
	v_mul_f64_e32 v[38:39], v[38:39], v[28:29]
	v_fmac_f64_e32 v[38:39], v[40:41], v[26:27]
	s_delay_alu instid0(VALU_DEP_3) | instskip(NEXT) | instid1(VALU_DEP_2)
	v_add_f64_e32 v[40:41], v[22:23], v[64:65]
	v_add_f64_e32 v[38:39], v[38:39], v[24:25]
	ds_load_b128 v[22:25], v45 offset:2048
	s_wait_dscnt 0x0
	v_mul_f64_e32 v[64:65], v[24:25], v[60:61]
	v_mul_f64_e32 v[60:61], v[22:23], v[60:61]
	s_delay_alu instid0(VALU_DEP_2) | instskip(NEXT) | instid1(VALU_DEP_2)
	v_fma_f64 v[64:65], v[22:23], v[58:59], -v[64:65]
	v_fmac_f64_e32 v[60:61], v[24:25], v[58:59]
	s_delay_alu instid0(VALU_DEP_2) | instskip(SKIP_1) | instid1(VALU_DEP_3)
	v_add_f64_e32 v[58:59], v[30:31], v[64:65]
	v_mul_f64_e32 v[30:31], v[24:25], v[28:29]
	v_add_f64_e32 v[60:61], v[60:61], v[32:33]
	s_delay_alu instid0(VALU_DEP_2) | instskip(SKIP_1) | instid1(VALU_DEP_2)
	v_fma_f64 v[30:31], v[22:23], v[26:27], -v[30:31]
	v_mul_f64_e32 v[22:23], v[22:23], v[28:29]
	v_add_f64_e32 v[34:35], v[34:35], v[30:31]
	s_delay_alu instid0(VALU_DEP_2) | instskip(NEXT) | instid1(VALU_DEP_1)
	v_fmac_f64_e32 v[22:23], v[24:25], v[26:27]
	v_add_f64_e32 v[36:37], v[22:23], v[36:37]
	ds_load_b128 v[22:25], v44 offset:512
	s_wait_dscnt 0x0
	v_mul_f64_e32 v[26:27], v[48:49], v[24:25]
	v_mul_f64_e32 v[28:29], v[46:47], v[24:25]
	s_delay_alu instid0(VALU_DEP_2) | instskip(NEXT) | instid1(VALU_DEP_2)
	v_fma_f64 v[26:27], v[46:47], v[22:23], -v[26:27]
	v_fmac_f64_e32 v[28:29], v[48:49], v[22:23]
	s_delay_alu instid0(VALU_DEP_2) | instskip(NEXT) | instid1(VALU_DEP_2)
	v_add_f64_e32 v[4:5], v[4:5], v[26:27]
	v_add_f64_e32 v[62:63], v[28:29], v[62:63]
	ds_load_b128 v[26:29], v44 offset:768
	s_wait_dscnt 0x0
	v_mul_f64_e32 v[30:31], v[48:49], v[28:29]
	v_mul_f64_e32 v[32:33], v[46:47], v[28:29]
	s_delay_alu instid0(VALU_DEP_2) | instskip(NEXT) | instid1(VALU_DEP_2)
	v_fma_f64 v[30:31], v[46:47], v[26:27], -v[30:31]
	v_fmac_f64_e32 v[32:33], v[48:49], v[26:27]
	s_delay_alu instid0(VALU_DEP_2) | instskip(NEXT) | instid1(VALU_DEP_2)
	v_add_f64_e32 v[40:41], v[40:41], v[30:31]
	v_add_f64_e32 v[38:39], v[32:33], v[38:39]
	ds_load_b128 v[30:33], v45 offset:2064
	s_wait_dscnt 0x0
	v_mul_f64_e32 v[46:47], v[32:33], v[24:25]
	v_mul_f64_e32 v[24:25], v[30:31], v[24:25]
	s_delay_alu instid0(VALU_DEP_2) | instskip(NEXT) | instid1(VALU_DEP_2)
	v_fma_f64 v[46:47], v[30:31], v[22:23], -v[46:47]
	v_fmac_f64_e32 v[24:25], v[32:33], v[22:23]
	v_mul_f64_e32 v[22:23], v[32:33], v[28:29]
	s_delay_alu instid0(VALU_DEP_3) | instskip(NEXT) | instid1(VALU_DEP_3)
	v_add_f64_e32 v[46:47], v[58:59], v[46:47]
	v_add_f64_e32 v[48:49], v[24:25], v[60:61]
	v_mul_f64_e32 v[24:25], v[30:31], v[28:29]
	s_delay_alu instid0(VALU_DEP_4) | instskip(NEXT) | instid1(VALU_DEP_2)
	v_fma_f64 v[22:23], v[30:31], v[26:27], -v[22:23]
	v_fmac_f64_e32 v[24:25], v[32:33], v[26:27]
	s_delay_alu instid0(VALU_DEP_2) | instskip(NEXT) | instid1(VALU_DEP_2)
	v_add_f64_e32 v[34:35], v[34:35], v[22:23]
	v_add_f64_e32 v[36:37], v[24:25], v[36:37]
	ds_load_b128 v[22:25], v44 offset:1024
	s_wait_dscnt 0x0
	v_mul_f64_e32 v[26:27], v[52:53], v[24:25]
	v_mul_f64_e32 v[28:29], v[50:51], v[24:25]
	s_delay_alu instid0(VALU_DEP_2) | instskip(NEXT) | instid1(VALU_DEP_2)
	v_fma_f64 v[26:27], v[50:51], v[22:23], -v[26:27]
	v_fmac_f64_e32 v[28:29], v[52:53], v[22:23]
	s_delay_alu instid0(VALU_DEP_2) | instskip(NEXT) | instid1(VALU_DEP_2)
	v_add_f64_e32 v[4:5], v[4:5], v[26:27]
	v_add_f64_e32 v[58:59], v[28:29], v[62:63]
	ds_load_b128 v[26:29], v44 offset:1280
	s_wait_dscnt 0x0
	v_mul_f64_e32 v[30:31], v[52:53], v[28:29]
	v_mul_f64_e32 v[32:33], v[50:51], v[28:29]
	s_delay_alu instid0(VALU_DEP_2) | instskip(NEXT) | instid1(VALU_DEP_2)
	v_fma_f64 v[30:31], v[50:51], v[26:27], -v[30:31]
	v_fmac_f64_e32 v[32:33], v[52:53], v[26:27]
	s_delay_alu instid0(VALU_DEP_2) | instskip(NEXT) | instid1(VALU_DEP_2)
	v_add_f64_e32 v[40:41], v[40:41], v[30:31]
	v_add_f64_e32 v[38:39], v[32:33], v[38:39]
	ds_load_b128 v[30:33], v45 offset:2080
	s_wait_dscnt 0x0
	v_mul_f64_e32 v[50:51], v[32:33], v[24:25]
	v_mul_f64_e32 v[24:25], v[30:31], v[24:25]
	s_delay_alu instid0(VALU_DEP_2) | instskip(NEXT) | instid1(VALU_DEP_2)
	v_fma_f64 v[50:51], v[30:31], v[22:23], -v[50:51]
	v_fmac_f64_e32 v[24:25], v[32:33], v[22:23]
	v_mul_f64_e32 v[22:23], v[32:33], v[28:29]
	s_delay_alu instid0(VALU_DEP_3) | instskip(NEXT) | instid1(VALU_DEP_3)
	v_add_f64_e32 v[46:47], v[46:47], v[50:51]
	v_add_f64_e32 v[48:49], v[24:25], v[48:49]
	v_mul_f64_e32 v[24:25], v[30:31], v[28:29]
	s_delay_alu instid0(VALU_DEP_4) | instskip(NEXT) | instid1(VALU_DEP_2)
	v_fma_f64 v[22:23], v[30:31], v[26:27], -v[22:23]
	v_fmac_f64_e32 v[24:25], v[32:33], v[26:27]
	s_delay_alu instid0(VALU_DEP_2) | instskip(NEXT) | instid1(VALU_DEP_2)
	v_add_f64_e32 v[34:35], v[34:35], v[22:23]
	;; [unrolled: 38-line block ×3, first 2 shown]
	v_add_f64_e32 v[36:37], v[24:25], v[36:37]
	ds_load_b128 v[22:25], v45 offset:64
	ds_load_b128 v[26:29], v44 offset:2048
	s_wait_dscnt 0x0
	v_mul_f64_e32 v[30:31], v[24:25], v[28:29]
	v_mul_f64_e32 v[32:33], v[22:23], v[28:29]
	s_delay_alu instid0(VALU_DEP_2) | instskip(NEXT) | instid1(VALU_DEP_2)
	v_fma_f64 v[30:31], v[22:23], v[26:27], -v[30:31]
	v_fmac_f64_e32 v[32:33], v[24:25], v[26:27]
	s_delay_alu instid0(VALU_DEP_2) | instskip(NEXT) | instid1(VALU_DEP_2)
	v_add_f64_e32 v[4:5], v[4:5], v[30:31]
	v_add_f64_e32 v[50:51], v[32:33], v[50:51]
	ds_load_b128 v[30:33], v44 offset:2304
	s_wait_dscnt 0x0
	v_mul_f64_e32 v[52:53], v[24:25], v[32:33]
	s_delay_alu instid0(VALU_DEP_1) | instskip(SKIP_1) | instid1(VALU_DEP_2)
	v_fma_f64 v[52:53], v[22:23], v[30:31], -v[52:53]
	v_mul_f64_e32 v[22:23], v[22:23], v[32:33]
	v_add_f64_e32 v[40:41], v[40:41], v[52:53]
	s_delay_alu instid0(VALU_DEP_2) | instskip(NEXT) | instid1(VALU_DEP_1)
	v_fmac_f64_e32 v[22:23], v[24:25], v[30:31]
	v_add_f64_e32 v[38:39], v[22:23], v[38:39]
	ds_load_b128 v[22:25], v45 offset:2112
	s_wait_dscnt 0x0
	v_mul_f64_e32 v[52:53], v[24:25], v[28:29]
	v_mul_f64_e32 v[28:29], v[22:23], v[28:29]
	s_delay_alu instid0(VALU_DEP_2) | instskip(NEXT) | instid1(VALU_DEP_2)
	v_fma_f64 v[52:53], v[22:23], v[26:27], -v[52:53]
	v_fmac_f64_e32 v[28:29], v[24:25], v[26:27]
	v_mul_f64_e32 v[26:27], v[24:25], v[32:33]
	s_delay_alu instid0(VALU_DEP_3) | instskip(NEXT) | instid1(VALU_DEP_3)
	v_add_f64_e32 v[46:47], v[46:47], v[52:53]
	v_add_f64_e32 v[48:49], v[28:29], v[48:49]
	s_delay_alu instid0(VALU_DEP_3) | instskip(SKIP_1) | instid1(VALU_DEP_2)
	v_fma_f64 v[26:27], v[22:23], v[30:31], -v[26:27]
	v_mul_f64_e32 v[22:23], v[22:23], v[32:33]
	v_add_f64_e32 v[34:35], v[34:35], v[26:27]
	s_delay_alu instid0(VALU_DEP_2) | instskip(NEXT) | instid1(VALU_DEP_1)
	v_fmac_f64_e32 v[22:23], v[24:25], v[30:31]
	v_add_f64_e32 v[36:37], v[22:23], v[36:37]
	ds_load_b128 v[22:25], v45 offset:80
	ds_load_b128 v[26:29], v44 offset:2560
	s_wait_dscnt 0x0
	v_mul_f64_e32 v[30:31], v[24:25], v[28:29]
	v_mul_f64_e32 v[32:33], v[22:23], v[28:29]
	s_delay_alu instid0(VALU_DEP_2) | instskip(NEXT) | instid1(VALU_DEP_2)
	v_fma_f64 v[30:31], v[22:23], v[26:27], -v[30:31]
	v_fmac_f64_e32 v[32:33], v[24:25], v[26:27]
	s_delay_alu instid0(VALU_DEP_2) | instskip(NEXT) | instid1(VALU_DEP_2)
	v_add_f64_e32 v[4:5], v[4:5], v[30:31]
	v_add_f64_e32 v[50:51], v[32:33], v[50:51]
	ds_load_b128 v[30:33], v44 offset:2816
	s_wait_dscnt 0x0
	v_mul_f64_e32 v[52:53], v[24:25], v[32:33]
	s_delay_alu instid0(VALU_DEP_1) | instskip(SKIP_1) | instid1(VALU_DEP_2)
	v_fma_f64 v[52:53], v[22:23], v[30:31], -v[52:53]
	v_mul_f64_e32 v[22:23], v[22:23], v[32:33]
	v_add_f64_e32 v[40:41], v[40:41], v[52:53]
	s_delay_alu instid0(VALU_DEP_2) | instskip(NEXT) | instid1(VALU_DEP_1)
	v_fmac_f64_e32 v[22:23], v[24:25], v[30:31]
	v_add_f64_e32 v[38:39], v[22:23], v[38:39]
	ds_load_b128 v[22:25], v45 offset:2128
	s_wait_dscnt 0x0
	v_mul_f64_e32 v[52:53], v[24:25], v[28:29]
	v_mul_f64_e32 v[28:29], v[22:23], v[28:29]
	s_delay_alu instid0(VALU_DEP_2) | instskip(NEXT) | instid1(VALU_DEP_2)
	v_fma_f64 v[52:53], v[22:23], v[26:27], -v[52:53]
	v_fmac_f64_e32 v[28:29], v[24:25], v[26:27]
	v_mul_f64_e32 v[26:27], v[24:25], v[32:33]
	s_delay_alu instid0(VALU_DEP_3) | instskip(NEXT) | instid1(VALU_DEP_3)
	v_add_f64_e32 v[46:47], v[46:47], v[52:53]
	v_add_f64_e32 v[48:49], v[28:29], v[48:49]
	s_delay_alu instid0(VALU_DEP_3) | instskip(SKIP_1) | instid1(VALU_DEP_2)
	v_fma_f64 v[26:27], v[22:23], v[30:31], -v[26:27]
	v_mul_f64_e32 v[22:23], v[22:23], v[32:33]
	v_add_f64_e32 v[34:35], v[34:35], v[26:27]
	s_delay_alu instid0(VALU_DEP_2) | instskip(NEXT) | instid1(VALU_DEP_1)
	v_fmac_f64_e32 v[22:23], v[24:25], v[30:31]
	;; [unrolled: 39-line block ×3, first 2 shown]
	v_add_f64_e32 v[54:55], v[22:23], v[36:37]
	ds_load_b128 v[22:25], v45 offset:112
	ds_load_b128 v[30:33], v44 offset:3584
	;; [unrolled: 1-line block ×3, first 2 shown]
	s_wait_dscnt 0x1
	v_mul_f64_e32 v[26:27], v[24:25], v[32:33]
	v_mul_f64_e32 v[28:29], v[22:23], v[32:33]
	s_delay_alu instid0(VALU_DEP_2) | instskip(NEXT) | instid1(VALU_DEP_2)
	v_fma_f64 v[26:27], v[22:23], v[30:31], -v[26:27]
	v_fmac_f64_e32 v[28:29], v[24:25], v[30:31]
	s_delay_alu instid0(VALU_DEP_2) | instskip(NEXT) | instid1(VALU_DEP_2)
	v_add_f64_e32 v[26:27], v[4:5], v[26:27]
	v_add_f64_e32 v[28:29], v[28:29], v[50:51]
	s_wait_dscnt 0x0
	v_mul_f64_e32 v[4:5], v[24:25], v[36:37]
	v_mul_f64_e32 v[50:51], v[22:23], v[36:37]
	s_delay_alu instid0(VALU_DEP_2) | instskip(NEXT) | instid1(VALU_DEP_2)
	v_fma_f64 v[4:5], v[22:23], v[34:35], -v[4:5]
	v_fmac_f64_e32 v[50:51], v[24:25], v[34:35]
	s_delay_alu instid0(VALU_DEP_2) | instskip(NEXT) | instid1(VALU_DEP_2)
	v_add_f64_e32 v[22:23], v[40:41], v[4:5]
	v_add_f64_e32 v[24:25], v[50:51], v[38:39]
	ds_load_b128 v[38:41], v45 offset:2160
	s_wait_dscnt 0x0
	s_barrier_signal -1
	s_barrier_wait -1
	v_mul_f64_e32 v[4:5], v[40:41], v[32:33]
	v_mul_f64_e32 v[32:33], v[38:39], v[32:33]
	s_delay_alu instid0(VALU_DEP_2) | instskip(NEXT) | instid1(VALU_DEP_2)
	v_fma_f64 v[4:5], v[38:39], v[30:31], -v[4:5]
	v_fmac_f64_e32 v[32:33], v[40:41], v[30:31]
	s_delay_alu instid0(VALU_DEP_2) | instskip(SKIP_2) | instid1(VALU_DEP_4)
	v_add_f64_e32 v[30:31], v[46:47], v[4:5]
	v_mul_f64_e32 v[4:5], v[40:41], v[36:37]
	v_mul_f64_e32 v[36:37], v[38:39], v[36:37]
	v_add_f64_e32 v[32:33], v[32:33], v[48:49]
	s_delay_alu instid0(VALU_DEP_3) | instskip(NEXT) | instid1(VALU_DEP_3)
	v_fma_f64 v[4:5], v[38:39], v[34:35], -v[4:5]
	v_fmac_f64_e32 v[36:37], v[40:41], v[34:35]
	s_delay_alu instid0(VALU_DEP_2) | instskip(NEXT) | instid1(VALU_DEP_2)
	v_add_f64_e32 v[34:35], v[52:53], v[4:5]
	v_add_f64_e32 v[36:37], v[36:37], v[54:55]
	s_cbranch_vccz .LBB550_16
.LBB550_7:                              ;   Parent Loop BB550_4 Depth=1
                                        ; =>  This Inner Loop Header: Depth=2
	v_add_nc_u64_e32 v[4:5], s[4:5], v[6:7]
	s_delay_alu instid0(VALU_DEP_1) | instskip(SKIP_1) | instid1(SALU_CYCLE_1)
	v_cmp_le_i64_e32 vcc_lo, s[12:13], v[4:5]
	s_or_b32 s34, s22, vcc_lo
	s_and_saveexec_b32 s35, s34
	s_delay_alu instid0(SALU_CYCLE_1)
	s_xor_b32 s34, exec_lo, s35
; %bb.8:                                ;   in Loop: Header=BB550_7 Depth=2
	v_dual_mov_b32 v3, v2 :: v_dual_mov_b32 v4, v2
	v_mov_b32_e32 v5, v2
	ds_store_b128 v42, v[2:5]
; %bb.9:                                ;   in Loop: Header=BB550_7 Depth=2
	s_and_not1_saveexec_b32 s34, s34
	s_cbranch_execz .LBB550_11
; %bb.10:                               ;   in Loop: Header=BB550_7 Depth=2
	global_load_b128 v[38:41], v[20:21], off
	s_wait_loadcnt 0x0
	ds_store_2addr_b64 v42, v[38:39], v[40:41] offset1:1
.LBB550_11:                             ;   in Loop: Header=BB550_7 Depth=2
	s_wait_xcnt 0x0
	s_or_b32 exec_lo, exec_lo, s34
	v_add_nc_u64_e32 v[4:5], s[4:5], v[0:1]
	s_delay_alu instid0(VALU_DEP_1) | instskip(SKIP_1) | instid1(SALU_CYCLE_1)
	v_cmp_le_i64_e32 vcc_lo, s[12:13], v[4:5]
	s_or_b32 s34, vcc_lo, s23
	s_and_saveexec_b32 s35, s34
	s_delay_alu instid0(SALU_CYCLE_1)
	s_xor_b32 s34, exec_lo, s35
; %bb.12:                               ;   in Loop: Header=BB550_7 Depth=2
	v_dual_mov_b32 v3, v2 :: v_dual_mov_b32 v4, v2
	v_mov_b32_e32 v5, v2
	ds_store_b128 v43, v[2:5]
; %bb.13:                               ;   in Loop: Header=BB550_7 Depth=2
	s_and_not1_saveexec_b32 s34, s34
	s_cbranch_execz .LBB550_6
; %bb.14:                               ;   in Loop: Header=BB550_7 Depth=2
	global_load_b128 v[38:41], v[18:19], off
	s_wait_loadcnt 0x0
	ds_store_2addr_b64 v43, v[38:39], v[40:41] offset1:1
	s_branch .LBB550_6
.LBB550_15:                             ;   in Loop: Header=BB550_4 Depth=1
	v_mov_b64_e32 v[26:27], 0
	v_mov_b64_e32 v[28:29], 0
	;; [unrolled: 1-line block ×8, first 2 shown]
.LBB550_16:                             ;   in Loop: Header=BB550_4 Depth=1
	s_mul_u64 s[4:5], s[28:29], s[6:7]
	s_and_not1_b32 vcc_lo, exec_lo, s31
	s_lshl_b64 s[4:5], s[4:5], 4
	s_mov_b32 s34, -1
	s_add_nc_u64 s[4:5], s[24:25], s[4:5]
	s_cbranch_vccz .LBB550_18
; %bb.17:                               ;   in Loop: Header=BB550_4 Depth=1
	s_and_not1_b32 vcc_lo, exec_lo, s34
	s_cbranch_vccnz .LBB550_3
	s_branch .LBB550_29
.LBB550_18:                             ;   in Loop: Header=BB550_4 Depth=1
	s_and_saveexec_b32 s34, s0
	s_cbranch_execz .LBB550_28
; %bb.19:                               ;   in Loop: Header=BB550_4 Depth=1
	v_lshl_add_u64 v[4:5], v[8:9], 4, s[4:5]
	s_delay_alu instid0(VALU_DEP_1)
	v_lshl_add_u64 v[18:19], v[10:11], 4, v[4:5]
	s_and_saveexec_b32 s35, s1
	s_cbranch_execnz .LBB550_22
; %bb.20:                               ;   in Loop: Header=BB550_4 Depth=1
	s_or_b32 exec_lo, exec_lo, s35
	s_and_saveexec_b32 s35, s2
	s_cbranch_execnz .LBB550_23
.LBB550_21:                             ;   in Loop: Header=BB550_4 Depth=1
	s_or_b32 exec_lo, exec_lo, s35
	s_delay_alu instid0(SALU_CYCLE_1)
	s_and_b32 exec_lo, exec_lo, s3
	s_cbranch_execnz .LBB550_24
	s_branch .LBB550_28
.LBB550_22:                             ;   in Loop: Header=BB550_4 Depth=1
	v_mul_f64_e32 v[20:21], s[16:17], v[28:29]
	v_mul_f64_e32 v[40:41], s[14:15], v[28:29]
	s_delay_alu instid0(VALU_DEP_2) | instskip(NEXT) | instid1(VALU_DEP_2)
	v_fma_f64 v[38:39], s[14:15], v[26:27], -v[20:21]
	v_fmac_f64_e32 v[40:41], s[16:17], v[26:27]
	global_store_b128 v[18:19], v[38:41], off
	s_wait_xcnt 0x0
	s_or_b32 exec_lo, exec_lo, s35
	s_and_saveexec_b32 s35, s2
	s_cbranch_execz .LBB550_21
.LBB550_23:                             ;   in Loop: Header=BB550_4 Depth=1
	v_mul_f64_e32 v[20:21], s[16:17], v[24:25]
	v_mul_f64_e32 v[40:41], s[14:15], v[24:25]
	s_delay_alu instid0(VALU_DEP_2) | instskip(NEXT) | instid1(VALU_DEP_2)
	v_fma_f64 v[38:39], s[14:15], v[22:23], -v[20:21]
	v_fmac_f64_e32 v[40:41], s[16:17], v[22:23]
	global_store_b128 v[18:19], v[38:41], off offset:256
	s_wait_xcnt 0x0
	s_or_b32 exec_lo, exec_lo, s35
	s_delay_alu instid0(SALU_CYCLE_1)
	s_and_b32 exec_lo, exec_lo, s3
	s_cbranch_execz .LBB550_28
.LBB550_24:                             ;   in Loop: Header=BB550_4 Depth=1
	v_lshl_add_u64 v[4:5], s[8:9], 4, v[4:5]
	s_delay_alu instid0(VALU_DEP_1)
	v_lshl_add_u64 v[4:5], v[10:11], 4, v[4:5]
	s_and_saveexec_b32 s35, s1
	s_cbranch_execz .LBB550_26
; %bb.25:                               ;   in Loop: Header=BB550_4 Depth=1
	v_mul_f64_e32 v[18:19], s[16:17], v[32:33]
	v_mul_f64_e32 v[20:21], s[14:15], v[32:33]
	s_delay_alu instid0(VALU_DEP_2) | instskip(NEXT) | instid1(VALU_DEP_2)
	v_fma_f64 v[18:19], s[14:15], v[30:31], -v[18:19]
	v_fmac_f64_e32 v[20:21], s[16:17], v[30:31]
	global_store_b128 v[4:5], v[18:21], off
.LBB550_26:                             ;   in Loop: Header=BB550_4 Depth=1
	s_wait_xcnt 0x0
	s_or_b32 exec_lo, exec_lo, s35
	s_delay_alu instid0(SALU_CYCLE_1)
	s_and_b32 exec_lo, exec_lo, s2
	s_cbranch_execz .LBB550_28
; %bb.27:                               ;   in Loop: Header=BB550_4 Depth=1
	v_mul_f64_e32 v[18:19], s[16:17], v[36:37]
	v_mul_f64_e32 v[20:21], s[14:15], v[36:37]
	s_delay_alu instid0(VALU_DEP_2) | instskip(NEXT) | instid1(VALU_DEP_2)
	v_fma_f64 v[18:19], s[14:15], v[34:35], -v[18:19]
	v_fmac_f64_e32 v[20:21], s[16:17], v[34:35]
	global_store_b128 v[4:5], v[18:21], off offset:256
.LBB550_28:                             ;   in Loop: Header=BB550_4 Depth=1
	s_wait_xcnt 0x0
	s_or_b32 exec_lo, exec_lo, s34
	s_cbranch_execnz .LBB550_3
.LBB550_29:                             ;   in Loop: Header=BB550_4 Depth=1
	s_and_saveexec_b32 s34, s0
	s_cbranch_execz .LBB550_2
; %bb.30:                               ;   in Loop: Header=BB550_4 Depth=1
	s_mul_u64 s[36:37], s[50:51], s[6:7]
	v_lshlrev_b64_e32 v[4:5], 4, v[10:11]
	v_lshl_add_u64 v[18:19], s[36:37], 4, v[12:13]
	v_lshl_add_u64 v[20:21], v[8:9], 4, s[4:5]
	s_delay_alu instid0(VALU_DEP_2) | instskip(NEXT) | instid1(VALU_DEP_2)
	v_add_nc_u64_e32 v[40:41], v[18:19], v[4:5]
	v_add_nc_u64_e32 v[38:39], v[20:21], v[4:5]
	s_and_saveexec_b32 s4, s1
	s_cbranch_execnz .LBB550_33
; %bb.31:                               ;   in Loop: Header=BB550_4 Depth=1
	s_or_b32 exec_lo, exec_lo, s4
	s_and_saveexec_b32 s4, s2
	s_cbranch_execnz .LBB550_34
.LBB550_32:                             ;   in Loop: Header=BB550_4 Depth=1
	s_or_b32 exec_lo, exec_lo, s4
	s_delay_alu instid0(SALU_CYCLE_1)
	s_and_b32 exec_lo, exec_lo, s3
	s_cbranch_execz .LBB550_2
	s_branch .LBB550_35
.LBB550_33:                             ;   in Loop: Header=BB550_4 Depth=1
	global_load_b128 v[46:49], v[40:41], off
	v_mul_f64_e32 v[50:51], s[16:17], v[28:29]
	v_mul_f64_e32 v[28:29], s[14:15], v[28:29]
	s_delay_alu instid0(VALU_DEP_2) | instskip(NEXT) | instid1(VALU_DEP_2)
	v_fma_f64 v[50:51], s[14:15], v[26:27], -v[50:51]
	v_fmac_f64_e32 v[28:29], s[16:17], v[26:27]
	s_wait_loadcnt 0x0
	v_mul_f64_e32 v[52:53], s[44:45], v[48:49]
	v_mul_f64_e32 v[48:49], s[42:43], v[48:49]
	s_delay_alu instid0(VALU_DEP_2) | instskip(NEXT) | instid1(VALU_DEP_2)
	v_fma_f64 v[26:27], s[42:43], v[46:47], -v[52:53]
	v_fmac_f64_e32 v[48:49], s[44:45], v[46:47]
	s_delay_alu instid0(VALU_DEP_2) | instskip(NEXT) | instid1(VALU_DEP_2)
	v_add_f64_e32 v[26:27], v[50:51], v[26:27]
	v_add_f64_e32 v[28:29], v[28:29], v[48:49]
	global_store_b128 v[38:39], v[26:29], off
	s_wait_xcnt 0x0
	s_or_b32 exec_lo, exec_lo, s4
	s_and_saveexec_b32 s4, s2
	s_cbranch_execz .LBB550_32
.LBB550_34:                             ;   in Loop: Header=BB550_4 Depth=1
	global_load_b128 v[26:29], v[40:41], off offset:256
	s_wait_xcnt 0x0
	v_mul_f64_e32 v[40:41], s[16:17], v[24:25]
	v_mul_f64_e32 v[24:25], s[14:15], v[24:25]
	s_delay_alu instid0(VALU_DEP_2) | instskip(NEXT) | instid1(VALU_DEP_2)
	v_fma_f64 v[40:41], s[14:15], v[22:23], -v[40:41]
	v_fmac_f64_e32 v[24:25], s[16:17], v[22:23]
	s_wait_loadcnt 0x0
	v_mul_f64_e32 v[46:47], s[44:45], v[28:29]
	v_mul_f64_e32 v[28:29], s[42:43], v[28:29]
	s_delay_alu instid0(VALU_DEP_2) | instskip(NEXT) | instid1(VALU_DEP_2)
	v_fma_f64 v[22:23], s[42:43], v[26:27], -v[46:47]
	v_fmac_f64_e32 v[28:29], s[44:45], v[26:27]
	s_delay_alu instid0(VALU_DEP_2) | instskip(NEXT) | instid1(VALU_DEP_2)
	v_add_f64_e32 v[22:23], v[40:41], v[22:23]
	v_add_f64_e32 v[24:25], v[24:25], v[28:29]
	global_store_b128 v[38:39], v[22:25], off offset:256
	s_wait_xcnt 0x0
	s_or_b32 exec_lo, exec_lo, s4
	s_delay_alu instid0(SALU_CYCLE_1)
	s_and_b32 exec_lo, exec_lo, s3
	s_cbranch_execz .LBB550_2
.LBB550_35:                             ;   in Loop: Header=BB550_4 Depth=1
	v_lshl_add_u64 v[18:19], s[10:11], 4, v[18:19]
	v_lshl_add_u64 v[20:21], s[8:9], 4, v[20:21]
	s_delay_alu instid0(VALU_DEP_2) | instskip(NEXT) | instid1(VALU_DEP_2)
	v_add_nc_u64_e32 v[18:19], v[18:19], v[4:5]
	v_add_nc_u64_e32 v[4:5], v[20:21], v[4:5]
	s_and_saveexec_b32 s4, s1
	s_cbranch_execz .LBB550_37
; %bb.36:                               ;   in Loop: Header=BB550_4 Depth=1
	global_load_b128 v[20:23], v[18:19], off
	v_mul_f64_e32 v[24:25], s[16:17], v[32:33]
	v_mul_f64_e32 v[26:27], s[14:15], v[32:33]
	s_delay_alu instid0(VALU_DEP_2) | instskip(NEXT) | instid1(VALU_DEP_2)
	v_fma_f64 v[24:25], s[14:15], v[30:31], -v[24:25]
	v_fmac_f64_e32 v[26:27], s[16:17], v[30:31]
	s_wait_loadcnt 0x0
	v_mul_f64_e32 v[28:29], s[44:45], v[22:23]
	v_mul_f64_e32 v[22:23], s[42:43], v[22:23]
	s_delay_alu instid0(VALU_DEP_2) | instskip(NEXT) | instid1(VALU_DEP_2)
	v_fma_f64 v[28:29], s[42:43], v[20:21], -v[28:29]
	v_fmac_f64_e32 v[22:23], s[44:45], v[20:21]
	s_delay_alu instid0(VALU_DEP_2) | instskip(NEXT) | instid1(VALU_DEP_2)
	v_add_f64_e32 v[20:21], v[24:25], v[28:29]
	v_add_f64_e32 v[22:23], v[26:27], v[22:23]
	global_store_b128 v[4:5], v[20:23], off
.LBB550_37:                             ;   in Loop: Header=BB550_4 Depth=1
	s_wait_xcnt 0x0
	s_or_b32 exec_lo, exec_lo, s4
	s_delay_alu instid0(SALU_CYCLE_1)
	s_and_b32 exec_lo, exec_lo, s2
	s_cbranch_execz .LBB550_2
; %bb.38:                               ;   in Loop: Header=BB550_4 Depth=1
	global_load_b128 v[18:21], v[18:19], off offset:256
	v_mul_f64_e32 v[22:23], s[16:17], v[36:37]
	v_mul_f64_e32 v[24:25], s[14:15], v[36:37]
	s_delay_alu instid0(VALU_DEP_2) | instskip(NEXT) | instid1(VALU_DEP_2)
	v_fma_f64 v[22:23], s[14:15], v[34:35], -v[22:23]
	v_fmac_f64_e32 v[24:25], s[16:17], v[34:35]
	s_wait_loadcnt 0x0
	v_mul_f64_e32 v[26:27], s[44:45], v[20:21]
	v_mul_f64_e32 v[20:21], s[42:43], v[20:21]
	s_delay_alu instid0(VALU_DEP_2) | instskip(NEXT) | instid1(VALU_DEP_2)
	v_fma_f64 v[26:27], s[42:43], v[18:19], -v[26:27]
	v_fmac_f64_e32 v[20:21], s[44:45], v[18:19]
	s_wait_xcnt 0x0
	s_delay_alu instid0(VALU_DEP_2) | instskip(NEXT) | instid1(VALU_DEP_2)
	v_add_f64_e32 v[18:19], v[22:23], v[26:27]
	v_add_f64_e32 v[20:21], v[24:25], v[20:21]
	global_store_b128 v[4:5], v[18:21], off offset:256
	s_branch .LBB550_2
.LBB550_39:
	s_sendmsg sendmsg(MSG_DEALLOC_VGPRS)
	s_endpgm
	.section	.rodata,"a",@progbits
	.p2align	6, 0x0
	.amdhsa_kernel _ZN12_GLOBAL__N_135rocblas_gemm_batched_general_kernelI19rocblas_complex_numIdELi16ELi16ELi32ELi32ELi8ELi32ELi8ELi8ELi32ELc84ELc84EKS2_S3_S2_EEvlllT_PT11_llS6_llS4_PT12_llPT13_lli
		.amdhsa_group_segment_fixed_size 8192
		.amdhsa_private_segment_fixed_size 0
		.amdhsa_kernarg_size 156
		.amdhsa_user_sgpr_count 2
		.amdhsa_user_sgpr_dispatch_ptr 0
		.amdhsa_user_sgpr_queue_ptr 0
		.amdhsa_user_sgpr_kernarg_segment_ptr 1
		.amdhsa_user_sgpr_dispatch_id 0
		.amdhsa_user_sgpr_kernarg_preload_length 0
		.amdhsa_user_sgpr_kernarg_preload_offset 0
		.amdhsa_user_sgpr_private_segment_size 0
		.amdhsa_wavefront_size32 1
		.amdhsa_uses_dynamic_stack 0
		.amdhsa_enable_private_segment 0
		.amdhsa_system_sgpr_workgroup_id_x 1
		.amdhsa_system_sgpr_workgroup_id_y 1
		.amdhsa_system_sgpr_workgroup_id_z 1
		.amdhsa_system_sgpr_workgroup_info 0
		.amdhsa_system_vgpr_workitem_id 1
		.amdhsa_next_free_vgpr 66
		.amdhsa_next_free_sgpr 52
		.amdhsa_named_barrier_count 0
		.amdhsa_reserve_vcc 1
		.amdhsa_float_round_mode_32 0
		.amdhsa_float_round_mode_16_64 0
		.amdhsa_float_denorm_mode_32 3
		.amdhsa_float_denorm_mode_16_64 3
		.amdhsa_fp16_overflow 0
		.amdhsa_memory_ordered 1
		.amdhsa_forward_progress 1
		.amdhsa_inst_pref_size 26
		.amdhsa_round_robin_scheduling 0
		.amdhsa_exception_fp_ieee_invalid_op 0
		.amdhsa_exception_fp_denorm_src 0
		.amdhsa_exception_fp_ieee_div_zero 0
		.amdhsa_exception_fp_ieee_overflow 0
		.amdhsa_exception_fp_ieee_underflow 0
		.amdhsa_exception_fp_ieee_inexact 0
		.amdhsa_exception_int_div_zero 0
	.end_amdhsa_kernel
	.section	.text._ZN12_GLOBAL__N_135rocblas_gemm_batched_general_kernelI19rocblas_complex_numIdELi16ELi16ELi32ELi32ELi8ELi32ELi8ELi8ELi32ELc84ELc84EKS2_S3_S2_EEvlllT_PT11_llS6_llS4_PT12_llPT13_lli,"axG",@progbits,_ZN12_GLOBAL__N_135rocblas_gemm_batched_general_kernelI19rocblas_complex_numIdELi16ELi16ELi32ELi32ELi8ELi32ELi8ELi8ELi32ELc84ELc84EKS2_S3_S2_EEvlllT_PT11_llS6_llS4_PT12_llPT13_lli,comdat
.Lfunc_end550:
	.size	_ZN12_GLOBAL__N_135rocblas_gemm_batched_general_kernelI19rocblas_complex_numIdELi16ELi16ELi32ELi32ELi8ELi32ELi8ELi8ELi32ELc84ELc84EKS2_S3_S2_EEvlllT_PT11_llS6_llS4_PT12_llPT13_lli, .Lfunc_end550-_ZN12_GLOBAL__N_135rocblas_gemm_batched_general_kernelI19rocblas_complex_numIdELi16ELi16ELi32ELi32ELi8ELi32ELi8ELi8ELi32ELc84ELc84EKS2_S3_S2_EEvlllT_PT11_llS6_llS4_PT12_llPT13_lli
                                        ; -- End function
	.set _ZN12_GLOBAL__N_135rocblas_gemm_batched_general_kernelI19rocblas_complex_numIdELi16ELi16ELi32ELi32ELi8ELi32ELi8ELi8ELi32ELc84ELc84EKS2_S3_S2_EEvlllT_PT11_llS6_llS4_PT12_llPT13_lli.num_vgpr, 66
	.set _ZN12_GLOBAL__N_135rocblas_gemm_batched_general_kernelI19rocblas_complex_numIdELi16ELi16ELi32ELi32ELi8ELi32ELi8ELi8ELi32ELc84ELc84EKS2_S3_S2_EEvlllT_PT11_llS6_llS4_PT12_llPT13_lli.num_agpr, 0
	.set _ZN12_GLOBAL__N_135rocblas_gemm_batched_general_kernelI19rocblas_complex_numIdELi16ELi16ELi32ELi32ELi8ELi32ELi8ELi8ELi32ELc84ELc84EKS2_S3_S2_EEvlllT_PT11_llS6_llS4_PT12_llPT13_lli.numbered_sgpr, 52
	.set _ZN12_GLOBAL__N_135rocblas_gemm_batched_general_kernelI19rocblas_complex_numIdELi16ELi16ELi32ELi32ELi8ELi32ELi8ELi8ELi32ELc84ELc84EKS2_S3_S2_EEvlllT_PT11_llS6_llS4_PT12_llPT13_lli.num_named_barrier, 0
	.set _ZN12_GLOBAL__N_135rocblas_gemm_batched_general_kernelI19rocblas_complex_numIdELi16ELi16ELi32ELi32ELi8ELi32ELi8ELi8ELi32ELc84ELc84EKS2_S3_S2_EEvlllT_PT11_llS6_llS4_PT12_llPT13_lli.private_seg_size, 0
	.set _ZN12_GLOBAL__N_135rocblas_gemm_batched_general_kernelI19rocblas_complex_numIdELi16ELi16ELi32ELi32ELi8ELi32ELi8ELi8ELi32ELc84ELc84EKS2_S3_S2_EEvlllT_PT11_llS6_llS4_PT12_llPT13_lli.uses_vcc, 1
	.set _ZN12_GLOBAL__N_135rocblas_gemm_batched_general_kernelI19rocblas_complex_numIdELi16ELi16ELi32ELi32ELi8ELi32ELi8ELi8ELi32ELc84ELc84EKS2_S3_S2_EEvlllT_PT11_llS6_llS4_PT12_llPT13_lli.uses_flat_scratch, 0
	.set _ZN12_GLOBAL__N_135rocblas_gemm_batched_general_kernelI19rocblas_complex_numIdELi16ELi16ELi32ELi32ELi8ELi32ELi8ELi8ELi32ELc84ELc84EKS2_S3_S2_EEvlllT_PT11_llS6_llS4_PT12_llPT13_lli.has_dyn_sized_stack, 0
	.set _ZN12_GLOBAL__N_135rocblas_gemm_batched_general_kernelI19rocblas_complex_numIdELi16ELi16ELi32ELi32ELi8ELi32ELi8ELi8ELi32ELc84ELc84EKS2_S3_S2_EEvlllT_PT11_llS6_llS4_PT12_llPT13_lli.has_recursion, 0
	.set _ZN12_GLOBAL__N_135rocblas_gemm_batched_general_kernelI19rocblas_complex_numIdELi16ELi16ELi32ELi32ELi8ELi32ELi8ELi8ELi32ELc84ELc84EKS2_S3_S2_EEvlllT_PT11_llS6_llS4_PT12_llPT13_lli.has_indirect_call, 0
	.section	.AMDGPU.csdata,"",@progbits
; Kernel info:
; codeLenInByte = 3308
; TotalNumSgprs: 54
; NumVgprs: 66
; ScratchSize: 0
; MemoryBound: 0
; FloatMode: 240
; IeeeMode: 1
; LDSByteSize: 8192 bytes/workgroup (compile time only)
; SGPRBlocks: 0
; VGPRBlocks: 4
; NumSGPRsForWavesPerEU: 54
; NumVGPRsForWavesPerEU: 66
; NamedBarCnt: 0
; Occupancy: 12
; WaveLimiterHint : 0
; COMPUTE_PGM_RSRC2:SCRATCH_EN: 0
; COMPUTE_PGM_RSRC2:USER_SGPR: 2
; COMPUTE_PGM_RSRC2:TRAP_HANDLER: 0
; COMPUTE_PGM_RSRC2:TGID_X_EN: 1
; COMPUTE_PGM_RSRC2:TGID_Y_EN: 1
; COMPUTE_PGM_RSRC2:TGID_Z_EN: 1
; COMPUTE_PGM_RSRC2:TIDIG_COMP_CNT: 1
	.section	.text._ZN12_GLOBAL__N_135rocblas_gemm_batched_general_kernelI19rocblas_complex_numIdELi16ELi16ELi32ELi32ELi8ELi32ELi8ELi8ELi32ELc67ELc67EKS2_S3_S2_EEvlllT_PT11_llS6_llS4_PT12_llPT13_lli,"axG",@progbits,_ZN12_GLOBAL__N_135rocblas_gemm_batched_general_kernelI19rocblas_complex_numIdELi16ELi16ELi32ELi32ELi8ELi32ELi8ELi8ELi32ELc67ELc67EKS2_S3_S2_EEvlllT_PT11_llS6_llS4_PT12_llPT13_lli,comdat
	.globl	_ZN12_GLOBAL__N_135rocblas_gemm_batched_general_kernelI19rocblas_complex_numIdELi16ELi16ELi32ELi32ELi8ELi32ELi8ELi8ELi32ELc67ELc67EKS2_S3_S2_EEvlllT_PT11_llS6_llS4_PT12_llPT13_lli ; -- Begin function _ZN12_GLOBAL__N_135rocblas_gemm_batched_general_kernelI19rocblas_complex_numIdELi16ELi16ELi32ELi32ELi8ELi32ELi8ELi8ELi32ELc67ELc67EKS2_S3_S2_EEvlllT_PT11_llS6_llS4_PT12_llPT13_lli
	.p2align	8
	.type	_ZN12_GLOBAL__N_135rocblas_gemm_batched_general_kernelI19rocblas_complex_numIdELi16ELi16ELi32ELi32ELi8ELi32ELi8ELi8ELi32ELc67ELc67EKS2_S3_S2_EEvlllT_PT11_llS6_llS4_PT12_llPT13_lli,@function
_ZN12_GLOBAL__N_135rocblas_gemm_batched_general_kernelI19rocblas_complex_numIdELi16ELi16ELi32ELi32ELi8ELi32ELi8ELi8ELi32ELc67ELc67EKS2_S3_S2_EEvlllT_PT11_llS6_llS4_PT12_llPT13_lli: ; @_ZN12_GLOBAL__N_135rocblas_gemm_batched_general_kernelI19rocblas_complex_numIdELi16ELi16ELi32ELi32ELi8ELi32ELi8ELi8ELi32ELc67ELc67EKS2_S3_S2_EEvlllT_PT11_llS6_llS4_PT12_llPT13_lli
; %bb.0:
	s_load_b32 s30, s[0:1], 0x98
	s_bfe_u32 s2, ttmp6, 0x40014
	s_lshr_b32 s3, ttmp7, 16
	s_add_co_i32 s2, s2, 1
	s_bfe_u32 s5, ttmp6, 0x40008
	s_mul_i32 s4, s3, s2
	s_getreg_b32 s2, hwreg(HW_REG_IB_STS2, 6, 4)
	s_add_co_i32 s5, s5, s4
	s_cmp_eq_u32 s2, 0
	s_mov_b32 s25, 0
	s_cselect_b32 s24, s3, s5
	s_wait_kmcnt 0x0
	s_cmp_ge_i32 s24, s30
	s_cbranch_scc1 .LBB551_35
; %bb.1:
	s_clause 0x1
	s_load_b512 s[4:19], s[0:1], 0x0
	s_load_b512 s[36:51], s[0:1], 0x40
	v_bfe_u32 v2, v0, 10, 10
	v_and_b32_e32 v4, 0x3ff, v0
	v_dual_mov_b32 v3, 0 :: v_dual_bitop2_b32 v8, 7, v0 bitop3:0x40
	s_bfe_u32 s3, ttmp6, 0x4000c
	s_bfe_u32 s21, ttmp6, 0x40010
	s_add_co_i32 s3, s3, 1
	s_and_b32 s22, ttmp7, 0xffff
	s_add_co_i32 s21, s21, 1
	s_and_b32 s20, ttmp6, 15
	s_mul_i32 s3, ttmp9, s3
	s_mul_i32 s21, s22, s21
	s_bfe_u32 s23, ttmp6, 0x40004
	v_lshl_add_u32 v10, v2, 4, v4
	v_mov_b32_e32 v9, v3
	s_add_co_i32 s20, s20, s3
	s_add_co_i32 s23, s23, s21
	s_cmp_eq_u32 s2, 0
	v_and_b32_e32 v12, 31, v10
	s_cselect_b32 s2, ttmp9, s20
	s_wait_kmcnt 0x0
	v_mul_u64_e32 v[0:1], s[38:39], v[8:9]
	s_cselect_b32 s28, s22, s23
	s_ashr_i32 s3, s2, 31
	s_load_b128 s[20:23], s[0:1], 0x80
	s_lshl_b64 s[2:3], s[2:3], 5
	s_lshl_b32 s26, s28, 5
	v_dual_mov_b32 v7, s3 :: v_dual_bitop2_b32 v6, s2, v12 bitop3:0x54
	s_mov_b32 s27, s25
	v_dual_mov_b32 v15, v3 :: v_dual_lshrrev_b32 v14, 3, v10
	v_add_nc_u64_e32 v[18:19], s[26:27], v[2:3]
	s_delay_alu instid0(VALU_DEP_3)
	v_mul_u64_e32 v[16:17], s[16:17], v[6:7]
	v_dual_lshlrev_b32 v13, 4, v8 :: v_dual_lshrrev_b32 v10, 5, v10
	v_cmp_eq_f64_e64 s29, s[42:43], 0
	v_cmp_eq_f64_e64 s31, s[44:45], 0
	s_load_b64 s[16:17], s[0:1], 0x90
	v_mul_u64_e32 v[20:21], s[48:49], v[18:19]
	v_lshlrev_b32_e32 v24, 4, v12
	v_lshl_or_b32 v25, v14, 7, v13
	s_wait_xcnt 0x0
	s_mov_b32 s1, s25
	s_lshl_b32 s0, s28, 9
	s_wait_kmcnt 0x0
	v_mul_u64_e32 v[12:13], s[22:23], v[18:19]
	v_lshl_add_u32 v42, v2, 7, 0x1000
	v_dual_mov_b32 v5, v3 :: v_dual_lshlrev_b32 v2, 4, v14
	v_mov_b32_e32 v11, v3
	v_add_nc_u64_e32 v[22:23], s[26:27], v[14:15]
	v_cmp_gt_i64_e64 s33, s[8:9], 0
	v_lshl_or_b32 v43, v10, 9, v24
	v_add_nc_u64_e32 v[14:15], s[2:3], v[4:5]
	v_lshl_add_u64 v[0:1], v[0:1], 4, s[0:1]
	v_cmp_gt_i64_e64 s0, s[4:5], v[6:7]
	v_add_nc_u64_e32 v[6:7], 16, v[18:19]
	v_cmp_gt_i64_e64 s1, s[6:7], v[22:23]
	v_lshlrev_b32_e32 v45, 4, v4
	v_add_nc_u64_e32 v[0:1], v[0:1], v[2:3]
	v_lshlrev_b32_e32 v2, 4, v10
	v_add_nc_u64_e32 v[4:5], 16, v[14:15]
	v_cmp_gt_i64_e64 s2, s[6:7], v[18:19]
	v_cmp_gt_i64_e64 s3, s[4:5], v[14:15]
	v_add_nc_u32_e32 v44, 0x1000, v25
	s_lshl_b64 s[26:27], s[38:39], 7
	v_lshl_add_u64 v[2:3], v[16:17], 4, v[2:3]
	v_add_nc_u64_e32 v[0:1], s[36:37], v[0:1]
	v_cmp_gt_i64_e64 s4, s[4:5], v[4:5]
	v_cmp_gt_i64_e64 s5, s[6:7], v[6:7]
	s_and_b32 s31, s29, s31
	v_add_nc_u64_e32 v[2:3], s[14:15], v[2:3]
	v_lshl_add_u64 v[16:17], v[20:21], 4, s[46:47]
	s_lshl_b64 s[6:7], s[22:23], 4
	v_add_nc_u64_e32 v[18:19], 8, v[0:1]
	s_lshl_b64 s[14:15], s[48:49], 4
	s_lshl_b64 s[22:23], s[40:41], 4
	;; [unrolled: 1-line block ×3, first 2 shown]
	v_add_nc_u64_e32 v[20:21], 8, v[2:3]
	s_branch .LBB551_4
.LBB551_2:                              ;   in Loop: Header=BB551_4 Depth=1
	s_wait_xcnt 0x0
	s_or_b32 exec_lo, exec_lo, s34
.LBB551_3:                              ;   in Loop: Header=BB551_4 Depth=1
	s_add_co_i32 s24, s24, 0x10000
	s_delay_alu instid0(SALU_CYCLE_1)
	s_cmp_lt_i32 s24, s30
	s_cbranch_scc0 .LBB551_35
.LBB551_4:                              ; =>This Loop Header: Depth=1
                                        ;     Child Loop BB551_7 Depth 2
	s_and_not1_b32 vcc_lo, exec_lo, s33
	s_cbranch_vccnz .LBB551_11
; %bb.5:                                ;   in Loop: Header=BB551_4 Depth=1
	v_mad_nc_u64_u32 v[36:37], s22, s24, v[18:19]
	s_delay_alu instid0(VALU_DEP_2)
	v_mad_nc_u64_u32 v[40:41], s18, s24, v[20:21]
	v_mov_b64_e32 v[24:25], 0
	v_mov_b64_e32 v[22:23], 0
	;; [unrolled: 1-line block ×8, first 2 shown]
	s_mov_b64 s[28:29], 0
	v_mad_u32 v37, s23, s24, v37
	v_mad_u32 v41, s19, s24, v41
	s_branch .LBB551_7
.LBB551_6:                              ;   in Loop: Header=BB551_7 Depth=2
	s_wait_xcnt 0x0
	s_or_b32 exec_lo, exec_lo, s34
	ds_store_b128 v44, v[4:7]
	s_wait_dscnt 0x0
	s_barrier_signal -1
	s_barrier_wait -1
	ds_load_b128 v[0:3], v42
	ds_load_b128 v[4:7], v45
	ds_load_b128 v[46:49], v45 offset:256
	ds_load_b128 v[50:53], v42 offset:2048
	ds_load_b128 v[54:57], v42 offset:16
	ds_load_b128 v[58:61], v45 offset:512
	ds_load_b128 v[62:65], v45 offset:768
	ds_load_b128 v[66:69], v42 offset:2064
	ds_load_b128 v[70:73], v42 offset:32
	ds_load_b128 v[74:77], v45 offset:1024
	ds_load_b128 v[78:81], v45 offset:1280
	ds_load_b128 v[82:85], v42 offset:2080
	s_add_nc_u64 s[28:29], s[28:29], 8
	v_add_nc_u64_e32 v[36:37], s[26:27], v[36:37]
	v_cmp_lt_i64_e64 s34, s[28:29], s[8:9]
	v_add_nc_u64_e32 v[40:41], 0x80, v[40:41]
	s_and_b32 vcc_lo, exec_lo, s34
	s_wait_dscnt 0xa
	v_mul_f64_e32 v[86:87], v[2:3], v[6:7]
	v_mul_f64_e32 v[88:89], v[0:1], v[6:7]
	s_wait_dscnt 0x9
	v_mul_f64_e32 v[90:91], v[2:3], v[48:49]
	v_mul_f64_e32 v[92:93], v[0:1], v[48:49]
	s_wait_dscnt 0x8
	v_mul_f64_e32 v[94:95], v[52:53], v[6:7]
	v_mul_f64_e32 v[96:97], v[50:51], v[6:7]
	v_mul_f64_e32 v[6:7], v[52:53], v[48:49]
	v_mul_f64_e32 v[98:99], v[50:51], v[48:49]
	s_wait_dscnt 0x6
	v_mul_f64_e32 v[100:101], v[56:57], v[60:61]
	v_mul_f64_e32 v[102:103], v[54:55], v[60:61]
	s_wait_dscnt 0x5
	v_mul_f64_e32 v[104:105], v[56:57], v[64:65]
	v_mul_f64_e32 v[106:107], v[54:55], v[64:65]
	s_wait_dscnt 0x4
	v_mul_f64_e32 v[108:109], v[68:69], v[60:61]
	v_mul_f64_e32 v[60:61], v[66:67], v[60:61]
	v_mul_f64_e32 v[110:111], v[68:69], v[64:65]
	v_mul_f64_e32 v[64:65], v[66:67], v[64:65]
	;; [unrolled: 11-line block ×3, first 2 shown]
	v_fma_f64 v[86:87], v[0:1], v[4:5], -v[86:87]
	v_fmac_f64_e32 v[88:89], v[2:3], v[4:5]
	v_fma_f64 v[90:91], v[0:1], v[46:47], -v[90:91]
	v_fmac_f64_e32 v[92:93], v[2:3], v[46:47]
	;; [unrolled: 2-line block ×8, first 2 shown]
	ds_load_b128 v[0:3], v42 offset:48
	ds_load_b128 v[4:7], v42 offset:2096
	;; [unrolled: 1-line block ×4, first 2 shown]
	v_fma_f64 v[114:115], v[70:71], v[74:75], -v[114:115]
	v_fmac_f64_e32 v[116:117], v[72:73], v[74:75]
	v_fma_f64 v[118:119], v[70:71], v[78:79], -v[118:119]
	v_fmac_f64_e32 v[120:121], v[72:73], v[78:79]
	;; [unrolled: 2-line block ×4, first 2 shown]
	v_add_f64_e32 v[34:35], v[34:35], v[86:87]
	v_add_f64_e32 v[38:39], v[88:89], v[38:39]
	v_add_f64_e32 v[62:63], v[30:31], v[90:91]
	v_add_f64_e32 v[66:67], v[92:93], v[32:33]
	v_add_f64_e32 v[68:69], v[26:27], v[94:95]
	v_add_f64_e32 v[86:87], v[96:97], v[28:29]
	v_add_f64_e32 v[88:89], v[22:23], v[112:113]
	v_add_f64_e32 v[90:91], v[98:99], v[24:25]
	s_wait_dscnt 0x1
	v_mul_f64_e32 v[92:93], v[2:3], v[48:49]
	v_mul_f64_e32 v[94:95], v[0:1], v[48:49]
	s_wait_dscnt 0x0
	v_mul_f64_e32 v[96:97], v[2:3], v[52:53]
	v_mul_f64_e32 v[98:99], v[0:1], v[52:53]
	;; [unrolled: 1-line block ×6, first 2 shown]
	ds_load_b128 v[22:25], v42 offset:64
	ds_load_b128 v[26:29], v45 offset:2048
	;; [unrolled: 1-line block ×4, first 2 shown]
	v_add_f64_e32 v[34:35], v[34:35], v[100:101]
	v_add_f64_e32 v[38:39], v[102:103], v[38:39]
	;; [unrolled: 1-line block ×8, first 2 shown]
	s_wait_dscnt 0x2
	v_mul_f64_e32 v[100:101], v[24:25], v[28:29]
	v_mul_f64_e32 v[102:103], v[22:23], v[28:29]
	s_wait_dscnt 0x1
	v_mul_f64_e32 v[104:105], v[24:25], v[32:33]
	v_mul_f64_e32 v[106:107], v[22:23], v[32:33]
	;; [unrolled: 3-line block ×3, first 2 shown]
	v_mul_f64_e32 v[28:29], v[56:57], v[32:33]
	v_mul_f64_e32 v[126:127], v[54:55], v[32:33]
	v_fma_f64 v[92:93], v[0:1], v[46:47], -v[92:93]
	v_fmac_f64_e32 v[94:95], v[2:3], v[46:47]
	v_fma_f64 v[96:97], v[0:1], v[50:51], -v[96:97]
	v_fmac_f64_e32 v[98:99], v[2:3], v[50:51]
	;; [unrolled: 2-line block ×4, first 2 shown]
	ds_load_b128 v[58:61], v42 offset:80
	ds_load_b128 v[62:65], v42 offset:2128
	;; [unrolled: 1-line block ×4, first 2 shown]
	v_add_f64_e32 v[50:51], v[34:35], v[114:115]
	v_add_f64_e32 v[38:39], v[116:117], v[38:39]
	;; [unrolled: 1-line block ×8, first 2 shown]
	v_fma_f64 v[100:101], v[22:23], v[26:27], -v[100:101]
	v_fmac_f64_e32 v[102:103], v[24:25], v[26:27]
	v_fma_f64 v[104:105], v[22:23], v[30:31], -v[104:105]
	s_wait_dscnt 0x1
	v_mul_f64_e32 v[86:87], v[60:61], v[68:69]
	v_mul_f64_e32 v[88:89], v[58:59], v[68:69]
	s_wait_dscnt 0x0
	v_mul_f64_e32 v[90:91], v[60:61], v[72:73]
	v_mul_f64_e32 v[114:115], v[58:59], v[72:73]
	;; [unrolled: 1-line block ×6, first 2 shown]
	v_fmac_f64_e32 v[106:107], v[24:25], v[30:31]
	v_fma_f64 v[108:109], v[54:55], v[26:27], -v[108:109]
	v_fmac_f64_e32 v[124:125], v[56:57], v[26:27]
	v_fma_f64 v[120:121], v[54:55], v[30:31], -v[28:29]
	v_fmac_f64_e32 v[126:127], v[56:57], v[30:31]
	ds_load_b128 v[0:3], v42 offset:96
	ds_load_b128 v[4:7], v45 offset:3072
	;; [unrolled: 1-line block ×4, first 2 shown]
	v_add_f64_e32 v[30:31], v[50:51], v[92:93]
	v_add_f64_e32 v[38:39], v[94:95], v[38:39]
	;; [unrolled: 1-line block ×8, first 2 shown]
	ds_load_b128 v[22:25], v42 offset:112
	ds_load_b128 v[26:29], v42 offset:2160
	;; [unrolled: 1-line block ×4, first 2 shown]
	s_wait_dscnt 0x0
	v_mul_f64_e32 v[92:93], v[2:3], v[6:7]
	v_mul_f64_e32 v[94:95], v[0:1], v[6:7]
	;; [unrolled: 1-line block ×8, first 2 shown]
	v_fma_f64 v[86:87], v[58:59], v[66:67], -v[86:87]
	v_fmac_f64_e32 v[88:89], v[60:61], v[66:67]
	v_fma_f64 v[58:59], v[58:59], v[70:71], -v[90:91]
	v_fmac_f64_e32 v[114:115], v[60:61], v[70:71]
	;; [unrolled: 2-line block ×4, first 2 shown]
	s_barrier_signal -1
	s_barrier_wait -1
	v_mul_f64_e32 v[90:91], v[22:23], v[56:57]
	v_add_f64_e32 v[30:31], v[30:31], v[100:101]
	v_add_f64_e32 v[38:39], v[102:103], v[38:39]
	;; [unrolled: 1-line block ×8, first 2 shown]
	v_mul_f64_e32 v[80:81], v[24:25], v[52:53]
	v_mul_f64_e32 v[82:83], v[22:23], v[52:53]
	;; [unrolled: 1-line block ×7, first 2 shown]
	v_fma_f64 v[92:93], v[0:1], v[4:5], -v[92:93]
	v_fmac_f64_e32 v[94:95], v[2:3], v[4:5]
	v_fma_f64 v[0:1], v[0:1], v[32:33], -v[96:97]
	v_fmac_f64_e32 v[98:99], v[2:3], v[32:33]
	;; [unrolled: 2-line block ×4, first 2 shown]
	v_fmac_f64_e32 v[90:91], v[24:25], v[54:55]
	v_add_f64_e32 v[30:31], v[30:31], v[86:87]
	v_add_f64_e32 v[32:33], v[88:89], v[38:39]
	;; [unrolled: 1-line block ×8, first 2 shown]
	v_fma_f64 v[64:65], v[22:23], v[50:51], -v[80:81]
	v_fmac_f64_e32 v[82:83], v[24:25], v[50:51]
	v_fma_f64 v[22:23], v[22:23], v[54:55], -v[84:85]
	v_fma_f64 v[24:25], v[26:27], v[50:51], -v[100:101]
	v_fmac_f64_e32 v[52:53], v[28:29], v[50:51]
	v_fma_f64 v[50:51], v[26:27], v[54:55], -v[102:103]
	v_fmac_f64_e32 v[56:57], v[28:29], v[54:55]
	v_add_f64_e32 v[26:27], v[30:31], v[92:93]
	v_add_f64_e32 v[28:29], v[94:95], v[32:33]
	v_add_f64_e32 v[0:1], v[38:39], v[0:1]
	v_add_f64_e32 v[32:33], v[98:99], v[46:47]
	v_add_f64_e32 v[2:3], v[48:49], v[2:3]
	v_add_f64_e32 v[6:7], v[6:7], v[58:59]
	v_add_f64_e32 v[4:5], v[60:61], v[4:5]
	v_add_f64_e32 v[46:47], v[34:35], v[62:63]
	v_add_f64_e32 v[34:35], v[26:27], v[64:65]
	v_add_f64_e32 v[38:39], v[82:83], v[28:29]
	v_add_f64_e32 v[30:31], v[0:1], v[22:23]
	v_add_f64_e32 v[32:33], v[90:91], v[32:33]
	v_add_f64_e32 v[26:27], v[2:3], v[24:25]
	v_add_f64_e32 v[28:29], v[52:53], v[6:7]
	v_add_f64_e32 v[22:23], v[4:5], v[50:51]
	v_add_f64_e32 v[24:25], v[56:57], v[46:47]
	s_cbranch_vccz .LBB551_12
.LBB551_7:                              ;   Parent Loop BB551_4 Depth=1
                                        ; =>  This Inner Loop Header: Depth=2
	v_add_nc_u64_e32 v[0:1], s[28:29], v[10:11]
	v_mov_b64_e32 v[2:3], 0
	s_delay_alu instid0(VALU_DEP_2) | instskip(SKIP_2) | instid1(SALU_CYCLE_1)
	v_cmp_gt_i64_e32 vcc_lo, s[8:9], v[0:1]
	v_mov_b64_e32 v[0:1], 0
	s_and_b32 s35, s0, vcc_lo
	s_and_saveexec_b32 s34, s35
	s_cbranch_execz .LBB551_9
; %bb.8:                                ;   in Loop: Header=BB551_7 Depth=2
	global_load_b128 v[0:3], v[40:41], off offset:-8
	s_wait_loadcnt 0x0
	v_xor_b32_e32 v3, 0x80000000, v3
.LBB551_9:                              ;   in Loop: Header=BB551_7 Depth=2
	s_wait_xcnt 0x0
	s_or_b32 exec_lo, exec_lo, s34
	v_add_nc_u64_e32 v[4:5], s[28:29], v[8:9]
	v_mov_b64_e32 v[6:7], 0
	ds_store_b128 v43, v[0:3]
	v_cmp_gt_i64_e32 vcc_lo, s[8:9], v[4:5]
	v_mov_b64_e32 v[4:5], 0
	s_and_b32 s35, vcc_lo, s1
	s_delay_alu instid0(SALU_CYCLE_1)
	s_and_saveexec_b32 s34, s35
	s_cbranch_execz .LBB551_6
; %bb.10:                               ;   in Loop: Header=BB551_7 Depth=2
	global_load_b128 v[4:7], v[36:37], off offset:-8
	s_wait_loadcnt 0x0
	v_xor_b32_e32 v7, 0x80000000, v7
	s_branch .LBB551_6
.LBB551_11:                             ;   in Loop: Header=BB551_4 Depth=1
	v_mov_b64_e32 v[34:35], 0
	v_mov_b64_e32 v[38:39], 0
	v_mov_b64_e32 v[30:31], 0
	v_mov_b64_e32 v[32:33], 0
	v_mov_b64_e32 v[26:27], 0
	v_mov_b64_e32 v[28:29], 0
	v_mov_b64_e32 v[22:23], 0
	v_mov_b64_e32 v[24:25], 0
.LBB551_12:                             ;   in Loop: Header=BB551_4 Depth=1
	s_mul_u64 s[28:29], s[16:17], s[24:25]
	s_and_not1_b32 vcc_lo, exec_lo, s31
	s_lshl_b64 s[28:29], s[28:29], 4
	s_mov_b32 s34, -1
	s_add_nc_u64 s[28:29], s[20:21], s[28:29]
	s_cbranch_vccz .LBB551_14
; %bb.13:                               ;   in Loop: Header=BB551_4 Depth=1
	s_and_not1_b32 vcc_lo, exec_lo, s34
	s_cbranch_vccnz .LBB551_3
	s_branch .LBB551_25
.LBB551_14:                             ;   in Loop: Header=BB551_4 Depth=1
	s_and_saveexec_b32 s34, s2
	s_cbranch_execz .LBB551_24
; %bb.15:                               ;   in Loop: Header=BB551_4 Depth=1
	v_lshl_add_u64 v[0:1], v[12:13], 4, s[28:29]
	s_delay_alu instid0(VALU_DEP_1)
	v_lshl_add_u64 v[2:3], v[14:15], 4, v[0:1]
	s_and_saveexec_b32 s35, s3
	s_cbranch_execnz .LBB551_18
; %bb.16:                               ;   in Loop: Header=BB551_4 Depth=1
	s_or_b32 exec_lo, exec_lo, s35
	s_and_saveexec_b32 s35, s4
	s_cbranch_execnz .LBB551_19
.LBB551_17:                             ;   in Loop: Header=BB551_4 Depth=1
	s_or_b32 exec_lo, exec_lo, s35
	s_delay_alu instid0(SALU_CYCLE_1)
	s_and_b32 exec_lo, exec_lo, s5
	s_cbranch_execnz .LBB551_20
	s_branch .LBB551_24
.LBB551_18:                             ;   in Loop: Header=BB551_4 Depth=1
	v_mul_f64_e32 v[4:5], s[12:13], v[38:39]
	v_mul_f64_e32 v[6:7], s[10:11], v[38:39]
	s_delay_alu instid0(VALU_DEP_2) | instskip(NEXT) | instid1(VALU_DEP_2)
	v_fma_f64 v[4:5], s[10:11], v[34:35], -v[4:5]
	v_fmac_f64_e32 v[6:7], s[12:13], v[34:35]
	global_store_b128 v[2:3], v[4:7], off
	s_wait_xcnt 0x0
	s_or_b32 exec_lo, exec_lo, s35
	s_and_saveexec_b32 s35, s4
	s_cbranch_execz .LBB551_17
.LBB551_19:                             ;   in Loop: Header=BB551_4 Depth=1
	v_mul_f64_e32 v[4:5], s[12:13], v[32:33]
	v_mul_f64_e32 v[6:7], s[10:11], v[32:33]
	s_delay_alu instid0(VALU_DEP_2) | instskip(NEXT) | instid1(VALU_DEP_2)
	v_fma_f64 v[4:5], s[10:11], v[30:31], -v[4:5]
	v_fmac_f64_e32 v[6:7], s[12:13], v[30:31]
	global_store_b128 v[2:3], v[4:7], off offset:256
	s_wait_xcnt 0x0
	s_or_b32 exec_lo, exec_lo, s35
	s_delay_alu instid0(SALU_CYCLE_1)
	s_and_b32 exec_lo, exec_lo, s5
	s_cbranch_execz .LBB551_24
.LBB551_20:                             ;   in Loop: Header=BB551_4 Depth=1
	v_lshl_add_u64 v[0:1], s[6:7], 4, v[0:1]
	s_delay_alu instid0(VALU_DEP_1)
	v_lshl_add_u64 v[0:1], v[14:15], 4, v[0:1]
	s_and_saveexec_b32 s35, s3
	s_cbranch_execz .LBB551_22
; %bb.21:                               ;   in Loop: Header=BB551_4 Depth=1
	v_mul_f64_e32 v[2:3], s[12:13], v[28:29]
	v_mul_f64_e32 v[4:5], s[10:11], v[28:29]
	s_delay_alu instid0(VALU_DEP_2) | instskip(NEXT) | instid1(VALU_DEP_2)
	v_fma_f64 v[2:3], s[10:11], v[26:27], -v[2:3]
	v_fmac_f64_e32 v[4:5], s[12:13], v[26:27]
	global_store_b128 v[0:1], v[2:5], off
.LBB551_22:                             ;   in Loop: Header=BB551_4 Depth=1
	s_wait_xcnt 0x0
	s_or_b32 exec_lo, exec_lo, s35
	s_delay_alu instid0(SALU_CYCLE_1)
	s_and_b32 exec_lo, exec_lo, s4
	s_cbranch_execz .LBB551_24
; %bb.23:                               ;   in Loop: Header=BB551_4 Depth=1
	v_mul_f64_e32 v[2:3], s[12:13], v[24:25]
	v_mul_f64_e32 v[4:5], s[10:11], v[24:25]
	s_delay_alu instid0(VALU_DEP_2) | instskip(NEXT) | instid1(VALU_DEP_2)
	v_fma_f64 v[2:3], s[10:11], v[22:23], -v[2:3]
	v_fmac_f64_e32 v[4:5], s[12:13], v[22:23]
	global_store_b128 v[0:1], v[2:5], off offset:256
.LBB551_24:                             ;   in Loop: Header=BB551_4 Depth=1
	s_wait_xcnt 0x0
	s_or_b32 exec_lo, exec_lo, s34
	s_cbranch_execnz .LBB551_3
.LBB551_25:                             ;   in Loop: Header=BB551_4 Depth=1
	s_and_saveexec_b32 s34, s2
	s_cbranch_execz .LBB551_2
; %bb.26:                               ;   in Loop: Header=BB551_4 Depth=1
	s_mul_u64 s[36:37], s[50:51], s[24:25]
	v_lshlrev_b64_e32 v[0:1], 4, v[14:15]
	v_lshl_add_u64 v[2:3], s[36:37], 4, v[16:17]
	v_lshl_add_u64 v[4:5], v[12:13], 4, s[28:29]
	s_delay_alu instid0(VALU_DEP_2) | instskip(NEXT) | instid1(VALU_DEP_2)
	v_add_nc_u64_e32 v[36:37], v[2:3], v[0:1]
	v_add_nc_u64_e32 v[6:7], v[4:5], v[0:1]
	s_and_saveexec_b32 s28, s3
	s_cbranch_execnz .LBB551_29
; %bb.27:                               ;   in Loop: Header=BB551_4 Depth=1
	s_or_b32 exec_lo, exec_lo, s28
	s_and_saveexec_b32 s28, s4
	s_cbranch_execnz .LBB551_30
.LBB551_28:                             ;   in Loop: Header=BB551_4 Depth=1
	s_or_b32 exec_lo, exec_lo, s28
	s_delay_alu instid0(SALU_CYCLE_1)
	s_and_b32 exec_lo, exec_lo, s5
	s_cbranch_execz .LBB551_2
	s_branch .LBB551_31
.LBB551_29:                             ;   in Loop: Header=BB551_4 Depth=1
	global_load_b128 v[46:49], v[36:37], off
	v_mul_f64_e32 v[40:41], s[12:13], v[38:39]
	v_mul_f64_e32 v[50:51], s[10:11], v[38:39]
	s_delay_alu instid0(VALU_DEP_2) | instskip(NEXT) | instid1(VALU_DEP_2)
	v_fma_f64 v[40:41], s[10:11], v[34:35], -v[40:41]
	v_fmac_f64_e32 v[50:51], s[12:13], v[34:35]
	s_wait_loadcnt 0x0
	v_mul_f64_e32 v[38:39], s[44:45], v[48:49]
	v_mul_f64_e32 v[48:49], s[42:43], v[48:49]
	s_delay_alu instid0(VALU_DEP_2) | instskip(NEXT) | instid1(VALU_DEP_2)
	v_fma_f64 v[34:35], s[42:43], v[46:47], -v[38:39]
	v_fmac_f64_e32 v[48:49], s[44:45], v[46:47]
	s_delay_alu instid0(VALU_DEP_2) | instskip(NEXT) | instid1(VALU_DEP_2)
	v_add_f64_e32 v[38:39], v[40:41], v[34:35]
	v_add_f64_e32 v[40:41], v[50:51], v[48:49]
	global_store_b128 v[6:7], v[38:41], off
	s_wait_xcnt 0x0
	s_or_b32 exec_lo, exec_lo, s28
	s_and_saveexec_b32 s28, s4
	s_cbranch_execz .LBB551_28
.LBB551_30:                             ;   in Loop: Header=BB551_4 Depth=1
	global_load_b128 v[34:37], v[36:37], off offset:256
	v_mul_f64_e32 v[38:39], s[12:13], v[32:33]
	v_mul_f64_e32 v[32:33], s[10:11], v[32:33]
	s_delay_alu instid0(VALU_DEP_2) | instskip(NEXT) | instid1(VALU_DEP_2)
	v_fma_f64 v[38:39], s[10:11], v[30:31], -v[38:39]
	v_fmac_f64_e32 v[32:33], s[12:13], v[30:31]
	s_wait_loadcnt 0x0
	v_mul_f64_e32 v[40:41], s[44:45], v[36:37]
	s_wait_xcnt 0x0
	v_mul_f64_e32 v[36:37], s[42:43], v[36:37]
	s_delay_alu instid0(VALU_DEP_2) | instskip(NEXT) | instid1(VALU_DEP_2)
	v_fma_f64 v[30:31], s[42:43], v[34:35], -v[40:41]
	v_fmac_f64_e32 v[36:37], s[44:45], v[34:35]
	s_delay_alu instid0(VALU_DEP_2) | instskip(NEXT) | instid1(VALU_DEP_2)
	v_add_f64_e32 v[30:31], v[38:39], v[30:31]
	v_add_f64_e32 v[32:33], v[32:33], v[36:37]
	global_store_b128 v[6:7], v[30:33], off offset:256
	s_wait_xcnt 0x0
	s_or_b32 exec_lo, exec_lo, s28
	s_delay_alu instid0(SALU_CYCLE_1)
	s_and_b32 exec_lo, exec_lo, s5
	s_cbranch_execz .LBB551_2
.LBB551_31:                             ;   in Loop: Header=BB551_4 Depth=1
	v_lshl_add_u64 v[2:3], s[14:15], 4, v[2:3]
	v_lshl_add_u64 v[4:5], s[6:7], 4, v[4:5]
	s_delay_alu instid0(VALU_DEP_2) | instskip(NEXT) | instid1(VALU_DEP_2)
	v_add_nc_u64_e32 v[2:3], v[2:3], v[0:1]
	v_add_nc_u64_e32 v[0:1], v[4:5], v[0:1]
	s_and_saveexec_b32 s28, s3
	s_cbranch_execz .LBB551_33
; %bb.32:                               ;   in Loop: Header=BB551_4 Depth=1
	global_load_b128 v[4:7], v[2:3], off
	v_mul_f64_e32 v[30:31], s[12:13], v[28:29]
	v_mul_f64_e32 v[28:29], s[10:11], v[28:29]
	s_delay_alu instid0(VALU_DEP_2) | instskip(NEXT) | instid1(VALU_DEP_2)
	v_fma_f64 v[30:31], s[10:11], v[26:27], -v[30:31]
	v_fmac_f64_e32 v[28:29], s[12:13], v[26:27]
	s_wait_loadcnt 0x0
	v_mul_f64_e32 v[32:33], s[44:45], v[6:7]
	v_mul_f64_e32 v[6:7], s[42:43], v[6:7]
	s_delay_alu instid0(VALU_DEP_2) | instskip(NEXT) | instid1(VALU_DEP_2)
	v_fma_f64 v[26:27], s[42:43], v[4:5], -v[32:33]
	v_fmac_f64_e32 v[6:7], s[44:45], v[4:5]
	s_delay_alu instid0(VALU_DEP_2) | instskip(NEXT) | instid1(VALU_DEP_2)
	v_add_f64_e32 v[4:5], v[30:31], v[26:27]
	v_add_f64_e32 v[6:7], v[28:29], v[6:7]
	global_store_b128 v[0:1], v[4:7], off
.LBB551_33:                             ;   in Loop: Header=BB551_4 Depth=1
	s_wait_xcnt 0x0
	s_or_b32 exec_lo, exec_lo, s28
	s_delay_alu instid0(SALU_CYCLE_1)
	s_and_b32 exec_lo, exec_lo, s4
	s_cbranch_execz .LBB551_2
; %bb.34:                               ;   in Loop: Header=BB551_4 Depth=1
	global_load_b128 v[2:5], v[2:3], off offset:256
	v_mul_f64_e32 v[6:7], s[12:13], v[24:25]
	v_mul_f64_e32 v[24:25], s[10:11], v[24:25]
	s_delay_alu instid0(VALU_DEP_2) | instskip(NEXT) | instid1(VALU_DEP_2)
	v_fma_f64 v[6:7], s[10:11], v[22:23], -v[6:7]
	v_fmac_f64_e32 v[24:25], s[12:13], v[22:23]
	s_wait_loadcnt 0x0
	v_mul_f64_e32 v[26:27], s[44:45], v[4:5]
	v_mul_f64_e32 v[4:5], s[42:43], v[4:5]
	s_delay_alu instid0(VALU_DEP_2) | instskip(NEXT) | instid1(VALU_DEP_2)
	v_fma_f64 v[22:23], s[42:43], v[2:3], -v[26:27]
	v_fmac_f64_e32 v[4:5], s[44:45], v[2:3]
	s_wait_xcnt 0x0
	s_delay_alu instid0(VALU_DEP_2) | instskip(NEXT) | instid1(VALU_DEP_2)
	v_add_f64_e32 v[2:3], v[6:7], v[22:23]
	v_add_f64_e32 v[4:5], v[24:25], v[4:5]
	global_store_b128 v[0:1], v[2:5], off offset:256
	s_branch .LBB551_2
.LBB551_35:
	s_sendmsg sendmsg(MSG_DEALLOC_VGPRS)
	s_endpgm
	.section	.rodata,"a",@progbits
	.p2align	6, 0x0
	.amdhsa_kernel _ZN12_GLOBAL__N_135rocblas_gemm_batched_general_kernelI19rocblas_complex_numIdELi16ELi16ELi32ELi32ELi8ELi32ELi8ELi8ELi32ELc67ELc67EKS2_S3_S2_EEvlllT_PT11_llS6_llS4_PT12_llPT13_lli
		.amdhsa_group_segment_fixed_size 8192
		.amdhsa_private_segment_fixed_size 0
		.amdhsa_kernarg_size 156
		.amdhsa_user_sgpr_count 2
		.amdhsa_user_sgpr_dispatch_ptr 0
		.amdhsa_user_sgpr_queue_ptr 0
		.amdhsa_user_sgpr_kernarg_segment_ptr 1
		.amdhsa_user_sgpr_dispatch_id 0
		.amdhsa_user_sgpr_kernarg_preload_length 0
		.amdhsa_user_sgpr_kernarg_preload_offset 0
		.amdhsa_user_sgpr_private_segment_size 0
		.amdhsa_wavefront_size32 1
		.amdhsa_uses_dynamic_stack 0
		.amdhsa_enable_private_segment 0
		.amdhsa_system_sgpr_workgroup_id_x 1
		.amdhsa_system_sgpr_workgroup_id_y 1
		.amdhsa_system_sgpr_workgroup_id_z 1
		.amdhsa_system_sgpr_workgroup_info 0
		.amdhsa_system_vgpr_workitem_id 1
		.amdhsa_next_free_vgpr 130
		.amdhsa_next_free_sgpr 52
		.amdhsa_named_barrier_count 0
		.amdhsa_reserve_vcc 1
		.amdhsa_float_round_mode_32 0
		.amdhsa_float_round_mode_16_64 0
		.amdhsa_float_denorm_mode_32 3
		.amdhsa_float_denorm_mode_16_64 3
		.amdhsa_fp16_overflow 0
		.amdhsa_memory_ordered 1
		.amdhsa_forward_progress 1
		.amdhsa_inst_pref_size 24
		.amdhsa_round_robin_scheduling 0
		.amdhsa_exception_fp_ieee_invalid_op 0
		.amdhsa_exception_fp_denorm_src 0
		.amdhsa_exception_fp_ieee_div_zero 0
		.amdhsa_exception_fp_ieee_overflow 0
		.amdhsa_exception_fp_ieee_underflow 0
		.amdhsa_exception_fp_ieee_inexact 0
		.amdhsa_exception_int_div_zero 0
	.end_amdhsa_kernel
	.section	.text._ZN12_GLOBAL__N_135rocblas_gemm_batched_general_kernelI19rocblas_complex_numIdELi16ELi16ELi32ELi32ELi8ELi32ELi8ELi8ELi32ELc67ELc67EKS2_S3_S2_EEvlllT_PT11_llS6_llS4_PT12_llPT13_lli,"axG",@progbits,_ZN12_GLOBAL__N_135rocblas_gemm_batched_general_kernelI19rocblas_complex_numIdELi16ELi16ELi32ELi32ELi8ELi32ELi8ELi8ELi32ELc67ELc67EKS2_S3_S2_EEvlllT_PT11_llS6_llS4_PT12_llPT13_lli,comdat
.Lfunc_end551:
	.size	_ZN12_GLOBAL__N_135rocblas_gemm_batched_general_kernelI19rocblas_complex_numIdELi16ELi16ELi32ELi32ELi8ELi32ELi8ELi8ELi32ELc67ELc67EKS2_S3_S2_EEvlllT_PT11_llS6_llS4_PT12_llPT13_lli, .Lfunc_end551-_ZN12_GLOBAL__N_135rocblas_gemm_batched_general_kernelI19rocblas_complex_numIdELi16ELi16ELi32ELi32ELi8ELi32ELi8ELi8ELi32ELc67ELc67EKS2_S3_S2_EEvlllT_PT11_llS6_llS4_PT12_llPT13_lli
                                        ; -- End function
	.set _ZN12_GLOBAL__N_135rocblas_gemm_batched_general_kernelI19rocblas_complex_numIdELi16ELi16ELi32ELi32ELi8ELi32ELi8ELi8ELi32ELc67ELc67EKS2_S3_S2_EEvlllT_PT11_llS6_llS4_PT12_llPT13_lli.num_vgpr, 130
	.set _ZN12_GLOBAL__N_135rocblas_gemm_batched_general_kernelI19rocblas_complex_numIdELi16ELi16ELi32ELi32ELi8ELi32ELi8ELi8ELi32ELc67ELc67EKS2_S3_S2_EEvlllT_PT11_llS6_llS4_PT12_llPT13_lli.num_agpr, 0
	.set _ZN12_GLOBAL__N_135rocblas_gemm_batched_general_kernelI19rocblas_complex_numIdELi16ELi16ELi32ELi32ELi8ELi32ELi8ELi8ELi32ELc67ELc67EKS2_S3_S2_EEvlllT_PT11_llS6_llS4_PT12_llPT13_lli.numbered_sgpr, 52
	.set _ZN12_GLOBAL__N_135rocblas_gemm_batched_general_kernelI19rocblas_complex_numIdELi16ELi16ELi32ELi32ELi8ELi32ELi8ELi8ELi32ELc67ELc67EKS2_S3_S2_EEvlllT_PT11_llS6_llS4_PT12_llPT13_lli.num_named_barrier, 0
	.set _ZN12_GLOBAL__N_135rocblas_gemm_batched_general_kernelI19rocblas_complex_numIdELi16ELi16ELi32ELi32ELi8ELi32ELi8ELi8ELi32ELc67ELc67EKS2_S3_S2_EEvlllT_PT11_llS6_llS4_PT12_llPT13_lli.private_seg_size, 0
	.set _ZN12_GLOBAL__N_135rocblas_gemm_batched_general_kernelI19rocblas_complex_numIdELi16ELi16ELi32ELi32ELi8ELi32ELi8ELi8ELi32ELc67ELc67EKS2_S3_S2_EEvlllT_PT11_llS6_llS4_PT12_llPT13_lli.uses_vcc, 1
	.set _ZN12_GLOBAL__N_135rocblas_gemm_batched_general_kernelI19rocblas_complex_numIdELi16ELi16ELi32ELi32ELi8ELi32ELi8ELi8ELi32ELc67ELc67EKS2_S3_S2_EEvlllT_PT11_llS6_llS4_PT12_llPT13_lli.uses_flat_scratch, 0
	.set _ZN12_GLOBAL__N_135rocblas_gemm_batched_general_kernelI19rocblas_complex_numIdELi16ELi16ELi32ELi32ELi8ELi32ELi8ELi8ELi32ELc67ELc67EKS2_S3_S2_EEvlllT_PT11_llS6_llS4_PT12_llPT13_lli.has_dyn_sized_stack, 0
	.set _ZN12_GLOBAL__N_135rocblas_gemm_batched_general_kernelI19rocblas_complex_numIdELi16ELi16ELi32ELi32ELi8ELi32ELi8ELi8ELi32ELc67ELc67EKS2_S3_S2_EEvlllT_PT11_llS6_llS4_PT12_llPT13_lli.has_recursion, 0
	.set _ZN12_GLOBAL__N_135rocblas_gemm_batched_general_kernelI19rocblas_complex_numIdELi16ELi16ELi32ELi32ELi8ELi32ELi8ELi8ELi32ELc67ELc67EKS2_S3_S2_EEvlllT_PT11_llS6_llS4_PT12_llPT13_lli.has_indirect_call, 0
	.section	.AMDGPU.csdata,"",@progbits
; Kernel info:
; codeLenInByte = 2988
; TotalNumSgprs: 54
; NumVgprs: 130
; ScratchSize: 0
; MemoryBound: 1
; FloatMode: 240
; IeeeMode: 1
; LDSByteSize: 8192 bytes/workgroup (compile time only)
; SGPRBlocks: 0
; VGPRBlocks: 8
; NumSGPRsForWavesPerEU: 54
; NumVGPRsForWavesPerEU: 130
; NamedBarCnt: 0
; Occupancy: 7
; WaveLimiterHint : 0
; COMPUTE_PGM_RSRC2:SCRATCH_EN: 0
; COMPUTE_PGM_RSRC2:USER_SGPR: 2
; COMPUTE_PGM_RSRC2:TRAP_HANDLER: 0
; COMPUTE_PGM_RSRC2:TGID_X_EN: 1
; COMPUTE_PGM_RSRC2:TGID_Y_EN: 1
; COMPUTE_PGM_RSRC2:TGID_Z_EN: 1
; COMPUTE_PGM_RSRC2:TIDIG_COMP_CNT: 1
	.section	.text._ZN12_GLOBAL__N_135rocblas_gemm_batched_general_kernelI19rocblas_complex_numIdELi16ELi16ELi32ELi32ELi8ELi32ELi8ELi8ELi32ELc67ELc78EKS2_S3_S2_EEvlllT_PT11_llS6_llS4_PT12_llPT13_lli,"axG",@progbits,_ZN12_GLOBAL__N_135rocblas_gemm_batched_general_kernelI19rocblas_complex_numIdELi16ELi16ELi32ELi32ELi8ELi32ELi8ELi8ELi32ELc67ELc78EKS2_S3_S2_EEvlllT_PT11_llS6_llS4_PT12_llPT13_lli,comdat
	.globl	_ZN12_GLOBAL__N_135rocblas_gemm_batched_general_kernelI19rocblas_complex_numIdELi16ELi16ELi32ELi32ELi8ELi32ELi8ELi8ELi32ELc67ELc78EKS2_S3_S2_EEvlllT_PT11_llS6_llS4_PT12_llPT13_lli ; -- Begin function _ZN12_GLOBAL__N_135rocblas_gemm_batched_general_kernelI19rocblas_complex_numIdELi16ELi16ELi32ELi32ELi8ELi32ELi8ELi8ELi32ELc67ELc78EKS2_S3_S2_EEvlllT_PT11_llS6_llS4_PT12_llPT13_lli
	.p2align	8
	.type	_ZN12_GLOBAL__N_135rocblas_gemm_batched_general_kernelI19rocblas_complex_numIdELi16ELi16ELi32ELi32ELi8ELi32ELi8ELi8ELi32ELc67ELc78EKS2_S3_S2_EEvlllT_PT11_llS6_llS4_PT12_llPT13_lli,@function
_ZN12_GLOBAL__N_135rocblas_gemm_batched_general_kernelI19rocblas_complex_numIdELi16ELi16ELi32ELi32ELi8ELi32ELi8ELi8ELi32ELc67ELc78EKS2_S3_S2_EEvlllT_PT11_llS6_llS4_PT12_llPT13_lli: ; @_ZN12_GLOBAL__N_135rocblas_gemm_batched_general_kernelI19rocblas_complex_numIdELi16ELi16ELi32ELi32ELi8ELi32ELi8ELi8ELi32ELc67ELc78EKS2_S3_S2_EEvlllT_PT11_llS6_llS4_PT12_llPT13_lli
; %bb.0:
	s_load_b32 s28, s[0:1], 0x98
	s_bfe_u32 s2, ttmp6, 0x40014
	s_lshr_b32 s3, ttmp7, 16
	s_add_co_i32 s2, s2, 1
	s_bfe_u32 s5, ttmp6, 0x40008
	s_mul_i32 s4, s3, s2
	s_getreg_b32 s2, hwreg(HW_REG_IB_STS2, 6, 4)
	s_add_co_i32 s5, s5, s4
	s_cmp_eq_u32 s2, 0
	s_mov_b32 s25, 0
	s_cselect_b32 s24, s3, s5
	s_wait_kmcnt 0x0
	s_cmp_ge_i32 s24, s28
	s_cbranch_scc1 .LBB552_37
; %bb.1:
	v_bfe_u32 v4, v0, 10, 10
	v_and_b32_e32 v6, 0x3ff, v0
	s_bfe_u32 s3, ttmp6, 0x4000c
	s_bfe_u32 s27, ttmp6, 0x40010
	s_clause 0x2
	s_load_b512 s[4:19], s[0:1], 0x0
	s_load_b512 s[36:51], s[0:1], 0x40
	s_load_b128 s[20:23], s[0:1], 0x80
	s_add_co_i32 s3, s3, 1
	s_and_b32 s29, ttmp7, 0xffff
	s_add_co_i32 s27, s27, 1
	s_and_b32 s26, ttmp6, 15
	s_mul_i32 s3, ttmp9, s3
	s_mul_i32 s27, s29, s27
	s_bfe_u32 s30, ttmp6, 0x40004
	v_lshl_add_u32 v1, v4, 4, v6
	s_add_co_i32 s26, s26, s3
	s_add_co_i32 s30, s30, s27
	s_cmp_eq_u32 s2, 0
	s_delay_alu instid0(VALU_DEP_1) | instskip(SKIP_3) | instid1(VALU_DEP_1)
	v_dual_mov_b32 v2, 0 :: v_dual_bitop2_b32 v3, 31, v1 bitop3:0x40
	s_cselect_b32 s2, ttmp9, s26
	s_cselect_b32 s26, s29, s30
	s_ashr_i32 s3, s2, 31
	v_dual_mov_b32 v5, v2 :: v_dual_lshrrev_b32 v10, 3, v1
	s_lshl_b64 s[2:3], s[2:3], 5
	s_delay_alu instid0(SALU_CYCLE_1)
	v_dual_mov_b32 v11, v2 :: v_dual_bitop2_b32 v12, s2, v3 bitop3:0x54
	v_dual_mov_b32 v13, s3 :: v_dual_bitop2_b32 v0, 7, v0 bitop3:0x40
	s_lshl_b32 s26, s26, 5
	s_mov_b32 s27, s25
	v_mov_b32_e32 v7, v2
	v_add_nc_u64_e32 v[14:15], s[26:27], v[10:11]
	s_wait_kmcnt 0x0
	v_mul_u64_e32 v[16:17], s[16:17], v[12:13]
	v_add_nc_u64_e32 v[18:19], s[26:27], v[4:5]
	v_lshlrev_b32_e32 v24, 4, v0
	v_cmp_eq_f64_e64 s29, s[42:43], 0
	v_cmp_eq_f64_e64 s30, s[44:45], 0
	v_dual_mov_b32 v9, v2 :: v_dual_lshrrev_b32 v8, 5, v1
	v_mul_u64_e32 v[20:21], s[38:39], v[14:15]
	v_mul_u64_e32 v[22:23], s[48:49], v[18:19]
	v_lshl_or_b32 v5, v10, 7, v24
	v_mul_u64_e32 v[10:11], s[22:23], v[18:19]
	s_load_b64 s[16:17], s[0:1], 0x90
	s_wait_xcnt 0x0
	v_cmp_gt_i64_e64 s0, s[4:5], v[12:13]
	v_add_nc_u64_e32 v[12:13], s[2:3], v[6:7]
	v_dual_lshlrev_b32 v44, 4, v6 :: v_dual_lshlrev_b32 v6, 4, v8
	v_add_nc_u32_e32 v43, 0x1000, v5
	v_lshl_add_u32 v45, v4, 7, 0x1000
	v_mov_b32_e32 v25, v2
	v_cmp_gt_i64_e32 vcc_lo, s[6:7], v[14:15]
	v_add_nc_u64_e32 v[4:5], 16, v[12:13]
	v_add_nc_u64_e32 v[14:15], 16, v[18:19]
	v_dual_lshlrev_b32 v3, 4, v3 :: v_dual_mov_b32 v1, v2
	v_cmp_gt_i64_e64 s1, s[6:7], v[18:19]
	v_cmp_gt_i64_e64 s2, s[4:5], v[12:13]
	s_lshl_b64 s[18:19], s[18:19], 4
	v_cmp_gt_i64_e64 s3, s[4:5], v[4:5]
	v_cmp_gt_i64_e64 s4, s[6:7], v[14:15]
	;; [unrolled: 1-line block ×3, first 2 shown]
	v_lshl_or_b32 v42, v8, 9, v3
	s_lshl_b64 s[6:7], s[22:23], 4
	v_lshl_add_u64 v[6:7], v[16:17], 4, v[6:7]
	s_lshl_b64 s[22:23], s[40:41], 4
	s_and_b32 s29, s29, s30
	s_delay_alu instid0(VALU_DEP_1) | instskip(SKIP_4) | instid1(VALU_DEP_2)
	v_add_nc_u64_e32 v[4:5], s[14:15], v[6:7]
	s_lshl_b64 s[14:15], s[48:49], 4
	v_lshl_add_u64 v[6:7], v[20:21], 4, v[24:25]
	v_lshl_add_u64 v[14:15], v[22:23], 4, s[46:47]
	s_xor_b32 s30, vcc_lo, -1
	v_add_nc_u64_e32 v[16:17], s[36:37], v[6:7]
	s_delay_alu instid0(VALU_DEP_4)
	v_add_nc_u64_e32 v[18:19], 8, v[4:5]
	s_branch .LBB552_4
.LBB552_2:                              ;   in Loop: Header=BB552_4 Depth=1
	s_wait_xcnt 0x0
	s_or_b32 exec_lo, exec_lo, s31
.LBB552_3:                              ;   in Loop: Header=BB552_4 Depth=1
	s_add_co_i32 s24, s24, 0x10000
	s_delay_alu instid0(SALU_CYCLE_1)
	s_cmp_lt_i32 s24, s28
	s_cbranch_scc0 .LBB552_37
.LBB552_4:                              ; =>This Loop Header: Depth=1
                                        ;     Child Loop BB552_7 Depth 2
	s_and_not1_b32 vcc_lo, exec_lo, s5
	s_cbranch_vccnz .LBB552_13
; %bb.5:                                ;   in Loop: Header=BB552_4 Depth=1
	s_delay_alu instid0(VALU_DEP_2) | instskip(NEXT) | instid1(VALU_DEP_2)
	v_mad_nc_u64_u32 v[34:35], s22, s24, v[16:17]
	v_mad_nc_u64_u32 v[38:39], s18, s24, v[18:19]
	v_mov_b64_e32 v[22:23], 0
	v_mov_b64_e32 v[20:21], 0
	;; [unrolled: 1-line block ×8, first 2 shown]
	s_mov_b64 s[26:27], 0
	v_mad_u32 v35, s23, s24, v35
	v_mad_u32 v39, s19, s24, v39
	s_branch .LBB552_7
.LBB552_6:                              ;   in Loop: Header=BB552_7 Depth=2
	s_wait_xcnt 0x0
	s_or_b32 exec_lo, exec_lo, s31
	s_wait_dscnt 0x0
	s_barrier_signal -1
	s_barrier_wait -1
	ds_load_b128 v[4:7], v45
	ds_load_b128 v[46:49], v44
	ds_load_b128 v[50:53], v44 offset:256
	ds_load_b128 v[54:57], v45 offset:2048
	;; [unrolled: 1-line block ×10, first 2 shown]
	s_add_nc_u64 s[26:27], s[26:27], 8
	v_add_nc_u64_e32 v[34:35], 0x80, v[34:35]
	v_cmp_lt_i64_e64 s31, s[26:27], s[8:9]
	v_add_nc_u64_e32 v[38:39], 0x80, v[38:39]
	s_and_b32 vcc_lo, exec_lo, s31
	s_wait_dscnt 0xa
	v_mul_f64_e32 v[40:41], v[6:7], v[48:49]
	v_mul_f64_e32 v[90:91], v[4:5], v[48:49]
	s_wait_dscnt 0x9
	v_mul_f64_e32 v[92:93], v[6:7], v[52:53]
	v_mul_f64_e32 v[94:95], v[4:5], v[52:53]
	s_wait_dscnt 0x8
	v_mul_f64_e32 v[96:97], v[56:57], v[48:49]
	v_mul_f64_e32 v[98:99], v[54:55], v[48:49]
	v_mul_f64_e32 v[48:49], v[56:57], v[52:53]
	v_mul_f64_e32 v[100:101], v[54:55], v[52:53]
	s_wait_dscnt 0x6
	v_mul_f64_e32 v[102:103], v[60:61], v[64:65]
	v_mul_f64_e32 v[104:105], v[58:59], v[64:65]
	s_wait_dscnt 0x5
	v_mul_f64_e32 v[106:107], v[60:61], v[68:69]
	v_mul_f64_e32 v[108:109], v[58:59], v[68:69]
	s_wait_dscnt 0x4
	v_mul_f64_e32 v[110:111], v[72:73], v[64:65]
	v_mul_f64_e32 v[64:65], v[70:71], v[64:65]
	v_mul_f64_e32 v[112:113], v[72:73], v[68:69]
	v_mul_f64_e32 v[68:69], v[70:71], v[68:69]
	;; [unrolled: 11-line block ×3, first 2 shown]
	v_fma_f64 v[40:41], v[4:5], v[46:47], -v[40:41]
	v_fmac_f64_e32 v[90:91], v[6:7], v[46:47]
	v_fma_f64 v[92:93], v[4:5], v[50:51], -v[92:93]
	v_fmac_f64_e32 v[94:95], v[6:7], v[50:51]
	;; [unrolled: 2-line block ×8, first 2 shown]
	ds_load_b128 v[4:7], v45 offset:48
	ds_load_b128 v[46:49], v45 offset:2096
	;; [unrolled: 1-line block ×4, first 2 shown]
	v_fma_f64 v[116:117], v[74:75], v[78:79], -v[116:117]
	v_fmac_f64_e32 v[118:119], v[76:77], v[78:79]
	v_fma_f64 v[120:121], v[74:75], v[82:83], -v[120:121]
	v_fmac_f64_e32 v[122:123], v[76:77], v[82:83]
	;; [unrolled: 2-line block ×4, first 2 shown]
	v_add_f64_e32 v[32:33], v[32:33], v[40:41]
	v_add_f64_e32 v[36:37], v[90:91], v[36:37]
	;; [unrolled: 1-line block ×8, first 2 shown]
	s_wait_dscnt 0x1
	v_mul_f64_e32 v[94:95], v[6:7], v[52:53]
	v_mul_f64_e32 v[96:97], v[4:5], v[52:53]
	s_wait_dscnt 0x0
	v_mul_f64_e32 v[98:99], v[6:7], v[56:57]
	v_mul_f64_e32 v[100:101], v[4:5], v[56:57]
	;; [unrolled: 1-line block ×6, first 2 shown]
	ds_load_b128 v[20:23], v45 offset:64
	ds_load_b128 v[24:27], v44 offset:2048
	;; [unrolled: 1-line block ×4, first 2 shown]
	v_add_f64_e32 v[32:33], v[32:33], v[102:103]
	v_add_f64_e32 v[36:37], v[104:105], v[36:37]
	;; [unrolled: 1-line block ×8, first 2 shown]
	s_wait_dscnt 0x2
	v_mul_f64_e32 v[102:103], v[22:23], v[26:27]
	v_mul_f64_e32 v[104:105], v[20:21], v[26:27]
	s_wait_dscnt 0x1
	v_mul_f64_e32 v[106:107], v[22:23], v[30:31]
	v_mul_f64_e32 v[108:109], v[20:21], v[30:31]
	s_wait_dscnt 0x0
	v_mul_f64_e32 v[110:111], v[60:61], v[26:27]
	v_mul_f64_e32 v[126:127], v[58:59], v[26:27]
	v_mul_f64_e32 v[26:27], v[60:61], v[30:31]
	v_mul_f64_e32 v[128:129], v[58:59], v[30:31]
	v_fma_f64 v[94:95], v[4:5], v[50:51], -v[94:95]
	v_fmac_f64_e32 v[96:97], v[6:7], v[50:51]
	v_fma_f64 v[98:99], v[4:5], v[54:55], -v[98:99]
	v_fmac_f64_e32 v[100:101], v[6:7], v[54:55]
	;; [unrolled: 2-line block ×4, first 2 shown]
	ds_load_b128 v[62:65], v45 offset:80
	ds_load_b128 v[66:69], v45 offset:2128
	ds_load_b128 v[70:73], v44 offset:2560
	ds_load_b128 v[74:77], v44 offset:2816
	v_add_f64_e32 v[54:55], v[32:33], v[116:117]
	v_add_f64_e32 v[36:37], v[118:119], v[36:37]
	;; [unrolled: 1-line block ×8, first 2 shown]
	v_fma_f64 v[102:103], v[20:21], v[24:25], -v[102:103]
	v_fmac_f64_e32 v[104:105], v[22:23], v[24:25]
	v_fma_f64 v[106:107], v[20:21], v[28:29], -v[106:107]
	s_wait_dscnt 0x1
	v_mul_f64_e32 v[88:89], v[64:65], v[72:73]
	v_mul_f64_e32 v[90:91], v[62:63], v[72:73]
	s_wait_dscnt 0x0
	v_mul_f64_e32 v[92:93], v[64:65], v[76:77]
	v_mul_f64_e32 v[116:117], v[62:63], v[76:77]
	;; [unrolled: 1-line block ×6, first 2 shown]
	v_fmac_f64_e32 v[108:109], v[22:23], v[28:29]
	v_fma_f64 v[110:111], v[58:59], v[24:25], -v[110:111]
	v_fmac_f64_e32 v[126:127], v[60:61], v[24:25]
	v_fma_f64 v[122:123], v[58:59], v[28:29], -v[26:27]
	v_fmac_f64_e32 v[128:129], v[60:61], v[28:29]
	ds_load_b128 v[4:7], v45 offset:96
	ds_load_b128 v[30:33], v44 offset:3072
	;; [unrolled: 1-line block ×4, first 2 shown]
	v_add_f64_e32 v[28:29], v[54:55], v[94:95]
	v_add_f64_e32 v[36:37], v[96:97], v[36:37]
	;; [unrolled: 1-line block ×8, first 2 shown]
	ds_load_b128 v[20:23], v45 offset:112
	ds_load_b128 v[24:27], v45 offset:2160
	ds_load_b128 v[54:57], v44 offset:3584
	ds_load_b128 v[58:61], v44 offset:3840
	s_wait_dscnt 0x0
	v_mul_f64_e32 v[94:95], v[6:7], v[32:33]
	v_mul_f64_e32 v[96:97], v[4:5], v[32:33]
	;; [unrolled: 1-line block ×8, first 2 shown]
	v_fma_f64 v[88:89], v[62:63], v[70:71], -v[88:89]
	v_fmac_f64_e32 v[90:91], v[64:65], v[70:71]
	v_fma_f64 v[62:63], v[62:63], v[74:75], -v[92:93]
	v_fmac_f64_e32 v[116:117], v[64:65], v[74:75]
	;; [unrolled: 2-line block ×4, first 2 shown]
	s_barrier_signal -1
	s_barrier_wait -1
	v_mul_f64_e32 v[92:93], v[20:21], v[60:61]
	v_add_f64_e32 v[28:29], v[28:29], v[102:103]
	v_add_f64_e32 v[36:37], v[104:105], v[36:37]
	v_add_f64_e32 v[40:41], v[40:41], v[106:107]
	v_add_f64_e32 v[68:69], v[108:109], v[82:83]
	v_add_f64_e32 v[70:71], v[86:87], v[110:111]
	v_add_f64_e32 v[74:75], v[126:127], v[80:81]
	v_add_f64_e32 v[78:79], v[78:79], v[122:123]
	v_add_f64_e32 v[80:81], v[128:129], v[84:85]
	v_mul_f64_e32 v[82:83], v[22:23], v[56:57]
	v_mul_f64_e32 v[84:85], v[20:21], v[56:57]
	;; [unrolled: 1-line block ×7, first 2 shown]
	v_fma_f64 v[94:95], v[4:5], v[30:31], -v[94:95]
	v_fmac_f64_e32 v[96:97], v[6:7], v[30:31]
	v_fma_f64 v[4:5], v[4:5], v[46:47], -v[98:99]
	v_fmac_f64_e32 v[100:101], v[6:7], v[46:47]
	;; [unrolled: 2-line block ×4, first 2 shown]
	v_fmac_f64_e32 v[92:93], v[22:23], v[58:59]
	v_add_f64_e32 v[28:29], v[28:29], v[88:89]
	v_add_f64_e32 v[36:37], v[90:91], v[36:37]
	;; [unrolled: 1-line block ×8, first 2 shown]
	v_fma_f64 v[66:67], v[20:21], v[54:55], -v[82:83]
	v_fmac_f64_e32 v[84:85], v[22:23], v[54:55]
	v_fma_f64 v[20:21], v[20:21], v[58:59], -v[86:87]
	v_fma_f64 v[22:23], v[24:25], v[54:55], -v[102:103]
	v_fmac_f64_e32 v[56:57], v[26:27], v[54:55]
	v_fma_f64 v[54:55], v[24:25], v[58:59], -v[104:105]
	v_fmac_f64_e32 v[60:61], v[26:27], v[58:59]
	v_add_f64_e32 v[24:25], v[28:29], v[94:95]
	v_add_f64_e32 v[26:27], v[96:97], v[36:37]
	;; [unrolled: 1-line block ×16, first 2 shown]
	s_cbranch_vccz .LBB552_14
.LBB552_7:                              ;   Parent Loop BB552_4 Depth=1
                                        ; =>  This Inner Loop Header: Depth=2
	v_add_nc_u64_e32 v[4:5], s[26:27], v[8:9]
	v_mov_b64_e32 v[6:7], 0
	s_delay_alu instid0(VALU_DEP_2) | instskip(SKIP_2) | instid1(SALU_CYCLE_1)
	v_cmp_gt_i64_e32 vcc_lo, s[8:9], v[4:5]
	v_mov_b64_e32 v[4:5], 0
	s_and_b32 s33, s0, vcc_lo
	s_and_saveexec_b32 s31, s33
	s_cbranch_execz .LBB552_9
; %bb.8:                                ;   in Loop: Header=BB552_7 Depth=2
	global_load_b128 v[4:7], v[38:39], off offset:-8
	s_wait_loadcnt 0x0
	v_xor_b32_e32 v7, 0x80000000, v7
.LBB552_9:                              ;   in Loop: Header=BB552_7 Depth=2
	s_wait_xcnt 0x0
	s_or_b32 exec_lo, exec_lo, s31
	v_add_nc_u64_e32 v[40:41], s[26:27], v[0:1]
	ds_store_b128 v42, v[4:7]
	v_cmp_le_i64_e32 vcc_lo, s[8:9], v[40:41]
	s_or_b32 s31, vcc_lo, s30
	s_delay_alu instid0(SALU_CYCLE_1) | instskip(NEXT) | instid1(SALU_CYCLE_1)
	s_and_saveexec_b32 s33, s31
	s_xor_b32 s31, exec_lo, s33
; %bb.10:                               ;   in Loop: Header=BB552_7 Depth=2
	v_dual_mov_b32 v3, v2 :: v_dual_mov_b32 v4, v2
	v_mov_b32_e32 v5, v2
	ds_store_b128 v43, v[2:5]
; %bb.11:                               ;   in Loop: Header=BB552_7 Depth=2
	s_and_not1_saveexec_b32 s31, s31
	s_cbranch_execz .LBB552_6
; %bb.12:                               ;   in Loop: Header=BB552_7 Depth=2
	global_load_b128 v[4:7], v[34:35], off
	s_wait_loadcnt 0x0
	ds_store_2addr_b64 v43, v[4:5], v[6:7] offset1:1
	s_branch .LBB552_6
.LBB552_13:                             ;   in Loop: Header=BB552_4 Depth=1
	v_mov_b64_e32 v[32:33], 0
	v_mov_b64_e32 v[36:37], 0
	;; [unrolled: 1-line block ×8, first 2 shown]
.LBB552_14:                             ;   in Loop: Header=BB552_4 Depth=1
	s_wait_kmcnt 0x0
	s_mul_u64 s[26:27], s[16:17], s[24:25]
	s_and_not1_b32 vcc_lo, exec_lo, s29
	s_lshl_b64 s[26:27], s[26:27], 4
	s_mov_b32 s31, -1
	s_add_nc_u64 s[26:27], s[20:21], s[26:27]
	s_cbranch_vccz .LBB552_16
; %bb.15:                               ;   in Loop: Header=BB552_4 Depth=1
	s_and_not1_b32 vcc_lo, exec_lo, s31
	s_cbranch_vccnz .LBB552_3
	s_branch .LBB552_27
.LBB552_16:                             ;   in Loop: Header=BB552_4 Depth=1
	s_and_saveexec_b32 s31, s1
	s_cbranch_execz .LBB552_26
; %bb.17:                               ;   in Loop: Header=BB552_4 Depth=1
	v_lshl_add_u64 v[4:5], v[10:11], 4, s[26:27]
	s_delay_alu instid0(VALU_DEP_1)
	v_lshl_add_u64 v[6:7], v[12:13], 4, v[4:5]
	s_and_saveexec_b32 s33, s2
	s_cbranch_execnz .LBB552_20
; %bb.18:                               ;   in Loop: Header=BB552_4 Depth=1
	s_or_b32 exec_lo, exec_lo, s33
	s_and_saveexec_b32 s33, s3
	s_cbranch_execnz .LBB552_21
.LBB552_19:                             ;   in Loop: Header=BB552_4 Depth=1
	s_or_b32 exec_lo, exec_lo, s33
	s_delay_alu instid0(SALU_CYCLE_1)
	s_and_b32 exec_lo, exec_lo, s4
	s_cbranch_execnz .LBB552_22
	s_branch .LBB552_26
.LBB552_20:                             ;   in Loop: Header=BB552_4 Depth=1
	v_mul_f64_e32 v[34:35], s[12:13], v[36:37]
	v_mul_f64_e32 v[40:41], s[10:11], v[36:37]
	s_delay_alu instid0(VALU_DEP_2) | instskip(NEXT) | instid1(VALU_DEP_2)
	v_fma_f64 v[38:39], s[10:11], v[32:33], -v[34:35]
	v_fmac_f64_e32 v[40:41], s[12:13], v[32:33]
	global_store_b128 v[6:7], v[38:41], off
	s_wait_xcnt 0x0
	s_or_b32 exec_lo, exec_lo, s33
	s_and_saveexec_b32 s33, s3
	s_cbranch_execz .LBB552_19
.LBB552_21:                             ;   in Loop: Header=BB552_4 Depth=1
	v_mul_f64_e32 v[34:35], s[12:13], v[30:31]
	v_mul_f64_e32 v[40:41], s[10:11], v[30:31]
	s_delay_alu instid0(VALU_DEP_2) | instskip(NEXT) | instid1(VALU_DEP_2)
	v_fma_f64 v[38:39], s[10:11], v[28:29], -v[34:35]
	v_fmac_f64_e32 v[40:41], s[12:13], v[28:29]
	global_store_b128 v[6:7], v[38:41], off offset:256
	s_wait_xcnt 0x0
	s_or_b32 exec_lo, exec_lo, s33
	s_delay_alu instid0(SALU_CYCLE_1)
	s_and_b32 exec_lo, exec_lo, s4
	s_cbranch_execz .LBB552_26
.LBB552_22:                             ;   in Loop: Header=BB552_4 Depth=1
	v_lshl_add_u64 v[4:5], s[6:7], 4, v[4:5]
	s_delay_alu instid0(VALU_DEP_1)
	v_lshl_add_u64 v[4:5], v[12:13], 4, v[4:5]
	s_and_saveexec_b32 s33, s2
	s_cbranch_execz .LBB552_24
; %bb.23:                               ;   in Loop: Header=BB552_4 Depth=1
	v_mul_f64_e32 v[6:7], s[12:13], v[26:27]
	v_mul_f64_e32 v[40:41], s[10:11], v[26:27]
	s_delay_alu instid0(VALU_DEP_2) | instskip(NEXT) | instid1(VALU_DEP_2)
	v_fma_f64 v[38:39], s[10:11], v[24:25], -v[6:7]
	v_fmac_f64_e32 v[40:41], s[12:13], v[24:25]
	global_store_b128 v[4:5], v[38:41], off
.LBB552_24:                             ;   in Loop: Header=BB552_4 Depth=1
	s_wait_xcnt 0x0
	s_or_b32 exec_lo, exec_lo, s33
	s_delay_alu instid0(SALU_CYCLE_1)
	s_and_b32 exec_lo, exec_lo, s3
	s_cbranch_execz .LBB552_26
; %bb.25:                               ;   in Loop: Header=BB552_4 Depth=1
	v_mul_f64_e32 v[6:7], s[12:13], v[22:23]
	v_mul_f64_e32 v[40:41], s[10:11], v[22:23]
	s_delay_alu instid0(VALU_DEP_2) | instskip(NEXT) | instid1(VALU_DEP_2)
	v_fma_f64 v[38:39], s[10:11], v[20:21], -v[6:7]
	v_fmac_f64_e32 v[40:41], s[12:13], v[20:21]
	global_store_b128 v[4:5], v[38:41], off offset:256
.LBB552_26:                             ;   in Loop: Header=BB552_4 Depth=1
	s_wait_xcnt 0x0
	s_or_b32 exec_lo, exec_lo, s31
	s_cbranch_execnz .LBB552_3
.LBB552_27:                             ;   in Loop: Header=BB552_4 Depth=1
	s_and_saveexec_b32 s31, s1
	s_cbranch_execz .LBB552_2
; %bb.28:                               ;   in Loop: Header=BB552_4 Depth=1
	s_mul_u64 s[34:35], s[50:51], s[24:25]
	v_lshlrev_b64_e32 v[4:5], 4, v[12:13]
	v_lshl_add_u64 v[6:7], s[34:35], 4, v[14:15]
	v_lshl_add_u64 v[34:35], v[10:11], 4, s[26:27]
	s_delay_alu instid0(VALU_DEP_2) | instskip(NEXT) | instid1(VALU_DEP_2)
	v_add_nc_u64_e32 v[40:41], v[6:7], v[4:5]
	v_add_nc_u64_e32 v[38:39], v[34:35], v[4:5]
	s_and_saveexec_b32 s26, s2
	s_cbranch_execnz .LBB552_31
; %bb.29:                               ;   in Loop: Header=BB552_4 Depth=1
	s_or_b32 exec_lo, exec_lo, s26
	s_and_saveexec_b32 s26, s3
	s_cbranch_execnz .LBB552_32
.LBB552_30:                             ;   in Loop: Header=BB552_4 Depth=1
	s_or_b32 exec_lo, exec_lo, s26
	s_delay_alu instid0(SALU_CYCLE_1)
	s_and_b32 exec_lo, exec_lo, s4
	s_cbranch_execz .LBB552_2
	s_branch .LBB552_33
.LBB552_31:                             ;   in Loop: Header=BB552_4 Depth=1
	global_load_b128 v[46:49], v[40:41], off
	v_mul_f64_e32 v[50:51], s[12:13], v[36:37]
	v_mul_f64_e32 v[36:37], s[10:11], v[36:37]
	s_delay_alu instid0(VALU_DEP_2) | instskip(NEXT) | instid1(VALU_DEP_2)
	v_fma_f64 v[50:51], s[10:11], v[32:33], -v[50:51]
	v_fmac_f64_e32 v[36:37], s[12:13], v[32:33]
	s_wait_loadcnt 0x0
	v_mul_f64_e32 v[52:53], s[44:45], v[48:49]
	v_mul_f64_e32 v[48:49], s[42:43], v[48:49]
	s_delay_alu instid0(VALU_DEP_2) | instskip(NEXT) | instid1(VALU_DEP_2)
	v_fma_f64 v[32:33], s[42:43], v[46:47], -v[52:53]
	v_fmac_f64_e32 v[48:49], s[44:45], v[46:47]
	s_delay_alu instid0(VALU_DEP_2) | instskip(NEXT) | instid1(VALU_DEP_2)
	v_add_f64_e32 v[46:47], v[50:51], v[32:33]
	v_add_f64_e32 v[48:49], v[36:37], v[48:49]
	global_store_b128 v[38:39], v[46:49], off
	s_wait_xcnt 0x0
	s_or_b32 exec_lo, exec_lo, s26
	s_and_saveexec_b32 s26, s3
	s_cbranch_execz .LBB552_30
.LBB552_32:                             ;   in Loop: Header=BB552_4 Depth=1
	global_load_b128 v[46:49], v[40:41], off offset:256
	v_mul_f64_e32 v[32:33], s[12:13], v[30:31]
	v_mul_f64_e32 v[30:31], s[10:11], v[30:31]
	s_delay_alu instid0(VALU_DEP_2) | instskip(NEXT) | instid1(VALU_DEP_2)
	v_fma_f64 v[32:33], s[10:11], v[28:29], -v[32:33]
	v_fmac_f64_e32 v[30:31], s[12:13], v[28:29]
	s_wait_loadcnt 0x0
	v_mul_f64_e32 v[36:37], s[44:45], v[48:49]
	s_wait_xcnt 0x0
	v_mul_f64_e32 v[40:41], s[42:43], v[48:49]
	s_delay_alu instid0(VALU_DEP_2) | instskip(NEXT) | instid1(VALU_DEP_2)
	v_fma_f64 v[28:29], s[42:43], v[46:47], -v[36:37]
	v_fmac_f64_e32 v[40:41], s[44:45], v[46:47]
	s_delay_alu instid0(VALU_DEP_2) | instskip(NEXT) | instid1(VALU_DEP_2)
	v_add_f64_e32 v[28:29], v[32:33], v[28:29]
	v_add_f64_e32 v[30:31], v[30:31], v[40:41]
	global_store_b128 v[38:39], v[28:31], off offset:256
	s_wait_xcnt 0x0
	s_or_b32 exec_lo, exec_lo, s26
	s_delay_alu instid0(SALU_CYCLE_1)
	s_and_b32 exec_lo, exec_lo, s4
	s_cbranch_execz .LBB552_2
.LBB552_33:                             ;   in Loop: Header=BB552_4 Depth=1
	v_lshl_add_u64 v[6:7], s[14:15], 4, v[6:7]
	v_lshl_add_u64 v[28:29], s[6:7], 4, v[34:35]
	s_delay_alu instid0(VALU_DEP_2) | instskip(NEXT) | instid1(VALU_DEP_2)
	v_add_nc_u64_e32 v[6:7], v[6:7], v[4:5]
	v_add_nc_u64_e32 v[4:5], v[28:29], v[4:5]
	s_and_saveexec_b32 s26, s2
	s_cbranch_execz .LBB552_35
; %bb.34:                               ;   in Loop: Header=BB552_4 Depth=1
	global_load_b128 v[28:31], v[6:7], off
	v_mul_f64_e32 v[32:33], s[12:13], v[26:27]
	v_mul_f64_e32 v[26:27], s[10:11], v[26:27]
	s_delay_alu instid0(VALU_DEP_2) | instskip(NEXT) | instid1(VALU_DEP_2)
	v_fma_f64 v[32:33], s[10:11], v[24:25], -v[32:33]
	v_fmac_f64_e32 v[26:27], s[12:13], v[24:25]
	s_wait_loadcnt 0x0
	v_mul_f64_e32 v[34:35], s[44:45], v[30:31]
	v_mul_f64_e32 v[30:31], s[42:43], v[30:31]
	s_delay_alu instid0(VALU_DEP_2) | instskip(NEXT) | instid1(VALU_DEP_2)
	v_fma_f64 v[24:25], s[42:43], v[28:29], -v[34:35]
	v_fmac_f64_e32 v[30:31], s[44:45], v[28:29]
	s_delay_alu instid0(VALU_DEP_2) | instskip(NEXT) | instid1(VALU_DEP_2)
	v_add_f64_e32 v[24:25], v[32:33], v[24:25]
	v_add_f64_e32 v[26:27], v[26:27], v[30:31]
	global_store_b128 v[4:5], v[24:27], off
.LBB552_35:                             ;   in Loop: Header=BB552_4 Depth=1
	s_wait_xcnt 0x0
	s_or_b32 exec_lo, exec_lo, s26
	s_delay_alu instid0(SALU_CYCLE_1)
	s_and_b32 exec_lo, exec_lo, s3
	s_cbranch_execz .LBB552_2
; %bb.36:                               ;   in Loop: Header=BB552_4 Depth=1
	global_load_b128 v[24:27], v[6:7], off offset:256
	s_wait_xcnt 0x0
	v_mul_f64_e32 v[6:7], s[12:13], v[22:23]
	v_mul_f64_e32 v[22:23], s[10:11], v[22:23]
	s_delay_alu instid0(VALU_DEP_2) | instskip(NEXT) | instid1(VALU_DEP_2)
	v_fma_f64 v[6:7], s[10:11], v[20:21], -v[6:7]
	v_fmac_f64_e32 v[22:23], s[12:13], v[20:21]
	s_wait_loadcnt 0x0
	v_mul_f64_e32 v[28:29], s[44:45], v[26:27]
	v_mul_f64_e32 v[26:27], s[42:43], v[26:27]
	s_delay_alu instid0(VALU_DEP_2) | instskip(NEXT) | instid1(VALU_DEP_2)
	v_fma_f64 v[20:21], s[42:43], v[24:25], -v[28:29]
	v_fmac_f64_e32 v[26:27], s[44:45], v[24:25]
	s_delay_alu instid0(VALU_DEP_2) | instskip(NEXT) | instid1(VALU_DEP_2)
	v_add_f64_e32 v[20:21], v[6:7], v[20:21]
	v_add_f64_e32 v[22:23], v[22:23], v[26:27]
	global_store_b128 v[4:5], v[20:23], off offset:256
	s_branch .LBB552_2
.LBB552_37:
	s_sendmsg sendmsg(MSG_DEALLOC_VGPRS)
	s_endpgm
	.section	.rodata,"a",@progbits
	.p2align	6, 0x0
	.amdhsa_kernel _ZN12_GLOBAL__N_135rocblas_gemm_batched_general_kernelI19rocblas_complex_numIdELi16ELi16ELi32ELi32ELi8ELi32ELi8ELi8ELi32ELc67ELc78EKS2_S3_S2_EEvlllT_PT11_llS6_llS4_PT12_llPT13_lli
		.amdhsa_group_segment_fixed_size 8192
		.amdhsa_private_segment_fixed_size 0
		.amdhsa_kernarg_size 156
		.amdhsa_user_sgpr_count 2
		.amdhsa_user_sgpr_dispatch_ptr 0
		.amdhsa_user_sgpr_queue_ptr 0
		.amdhsa_user_sgpr_kernarg_segment_ptr 1
		.amdhsa_user_sgpr_dispatch_id 0
		.amdhsa_user_sgpr_kernarg_preload_length 0
		.amdhsa_user_sgpr_kernarg_preload_offset 0
		.amdhsa_user_sgpr_private_segment_size 0
		.amdhsa_wavefront_size32 1
		.amdhsa_uses_dynamic_stack 0
		.amdhsa_enable_private_segment 0
		.amdhsa_system_sgpr_workgroup_id_x 1
		.amdhsa_system_sgpr_workgroup_id_y 1
		.amdhsa_system_sgpr_workgroup_id_z 1
		.amdhsa_system_sgpr_workgroup_info 0
		.amdhsa_system_vgpr_workitem_id 1
		.amdhsa_next_free_vgpr 132
		.amdhsa_next_free_sgpr 52
		.amdhsa_named_barrier_count 0
		.amdhsa_reserve_vcc 1
		.amdhsa_float_round_mode_32 0
		.amdhsa_float_round_mode_16_64 0
		.amdhsa_float_denorm_mode_32 3
		.amdhsa_float_denorm_mode_16_64 3
		.amdhsa_fp16_overflow 0
		.amdhsa_memory_ordered 1
		.amdhsa_forward_progress 1
		.amdhsa_inst_pref_size 24
		.amdhsa_round_robin_scheduling 0
		.amdhsa_exception_fp_ieee_invalid_op 0
		.amdhsa_exception_fp_denorm_src 0
		.amdhsa_exception_fp_ieee_div_zero 0
		.amdhsa_exception_fp_ieee_overflow 0
		.amdhsa_exception_fp_ieee_underflow 0
		.amdhsa_exception_fp_ieee_inexact 0
		.amdhsa_exception_int_div_zero 0
	.end_amdhsa_kernel
	.section	.text._ZN12_GLOBAL__N_135rocblas_gemm_batched_general_kernelI19rocblas_complex_numIdELi16ELi16ELi32ELi32ELi8ELi32ELi8ELi8ELi32ELc67ELc78EKS2_S3_S2_EEvlllT_PT11_llS6_llS4_PT12_llPT13_lli,"axG",@progbits,_ZN12_GLOBAL__N_135rocblas_gemm_batched_general_kernelI19rocblas_complex_numIdELi16ELi16ELi32ELi32ELi8ELi32ELi8ELi8ELi32ELc67ELc78EKS2_S3_S2_EEvlllT_PT11_llS6_llS4_PT12_llPT13_lli,comdat
.Lfunc_end552:
	.size	_ZN12_GLOBAL__N_135rocblas_gemm_batched_general_kernelI19rocblas_complex_numIdELi16ELi16ELi32ELi32ELi8ELi32ELi8ELi8ELi32ELc67ELc78EKS2_S3_S2_EEvlllT_PT11_llS6_llS4_PT12_llPT13_lli, .Lfunc_end552-_ZN12_GLOBAL__N_135rocblas_gemm_batched_general_kernelI19rocblas_complex_numIdELi16ELi16ELi32ELi32ELi8ELi32ELi8ELi8ELi32ELc67ELc78EKS2_S3_S2_EEvlllT_PT11_llS6_llS4_PT12_llPT13_lli
                                        ; -- End function
	.set _ZN12_GLOBAL__N_135rocblas_gemm_batched_general_kernelI19rocblas_complex_numIdELi16ELi16ELi32ELi32ELi8ELi32ELi8ELi8ELi32ELc67ELc78EKS2_S3_S2_EEvlllT_PT11_llS6_llS4_PT12_llPT13_lli.num_vgpr, 132
	.set _ZN12_GLOBAL__N_135rocblas_gemm_batched_general_kernelI19rocblas_complex_numIdELi16ELi16ELi32ELi32ELi8ELi32ELi8ELi8ELi32ELc67ELc78EKS2_S3_S2_EEvlllT_PT11_llS6_llS4_PT12_llPT13_lli.num_agpr, 0
	.set _ZN12_GLOBAL__N_135rocblas_gemm_batched_general_kernelI19rocblas_complex_numIdELi16ELi16ELi32ELi32ELi8ELi32ELi8ELi8ELi32ELc67ELc78EKS2_S3_S2_EEvlllT_PT11_llS6_llS4_PT12_llPT13_lli.numbered_sgpr, 52
	.set _ZN12_GLOBAL__N_135rocblas_gemm_batched_general_kernelI19rocblas_complex_numIdELi16ELi16ELi32ELi32ELi8ELi32ELi8ELi8ELi32ELc67ELc78EKS2_S3_S2_EEvlllT_PT11_llS6_llS4_PT12_llPT13_lli.num_named_barrier, 0
	.set _ZN12_GLOBAL__N_135rocblas_gemm_batched_general_kernelI19rocblas_complex_numIdELi16ELi16ELi32ELi32ELi8ELi32ELi8ELi8ELi32ELc67ELc78EKS2_S3_S2_EEvlllT_PT11_llS6_llS4_PT12_llPT13_lli.private_seg_size, 0
	.set _ZN12_GLOBAL__N_135rocblas_gemm_batched_general_kernelI19rocblas_complex_numIdELi16ELi16ELi32ELi32ELi8ELi32ELi8ELi8ELi32ELc67ELc78EKS2_S3_S2_EEvlllT_PT11_llS6_llS4_PT12_llPT13_lli.uses_vcc, 1
	.set _ZN12_GLOBAL__N_135rocblas_gemm_batched_general_kernelI19rocblas_complex_numIdELi16ELi16ELi32ELi32ELi8ELi32ELi8ELi8ELi32ELc67ELc78EKS2_S3_S2_EEvlllT_PT11_llS6_llS4_PT12_llPT13_lli.uses_flat_scratch, 0
	.set _ZN12_GLOBAL__N_135rocblas_gemm_batched_general_kernelI19rocblas_complex_numIdELi16ELi16ELi32ELi32ELi8ELi32ELi8ELi8ELi32ELc67ELc78EKS2_S3_S2_EEvlllT_PT11_llS6_llS4_PT12_llPT13_lli.has_dyn_sized_stack, 0
	.set _ZN12_GLOBAL__N_135rocblas_gemm_batched_general_kernelI19rocblas_complex_numIdELi16ELi16ELi32ELi32ELi8ELi32ELi8ELi8ELi32ELc67ELc78EKS2_S3_S2_EEvlllT_PT11_llS6_llS4_PT12_llPT13_lli.has_recursion, 0
	.set _ZN12_GLOBAL__N_135rocblas_gemm_batched_general_kernelI19rocblas_complex_numIdELi16ELi16ELi32ELi32ELi8ELi32ELi8ELi8ELi32ELc67ELc78EKS2_S3_S2_EEvlllT_PT11_llS6_llS4_PT12_llPT13_lli.has_indirect_call, 0
	.section	.AMDGPU.csdata,"",@progbits
; Kernel info:
; codeLenInByte = 3008
; TotalNumSgprs: 54
; NumVgprs: 132
; ScratchSize: 0
; MemoryBound: 1
; FloatMode: 240
; IeeeMode: 1
; LDSByteSize: 8192 bytes/workgroup (compile time only)
; SGPRBlocks: 0
; VGPRBlocks: 8
; NumSGPRsForWavesPerEU: 54
; NumVGPRsForWavesPerEU: 132
; NamedBarCnt: 0
; Occupancy: 7
; WaveLimiterHint : 0
; COMPUTE_PGM_RSRC2:SCRATCH_EN: 0
; COMPUTE_PGM_RSRC2:USER_SGPR: 2
; COMPUTE_PGM_RSRC2:TRAP_HANDLER: 0
; COMPUTE_PGM_RSRC2:TGID_X_EN: 1
; COMPUTE_PGM_RSRC2:TGID_Y_EN: 1
; COMPUTE_PGM_RSRC2:TGID_Z_EN: 1
; COMPUTE_PGM_RSRC2:TIDIG_COMP_CNT: 1
	.section	.text._ZN12_GLOBAL__N_135rocblas_gemm_batched_general_kernelI19rocblas_complex_numIdELi16ELi16ELi32ELi32ELi8ELi32ELi8ELi8ELi32ELc67ELc84EKS2_S3_S2_EEvlllT_PT11_llS6_llS4_PT12_llPT13_lli,"axG",@progbits,_ZN12_GLOBAL__N_135rocblas_gemm_batched_general_kernelI19rocblas_complex_numIdELi16ELi16ELi32ELi32ELi8ELi32ELi8ELi8ELi32ELc67ELc84EKS2_S3_S2_EEvlllT_PT11_llS6_llS4_PT12_llPT13_lli,comdat
	.globl	_ZN12_GLOBAL__N_135rocblas_gemm_batched_general_kernelI19rocblas_complex_numIdELi16ELi16ELi32ELi32ELi8ELi32ELi8ELi8ELi32ELc67ELc84EKS2_S3_S2_EEvlllT_PT11_llS6_llS4_PT12_llPT13_lli ; -- Begin function _ZN12_GLOBAL__N_135rocblas_gemm_batched_general_kernelI19rocblas_complex_numIdELi16ELi16ELi32ELi32ELi8ELi32ELi8ELi8ELi32ELc67ELc84EKS2_S3_S2_EEvlllT_PT11_llS6_llS4_PT12_llPT13_lli
	.p2align	8
	.type	_ZN12_GLOBAL__N_135rocblas_gemm_batched_general_kernelI19rocblas_complex_numIdELi16ELi16ELi32ELi32ELi8ELi32ELi8ELi8ELi32ELc67ELc84EKS2_S3_S2_EEvlllT_PT11_llS6_llS4_PT12_llPT13_lli,@function
_ZN12_GLOBAL__N_135rocblas_gemm_batched_general_kernelI19rocblas_complex_numIdELi16ELi16ELi32ELi32ELi8ELi32ELi8ELi8ELi32ELc67ELc84EKS2_S3_S2_EEvlllT_PT11_llS6_llS4_PT12_llPT13_lli: ; @_ZN12_GLOBAL__N_135rocblas_gemm_batched_general_kernelI19rocblas_complex_numIdELi16ELi16ELi32ELi32ELi8ELi32ELi8ELi8ELi32ELc67ELc84EKS2_S3_S2_EEvlllT_PT11_llS6_llS4_PT12_llPT13_lli
; %bb.0:
	s_load_b32 s30, s[0:1], 0x98
	s_bfe_u32 s2, ttmp6, 0x40014
	s_lshr_b32 s3, ttmp7, 16
	s_add_co_i32 s2, s2, 1
	s_bfe_u32 s5, ttmp6, 0x40008
	s_mul_i32 s4, s3, s2
	s_getreg_b32 s2, hwreg(HW_REG_IB_STS2, 6, 4)
	s_add_co_i32 s5, s5, s4
	s_cmp_eq_u32 s2, 0
	s_mov_b32 s25, 0
	s_cselect_b32 s24, s3, s5
	s_wait_kmcnt 0x0
	s_cmp_ge_i32 s24, s30
	s_cbranch_scc1 .LBB553_37
; %bb.1:
	v_bfe_u32 v4, v0, 10, 10
	v_and_b32_e32 v6, 0x3ff, v0
	s_bfe_u32 s3, ttmp6, 0x4000c
	s_bfe_u32 s27, ttmp6, 0x40010
	s_clause 0x2
	s_load_b512 s[4:19], s[0:1], 0x0
	s_load_b512 s[36:51], s[0:1], 0x40
	s_load_b128 s[20:23], s[0:1], 0x80
	s_add_co_i32 s3, s3, 1
	s_and_b32 s28, ttmp7, 0xffff
	s_add_co_i32 s27, s27, 1
	s_and_b32 s26, ttmp6, 15
	s_mul_i32 s3, ttmp9, s3
	s_mul_i32 s27, s28, s27
	s_bfe_u32 s29, ttmp6, 0x40004
	v_lshl_add_u32 v3, v4, 4, v6
	s_add_co_i32 s26, s26, s3
	s_add_co_i32 s29, s29, s27
	s_cmp_eq_u32 s2, 0
	s_delay_alu instid0(VALU_DEP_1) | instskip(SKIP_3) | instid1(VALU_DEP_1)
	v_dual_mov_b32 v2, 0 :: v_dual_bitop2_b32 v7, 31, v3 bitop3:0x40
	s_cselect_b32 s2, ttmp9, s26
	s_cselect_b32 s28, s28, s29
	s_ashr_i32 s3, s2, 31
	v_dual_mov_b32 v1, v2 :: v_dual_bitop2_b32 v0, 7, v0 bitop3:0x40
	s_lshl_b64 s[2:3], s[2:3], 5
	s_delay_alu instid0(SALU_CYCLE_1)
	v_dual_mov_b32 v5, v2 :: v_dual_bitop2_b32 v10, s2, v7 bitop3:0x54
	v_dual_mov_b32 v11, s3 :: v_dual_lshrrev_b32 v16, 3, v3
	s_wait_kmcnt 0x0
	v_mul_u64_e32 v[14:15], s[38:39], v[0:1]
	s_lshl_b32 s26, s28, 5
	s_mov_b32 s27, s25
	v_mul_u64_e32 v[18:19], s[16:17], v[10:11]
	v_dual_mov_b32 v17, v2 :: v_dual_lshrrev_b32 v8, 5, v3
	v_add_nc_u64_e32 v[20:21], s[26:27], v[4:5]
	v_cmp_eq_f64_e64 s29, s[42:43], 0
	v_cmp_eq_f64_e64 s31, s[44:45], 0
	s_delay_alu instid0(VALU_DEP_4) | instskip(SKIP_4) | instid1(VALU_DEP_4)
	v_add_nc_u64_e32 v[12:13], s[26:27], v[16:17]
	v_dual_lshlrev_b32 v3, 4, v0 :: v_dual_lshlrev_b32 v5, 4, v7
	v_dual_mov_b32 v7, v2 :: v_dual_mov_b32 v9, v2
	v_mul_u64_e32 v[22:23], s[48:49], v[20:21]
	s_load_b64 s[16:17], s[0:1], 0x90
	v_cmp_gt_i64_e32 vcc_lo, s[6:7], v[12:13]
	v_mul_u64_e32 v[12:13], s[22:23], v[20:21]
	s_wait_xcnt 0x0
	v_cmp_gt_i64_e64 s0, s[4:5], v[10:11]
	v_add_nc_u64_e32 v[10:11], s[2:3], v[6:7]
	v_dual_lshlrev_b32 v44, 4, v6 :: v_dual_lshlrev_b32 v6, 4, v8
	v_lshl_or_b32 v42, v8, 9, v5
	v_lshl_add_u32 v45, v4, 7, 0x1000
	s_lshl_b32 s2, s28, 9
	s_mov_b32 s3, s25
	s_delay_alu instid0(VALU_DEP_4)
	v_add_nc_u64_e32 v[4:5], 16, v[10:11]
	v_lshl_or_b32 v3, v16, 7, v3
	v_lshlrev_b32_e32 v16, 4, v16
	v_add_nc_u64_e32 v[24:25], 16, v[20:21]
	v_cmp_gt_i64_e64 s1, s[6:7], v[20:21]
	s_lshl_b64 s[26:27], s[38:39], 7
	v_lshl_add_u64 v[14:15], v[14:15], 4, s[2:3]
	v_cmp_gt_i64_e64 s3, s[4:5], v[4:5]
	v_cmp_gt_i64_e64 s2, s[4:5], v[10:11]
	v_lshl_add_u64 v[6:7], v[18:19], 4, v[6:7]
	v_cmp_gt_i64_e64 s4, s[6:7], v[24:25]
	v_add_nc_u64_e32 v[16:17], v[14:15], v[16:17]
	v_cmp_gt_i64_e64 s5, s[8:9], 0
	v_add_nc_u32_e32 v43, 0x1000, v3
	v_add_nc_u64_e32 v[4:5], s[14:15], v[6:7]
	s_and_b32 s31, s29, s31
	s_lshl_b64 s[6:7], s[22:23], 4
	s_lshl_b64 s[14:15], s[48:49], 4
	v_add_nc_u64_e32 v[16:17], s[36:37], v[16:17]
	s_lshl_b64 s[22:23], s[40:41], 4
	v_lshl_add_u64 v[14:15], v[22:23], 4, s[46:47]
	v_add_nc_u64_e32 v[18:19], 8, v[4:5]
	s_lshl_b64 s[18:19], s[18:19], 4
	s_xor_b32 s33, vcc_lo, -1
	s_branch .LBB553_4
.LBB553_2:                              ;   in Loop: Header=BB553_4 Depth=1
	s_wait_xcnt 0x0
	s_or_b32 exec_lo, exec_lo, s34
.LBB553_3:                              ;   in Loop: Header=BB553_4 Depth=1
	s_add_co_i32 s24, s24, 0x10000
	s_delay_alu instid0(SALU_CYCLE_1)
	s_cmp_lt_i32 s24, s30
	s_cbranch_scc0 .LBB553_37
.LBB553_4:                              ; =>This Loop Header: Depth=1
                                        ;     Child Loop BB553_7 Depth 2
	s_and_not1_b32 vcc_lo, exec_lo, s5
	s_cbranch_vccnz .LBB553_13
; %bb.5:                                ;   in Loop: Header=BB553_4 Depth=1
	v_mad_nc_u64_u32 v[34:35], s22, s24, v[16:17]
	v_mad_nc_u64_u32 v[38:39], s18, s24, v[18:19]
	v_mov_b64_e32 v[22:23], 0
	v_mov_b64_e32 v[20:21], 0
	;; [unrolled: 1-line block ×8, first 2 shown]
	s_mov_b64 s[28:29], 0
	v_mad_u32 v35, s23, s24, v35
	v_mad_u32 v39, s19, s24, v39
	s_branch .LBB553_7
.LBB553_6:                              ;   in Loop: Header=BB553_7 Depth=2
	s_wait_xcnt 0x0
	s_or_b32 exec_lo, exec_lo, s34
	s_wait_dscnt 0x0
	s_barrier_signal -1
	s_barrier_wait -1
	ds_load_b128 v[4:7], v45
	ds_load_b128 v[46:49], v44
	ds_load_b128 v[50:53], v44 offset:256
	ds_load_b128 v[54:57], v45 offset:2048
	;; [unrolled: 1-line block ×10, first 2 shown]
	s_add_nc_u64 s[28:29], s[28:29], 8
	v_add_nc_u64_e32 v[34:35], s[26:27], v[34:35]
	v_cmp_lt_i64_e64 s34, s[28:29], s[8:9]
	v_add_nc_u64_e32 v[38:39], 0x80, v[38:39]
	s_and_b32 vcc_lo, exec_lo, s34
	s_wait_dscnt 0xa
	v_mul_f64_e32 v[40:41], v[6:7], v[48:49]
	v_mul_f64_e32 v[90:91], v[4:5], v[48:49]
	s_wait_dscnt 0x9
	v_mul_f64_e32 v[92:93], v[6:7], v[52:53]
	v_mul_f64_e32 v[94:95], v[4:5], v[52:53]
	s_wait_dscnt 0x8
	v_mul_f64_e32 v[96:97], v[56:57], v[48:49]
	v_mul_f64_e32 v[98:99], v[54:55], v[48:49]
	v_mul_f64_e32 v[48:49], v[56:57], v[52:53]
	v_mul_f64_e32 v[100:101], v[54:55], v[52:53]
	s_wait_dscnt 0x6
	v_mul_f64_e32 v[102:103], v[60:61], v[64:65]
	v_mul_f64_e32 v[104:105], v[58:59], v[64:65]
	s_wait_dscnt 0x5
	v_mul_f64_e32 v[106:107], v[60:61], v[68:69]
	v_mul_f64_e32 v[108:109], v[58:59], v[68:69]
	s_wait_dscnt 0x4
	v_mul_f64_e32 v[110:111], v[72:73], v[64:65]
	v_mul_f64_e32 v[64:65], v[70:71], v[64:65]
	v_mul_f64_e32 v[112:113], v[72:73], v[68:69]
	v_mul_f64_e32 v[68:69], v[70:71], v[68:69]
	;; [unrolled: 11-line block ×3, first 2 shown]
	v_fma_f64 v[40:41], v[4:5], v[46:47], -v[40:41]
	v_fmac_f64_e32 v[90:91], v[6:7], v[46:47]
	v_fma_f64 v[92:93], v[4:5], v[50:51], -v[92:93]
	v_fmac_f64_e32 v[94:95], v[6:7], v[50:51]
	;; [unrolled: 2-line block ×8, first 2 shown]
	ds_load_b128 v[4:7], v45 offset:48
	ds_load_b128 v[46:49], v45 offset:2096
	;; [unrolled: 1-line block ×4, first 2 shown]
	v_fma_f64 v[116:117], v[74:75], v[78:79], -v[116:117]
	v_fmac_f64_e32 v[118:119], v[76:77], v[78:79]
	v_fma_f64 v[120:121], v[74:75], v[82:83], -v[120:121]
	v_fmac_f64_e32 v[122:123], v[76:77], v[82:83]
	;; [unrolled: 2-line block ×4, first 2 shown]
	v_add_f64_e32 v[32:33], v[32:33], v[40:41]
	v_add_f64_e32 v[36:37], v[90:91], v[36:37]
	;; [unrolled: 1-line block ×8, first 2 shown]
	s_wait_dscnt 0x1
	v_mul_f64_e32 v[94:95], v[6:7], v[52:53]
	v_mul_f64_e32 v[96:97], v[4:5], v[52:53]
	s_wait_dscnt 0x0
	v_mul_f64_e32 v[98:99], v[6:7], v[56:57]
	v_mul_f64_e32 v[100:101], v[4:5], v[56:57]
	v_mul_f64_e32 v[112:113], v[48:49], v[52:53]
	v_mul_f64_e32 v[114:115], v[46:47], v[52:53]
	v_mul_f64_e32 v[52:53], v[48:49], v[56:57]
	v_mul_f64_e32 v[56:57], v[46:47], v[56:57]
	ds_load_b128 v[20:23], v45 offset:64
	ds_load_b128 v[24:27], v44 offset:2048
	;; [unrolled: 1-line block ×4, first 2 shown]
	v_add_f64_e32 v[32:33], v[32:33], v[102:103]
	v_add_f64_e32 v[36:37], v[104:105], v[36:37]
	;; [unrolled: 1-line block ×8, first 2 shown]
	s_wait_dscnt 0x2
	v_mul_f64_e32 v[102:103], v[22:23], v[26:27]
	v_mul_f64_e32 v[104:105], v[20:21], v[26:27]
	s_wait_dscnt 0x1
	v_mul_f64_e32 v[106:107], v[22:23], v[30:31]
	v_mul_f64_e32 v[108:109], v[20:21], v[30:31]
	;; [unrolled: 3-line block ×3, first 2 shown]
	v_mul_f64_e32 v[26:27], v[60:61], v[30:31]
	v_mul_f64_e32 v[128:129], v[58:59], v[30:31]
	v_fma_f64 v[94:95], v[4:5], v[50:51], -v[94:95]
	v_fmac_f64_e32 v[96:97], v[6:7], v[50:51]
	v_fma_f64 v[98:99], v[4:5], v[54:55], -v[98:99]
	v_fmac_f64_e32 v[100:101], v[6:7], v[54:55]
	;; [unrolled: 2-line block ×4, first 2 shown]
	ds_load_b128 v[62:65], v45 offset:80
	ds_load_b128 v[66:69], v45 offset:2128
	;; [unrolled: 1-line block ×4, first 2 shown]
	v_add_f64_e32 v[54:55], v[32:33], v[116:117]
	v_add_f64_e32 v[36:37], v[118:119], v[36:37]
	v_add_f64_e32 v[40:41], v[40:41], v[120:121]
	v_add_f64_e32 v[82:83], v[122:123], v[82:83]
	v_add_f64_e32 v[86:87], v[86:87], v[124:125]
	v_add_f64_e32 v[80:81], v[80:81], v[88:89]
	v_add_f64_e32 v[78:79], v[90:91], v[78:79]
	v_add_f64_e32 v[84:85], v[84:85], v[92:93]
	v_fma_f64 v[102:103], v[20:21], v[24:25], -v[102:103]
	v_fmac_f64_e32 v[104:105], v[22:23], v[24:25]
	v_fma_f64 v[106:107], v[20:21], v[28:29], -v[106:107]
	s_wait_dscnt 0x1
	v_mul_f64_e32 v[88:89], v[64:65], v[72:73]
	v_mul_f64_e32 v[90:91], v[62:63], v[72:73]
	s_wait_dscnt 0x0
	v_mul_f64_e32 v[92:93], v[64:65], v[76:77]
	v_mul_f64_e32 v[116:117], v[62:63], v[76:77]
	;; [unrolled: 1-line block ×6, first 2 shown]
	v_fmac_f64_e32 v[108:109], v[22:23], v[28:29]
	v_fma_f64 v[110:111], v[58:59], v[24:25], -v[110:111]
	v_fmac_f64_e32 v[126:127], v[60:61], v[24:25]
	v_fma_f64 v[122:123], v[58:59], v[28:29], -v[26:27]
	v_fmac_f64_e32 v[128:129], v[60:61], v[28:29]
	ds_load_b128 v[4:7], v45 offset:96
	ds_load_b128 v[30:33], v44 offset:3072
	;; [unrolled: 1-line block ×4, first 2 shown]
	v_add_f64_e32 v[28:29], v[54:55], v[94:95]
	v_add_f64_e32 v[36:37], v[96:97], v[36:37]
	;; [unrolled: 1-line block ×8, first 2 shown]
	ds_load_b128 v[20:23], v45 offset:112
	ds_load_b128 v[24:27], v45 offset:2160
	;; [unrolled: 1-line block ×4, first 2 shown]
	s_wait_dscnt 0x0
	v_mul_f64_e32 v[94:95], v[6:7], v[32:33]
	v_mul_f64_e32 v[96:97], v[4:5], v[32:33]
	;; [unrolled: 1-line block ×8, first 2 shown]
	v_fma_f64 v[88:89], v[62:63], v[70:71], -v[88:89]
	v_fmac_f64_e32 v[90:91], v[64:65], v[70:71]
	v_fma_f64 v[62:63], v[62:63], v[74:75], -v[92:93]
	v_fmac_f64_e32 v[116:117], v[64:65], v[74:75]
	;; [unrolled: 2-line block ×4, first 2 shown]
	s_barrier_signal -1
	s_barrier_wait -1
	v_mul_f64_e32 v[92:93], v[20:21], v[60:61]
	v_add_f64_e32 v[28:29], v[28:29], v[102:103]
	v_add_f64_e32 v[36:37], v[104:105], v[36:37]
	;; [unrolled: 1-line block ×8, first 2 shown]
	v_mul_f64_e32 v[82:83], v[22:23], v[56:57]
	v_mul_f64_e32 v[84:85], v[20:21], v[56:57]
	;; [unrolled: 1-line block ×7, first 2 shown]
	v_fma_f64 v[94:95], v[4:5], v[30:31], -v[94:95]
	v_fmac_f64_e32 v[96:97], v[6:7], v[30:31]
	v_fma_f64 v[4:5], v[4:5], v[46:47], -v[98:99]
	v_fmac_f64_e32 v[100:101], v[6:7], v[46:47]
	;; [unrolled: 2-line block ×4, first 2 shown]
	v_fmac_f64_e32 v[92:93], v[22:23], v[58:59]
	v_add_f64_e32 v[28:29], v[28:29], v[88:89]
	v_add_f64_e32 v[36:37], v[90:91], v[36:37]
	v_add_f64_e32 v[40:41], v[40:41], v[62:63]
	v_add_f64_e32 v[46:47], v[116:117], v[68:69]
	v_add_f64_e32 v[50:51], v[70:71], v[64:65]
	v_add_f64_e32 v[52:53], v[72:73], v[74:75]
	v_add_f64_e32 v[62:63], v[78:79], v[66:67]
	v_add_f64_e32 v[64:65], v[76:77], v[80:81]
	v_fma_f64 v[66:67], v[20:21], v[54:55], -v[82:83]
	v_fmac_f64_e32 v[84:85], v[22:23], v[54:55]
	v_fma_f64 v[20:21], v[20:21], v[58:59], -v[86:87]
	v_fma_f64 v[22:23], v[24:25], v[54:55], -v[102:103]
	v_fmac_f64_e32 v[56:57], v[26:27], v[54:55]
	v_fma_f64 v[54:55], v[24:25], v[58:59], -v[104:105]
	v_fmac_f64_e32 v[60:61], v[26:27], v[58:59]
	v_add_f64_e32 v[24:25], v[28:29], v[94:95]
	v_add_f64_e32 v[26:27], v[96:97], v[36:37]
	v_add_f64_e32 v[4:5], v[40:41], v[4:5]
	v_add_f64_e32 v[40:41], v[100:101], v[46:47]
	v_add_f64_e32 v[6:7], v[50:51], v[6:7]
	v_add_f64_e32 v[46:47], v[32:33], v[52:53]
	v_add_f64_e32 v[50:51], v[62:63], v[30:31]
	v_add_f64_e32 v[48:49], v[48:49], v[64:65]
	v_add_f64_e32 v[32:33], v[24:25], v[66:67]
	v_add_f64_e32 v[36:37], v[84:85], v[26:27]
	v_add_f64_e32 v[28:29], v[4:5], v[20:21]
	v_add_f64_e32 v[30:31], v[92:93], v[40:41]
	v_add_f64_e32 v[24:25], v[6:7], v[22:23]
	v_add_f64_e32 v[26:27], v[56:57], v[46:47]
	v_add_f64_e32 v[20:21], v[50:51], v[54:55]
	v_add_f64_e32 v[22:23], v[60:61], v[48:49]
	s_cbranch_vccz .LBB553_14
.LBB553_7:                              ;   Parent Loop BB553_4 Depth=1
                                        ; =>  This Inner Loop Header: Depth=2
	v_add_nc_u64_e32 v[4:5], s[28:29], v[8:9]
	v_mov_b64_e32 v[6:7], 0
	s_delay_alu instid0(VALU_DEP_2) | instskip(SKIP_2) | instid1(SALU_CYCLE_1)
	v_cmp_gt_i64_e32 vcc_lo, s[8:9], v[4:5]
	v_mov_b64_e32 v[4:5], 0
	s_and_b32 s35, s0, vcc_lo
	s_and_saveexec_b32 s34, s35
	s_cbranch_execz .LBB553_9
; %bb.8:                                ;   in Loop: Header=BB553_7 Depth=2
	global_load_b128 v[4:7], v[38:39], off offset:-8
	s_wait_loadcnt 0x0
	v_xor_b32_e32 v7, 0x80000000, v7
.LBB553_9:                              ;   in Loop: Header=BB553_7 Depth=2
	s_wait_xcnt 0x0
	s_or_b32 exec_lo, exec_lo, s34
	v_add_nc_u64_e32 v[40:41], s[28:29], v[0:1]
	ds_store_b128 v42, v[4:7]
	v_cmp_le_i64_e32 vcc_lo, s[8:9], v[40:41]
	s_or_b32 s34, vcc_lo, s33
	s_delay_alu instid0(SALU_CYCLE_1) | instskip(NEXT) | instid1(SALU_CYCLE_1)
	s_and_saveexec_b32 s35, s34
	s_xor_b32 s34, exec_lo, s35
; %bb.10:                               ;   in Loop: Header=BB553_7 Depth=2
	v_dual_mov_b32 v3, v2 :: v_dual_mov_b32 v4, v2
	v_mov_b32_e32 v5, v2
	ds_store_b128 v43, v[2:5]
; %bb.11:                               ;   in Loop: Header=BB553_7 Depth=2
	s_and_not1_saveexec_b32 s34, s34
	s_cbranch_execz .LBB553_6
; %bb.12:                               ;   in Loop: Header=BB553_7 Depth=2
	global_load_b128 v[4:7], v[34:35], off
	s_wait_loadcnt 0x0
	ds_store_2addr_b64 v43, v[4:5], v[6:7] offset1:1
	s_branch .LBB553_6
.LBB553_13:                             ;   in Loop: Header=BB553_4 Depth=1
	v_mov_b64_e32 v[32:33], 0
	v_mov_b64_e32 v[36:37], 0
	;; [unrolled: 1-line block ×8, first 2 shown]
.LBB553_14:                             ;   in Loop: Header=BB553_4 Depth=1
	s_wait_kmcnt 0x0
	s_mul_u64 s[28:29], s[16:17], s[24:25]
	s_and_not1_b32 vcc_lo, exec_lo, s31
	s_lshl_b64 s[28:29], s[28:29], 4
	s_mov_b32 s34, -1
	s_add_nc_u64 s[28:29], s[20:21], s[28:29]
	s_cbranch_vccz .LBB553_16
; %bb.15:                               ;   in Loop: Header=BB553_4 Depth=1
	s_and_not1_b32 vcc_lo, exec_lo, s34
	s_cbranch_vccnz .LBB553_3
	s_branch .LBB553_27
.LBB553_16:                             ;   in Loop: Header=BB553_4 Depth=1
	s_and_saveexec_b32 s34, s1
	s_cbranch_execz .LBB553_26
; %bb.17:                               ;   in Loop: Header=BB553_4 Depth=1
	v_lshl_add_u64 v[4:5], v[12:13], 4, s[28:29]
	s_delay_alu instid0(VALU_DEP_1)
	v_lshl_add_u64 v[6:7], v[10:11], 4, v[4:5]
	s_and_saveexec_b32 s35, s2
	s_cbranch_execnz .LBB553_20
; %bb.18:                               ;   in Loop: Header=BB553_4 Depth=1
	s_or_b32 exec_lo, exec_lo, s35
	s_and_saveexec_b32 s35, s3
	s_cbranch_execnz .LBB553_21
.LBB553_19:                             ;   in Loop: Header=BB553_4 Depth=1
	s_or_b32 exec_lo, exec_lo, s35
	s_delay_alu instid0(SALU_CYCLE_1)
	s_and_b32 exec_lo, exec_lo, s4
	s_cbranch_execnz .LBB553_22
	s_branch .LBB553_26
.LBB553_20:                             ;   in Loop: Header=BB553_4 Depth=1
	v_mul_f64_e32 v[34:35], s[12:13], v[36:37]
	v_mul_f64_e32 v[40:41], s[10:11], v[36:37]
	s_delay_alu instid0(VALU_DEP_2) | instskip(NEXT) | instid1(VALU_DEP_2)
	v_fma_f64 v[38:39], s[10:11], v[32:33], -v[34:35]
	v_fmac_f64_e32 v[40:41], s[12:13], v[32:33]
	global_store_b128 v[6:7], v[38:41], off
	s_wait_xcnt 0x0
	s_or_b32 exec_lo, exec_lo, s35
	s_and_saveexec_b32 s35, s3
	s_cbranch_execz .LBB553_19
.LBB553_21:                             ;   in Loop: Header=BB553_4 Depth=1
	v_mul_f64_e32 v[34:35], s[12:13], v[30:31]
	v_mul_f64_e32 v[40:41], s[10:11], v[30:31]
	s_delay_alu instid0(VALU_DEP_2) | instskip(NEXT) | instid1(VALU_DEP_2)
	v_fma_f64 v[38:39], s[10:11], v[28:29], -v[34:35]
	v_fmac_f64_e32 v[40:41], s[12:13], v[28:29]
	global_store_b128 v[6:7], v[38:41], off offset:256
	s_wait_xcnt 0x0
	s_or_b32 exec_lo, exec_lo, s35
	s_delay_alu instid0(SALU_CYCLE_1)
	s_and_b32 exec_lo, exec_lo, s4
	s_cbranch_execz .LBB553_26
.LBB553_22:                             ;   in Loop: Header=BB553_4 Depth=1
	v_lshl_add_u64 v[4:5], s[6:7], 4, v[4:5]
	s_delay_alu instid0(VALU_DEP_1)
	v_lshl_add_u64 v[4:5], v[10:11], 4, v[4:5]
	s_and_saveexec_b32 s35, s2
	s_cbranch_execz .LBB553_24
; %bb.23:                               ;   in Loop: Header=BB553_4 Depth=1
	v_mul_f64_e32 v[6:7], s[12:13], v[26:27]
	v_mul_f64_e32 v[40:41], s[10:11], v[26:27]
	s_delay_alu instid0(VALU_DEP_2) | instskip(NEXT) | instid1(VALU_DEP_2)
	v_fma_f64 v[38:39], s[10:11], v[24:25], -v[6:7]
	v_fmac_f64_e32 v[40:41], s[12:13], v[24:25]
	global_store_b128 v[4:5], v[38:41], off
.LBB553_24:                             ;   in Loop: Header=BB553_4 Depth=1
	s_wait_xcnt 0x0
	s_or_b32 exec_lo, exec_lo, s35
	s_delay_alu instid0(SALU_CYCLE_1)
	s_and_b32 exec_lo, exec_lo, s3
	s_cbranch_execz .LBB553_26
; %bb.25:                               ;   in Loop: Header=BB553_4 Depth=1
	v_mul_f64_e32 v[6:7], s[12:13], v[22:23]
	v_mul_f64_e32 v[40:41], s[10:11], v[22:23]
	s_delay_alu instid0(VALU_DEP_2) | instskip(NEXT) | instid1(VALU_DEP_2)
	v_fma_f64 v[38:39], s[10:11], v[20:21], -v[6:7]
	v_fmac_f64_e32 v[40:41], s[12:13], v[20:21]
	global_store_b128 v[4:5], v[38:41], off offset:256
.LBB553_26:                             ;   in Loop: Header=BB553_4 Depth=1
	s_wait_xcnt 0x0
	s_or_b32 exec_lo, exec_lo, s34
	s_cbranch_execnz .LBB553_3
.LBB553_27:                             ;   in Loop: Header=BB553_4 Depth=1
	s_and_saveexec_b32 s34, s1
	s_cbranch_execz .LBB553_2
; %bb.28:                               ;   in Loop: Header=BB553_4 Depth=1
	s_mul_u64 s[36:37], s[50:51], s[24:25]
	v_lshlrev_b64_e32 v[4:5], 4, v[10:11]
	v_lshl_add_u64 v[6:7], s[36:37], 4, v[14:15]
	v_lshl_add_u64 v[34:35], v[12:13], 4, s[28:29]
	s_delay_alu instid0(VALU_DEP_2) | instskip(NEXT) | instid1(VALU_DEP_2)
	v_add_nc_u64_e32 v[40:41], v[6:7], v[4:5]
	v_add_nc_u64_e32 v[38:39], v[34:35], v[4:5]
	s_and_saveexec_b32 s28, s2
	s_cbranch_execnz .LBB553_31
; %bb.29:                               ;   in Loop: Header=BB553_4 Depth=1
	s_or_b32 exec_lo, exec_lo, s28
	s_and_saveexec_b32 s28, s3
	s_cbranch_execnz .LBB553_32
.LBB553_30:                             ;   in Loop: Header=BB553_4 Depth=1
	s_or_b32 exec_lo, exec_lo, s28
	s_delay_alu instid0(SALU_CYCLE_1)
	s_and_b32 exec_lo, exec_lo, s4
	s_cbranch_execz .LBB553_2
	s_branch .LBB553_33
.LBB553_31:                             ;   in Loop: Header=BB553_4 Depth=1
	global_load_b128 v[46:49], v[40:41], off
	v_mul_f64_e32 v[50:51], s[12:13], v[36:37]
	v_mul_f64_e32 v[36:37], s[10:11], v[36:37]
	s_delay_alu instid0(VALU_DEP_2) | instskip(NEXT) | instid1(VALU_DEP_2)
	v_fma_f64 v[50:51], s[10:11], v[32:33], -v[50:51]
	v_fmac_f64_e32 v[36:37], s[12:13], v[32:33]
	s_wait_loadcnt 0x0
	v_mul_f64_e32 v[52:53], s[44:45], v[48:49]
	v_mul_f64_e32 v[48:49], s[42:43], v[48:49]
	s_delay_alu instid0(VALU_DEP_2) | instskip(NEXT) | instid1(VALU_DEP_2)
	v_fma_f64 v[32:33], s[42:43], v[46:47], -v[52:53]
	v_fmac_f64_e32 v[48:49], s[44:45], v[46:47]
	s_delay_alu instid0(VALU_DEP_2) | instskip(NEXT) | instid1(VALU_DEP_2)
	v_add_f64_e32 v[46:47], v[50:51], v[32:33]
	v_add_f64_e32 v[48:49], v[36:37], v[48:49]
	global_store_b128 v[38:39], v[46:49], off
	s_wait_xcnt 0x0
	s_or_b32 exec_lo, exec_lo, s28
	s_and_saveexec_b32 s28, s3
	s_cbranch_execz .LBB553_30
.LBB553_32:                             ;   in Loop: Header=BB553_4 Depth=1
	global_load_b128 v[46:49], v[40:41], off offset:256
	v_mul_f64_e32 v[32:33], s[12:13], v[30:31]
	v_mul_f64_e32 v[30:31], s[10:11], v[30:31]
	s_delay_alu instid0(VALU_DEP_2) | instskip(NEXT) | instid1(VALU_DEP_2)
	v_fma_f64 v[32:33], s[10:11], v[28:29], -v[32:33]
	v_fmac_f64_e32 v[30:31], s[12:13], v[28:29]
	s_wait_loadcnt 0x0
	v_mul_f64_e32 v[36:37], s[44:45], v[48:49]
	s_wait_xcnt 0x0
	v_mul_f64_e32 v[40:41], s[42:43], v[48:49]
	s_delay_alu instid0(VALU_DEP_2) | instskip(NEXT) | instid1(VALU_DEP_2)
	v_fma_f64 v[28:29], s[42:43], v[46:47], -v[36:37]
	v_fmac_f64_e32 v[40:41], s[44:45], v[46:47]
	s_delay_alu instid0(VALU_DEP_2) | instskip(NEXT) | instid1(VALU_DEP_2)
	v_add_f64_e32 v[28:29], v[32:33], v[28:29]
	v_add_f64_e32 v[30:31], v[30:31], v[40:41]
	global_store_b128 v[38:39], v[28:31], off offset:256
	s_wait_xcnt 0x0
	s_or_b32 exec_lo, exec_lo, s28
	s_delay_alu instid0(SALU_CYCLE_1)
	s_and_b32 exec_lo, exec_lo, s4
	s_cbranch_execz .LBB553_2
.LBB553_33:                             ;   in Loop: Header=BB553_4 Depth=1
	v_lshl_add_u64 v[6:7], s[14:15], 4, v[6:7]
	v_lshl_add_u64 v[28:29], s[6:7], 4, v[34:35]
	s_delay_alu instid0(VALU_DEP_2) | instskip(NEXT) | instid1(VALU_DEP_2)
	v_add_nc_u64_e32 v[6:7], v[6:7], v[4:5]
	v_add_nc_u64_e32 v[4:5], v[28:29], v[4:5]
	s_and_saveexec_b32 s28, s2
	s_cbranch_execz .LBB553_35
; %bb.34:                               ;   in Loop: Header=BB553_4 Depth=1
	global_load_b128 v[28:31], v[6:7], off
	v_mul_f64_e32 v[32:33], s[12:13], v[26:27]
	v_mul_f64_e32 v[26:27], s[10:11], v[26:27]
	s_delay_alu instid0(VALU_DEP_2) | instskip(NEXT) | instid1(VALU_DEP_2)
	v_fma_f64 v[32:33], s[10:11], v[24:25], -v[32:33]
	v_fmac_f64_e32 v[26:27], s[12:13], v[24:25]
	s_wait_loadcnt 0x0
	v_mul_f64_e32 v[34:35], s[44:45], v[30:31]
	v_mul_f64_e32 v[30:31], s[42:43], v[30:31]
	s_delay_alu instid0(VALU_DEP_2) | instskip(NEXT) | instid1(VALU_DEP_2)
	v_fma_f64 v[24:25], s[42:43], v[28:29], -v[34:35]
	v_fmac_f64_e32 v[30:31], s[44:45], v[28:29]
	s_delay_alu instid0(VALU_DEP_2) | instskip(NEXT) | instid1(VALU_DEP_2)
	v_add_f64_e32 v[24:25], v[32:33], v[24:25]
	v_add_f64_e32 v[26:27], v[26:27], v[30:31]
	global_store_b128 v[4:5], v[24:27], off
.LBB553_35:                             ;   in Loop: Header=BB553_4 Depth=1
	s_wait_xcnt 0x0
	s_or_b32 exec_lo, exec_lo, s28
	s_delay_alu instid0(SALU_CYCLE_1)
	s_and_b32 exec_lo, exec_lo, s3
	s_cbranch_execz .LBB553_2
; %bb.36:                               ;   in Loop: Header=BB553_4 Depth=1
	global_load_b128 v[24:27], v[6:7], off offset:256
	s_wait_xcnt 0x0
	v_mul_f64_e32 v[6:7], s[12:13], v[22:23]
	v_mul_f64_e32 v[22:23], s[10:11], v[22:23]
	s_delay_alu instid0(VALU_DEP_2) | instskip(NEXT) | instid1(VALU_DEP_2)
	v_fma_f64 v[6:7], s[10:11], v[20:21], -v[6:7]
	v_fmac_f64_e32 v[22:23], s[12:13], v[20:21]
	s_wait_loadcnt 0x0
	v_mul_f64_e32 v[28:29], s[44:45], v[26:27]
	v_mul_f64_e32 v[26:27], s[42:43], v[26:27]
	s_delay_alu instid0(VALU_DEP_2) | instskip(NEXT) | instid1(VALU_DEP_2)
	v_fma_f64 v[20:21], s[42:43], v[24:25], -v[28:29]
	v_fmac_f64_e32 v[26:27], s[44:45], v[24:25]
	s_delay_alu instid0(VALU_DEP_2) | instskip(NEXT) | instid1(VALU_DEP_2)
	v_add_f64_e32 v[20:21], v[6:7], v[20:21]
	v_add_f64_e32 v[22:23], v[22:23], v[26:27]
	global_store_b128 v[4:5], v[20:23], off offset:256
	s_branch .LBB553_2
.LBB553_37:
	s_sendmsg sendmsg(MSG_DEALLOC_VGPRS)
	s_endpgm
	.section	.rodata,"a",@progbits
	.p2align	6, 0x0
	.amdhsa_kernel _ZN12_GLOBAL__N_135rocblas_gemm_batched_general_kernelI19rocblas_complex_numIdELi16ELi16ELi32ELi32ELi8ELi32ELi8ELi8ELi32ELc67ELc84EKS2_S3_S2_EEvlllT_PT11_llS6_llS4_PT12_llPT13_lli
		.amdhsa_group_segment_fixed_size 8192
		.amdhsa_private_segment_fixed_size 0
		.amdhsa_kernarg_size 156
		.amdhsa_user_sgpr_count 2
		.amdhsa_user_sgpr_dispatch_ptr 0
		.amdhsa_user_sgpr_queue_ptr 0
		.amdhsa_user_sgpr_kernarg_segment_ptr 1
		.amdhsa_user_sgpr_dispatch_id 0
		.amdhsa_user_sgpr_kernarg_preload_length 0
		.amdhsa_user_sgpr_kernarg_preload_offset 0
		.amdhsa_user_sgpr_private_segment_size 0
		.amdhsa_wavefront_size32 1
		.amdhsa_uses_dynamic_stack 0
		.amdhsa_enable_private_segment 0
		.amdhsa_system_sgpr_workgroup_id_x 1
		.amdhsa_system_sgpr_workgroup_id_y 1
		.amdhsa_system_sgpr_workgroup_id_z 1
		.amdhsa_system_sgpr_workgroup_info 0
		.amdhsa_system_vgpr_workitem_id 1
		.amdhsa_next_free_vgpr 132
		.amdhsa_next_free_sgpr 52
		.amdhsa_named_barrier_count 0
		.amdhsa_reserve_vcc 1
		.amdhsa_float_round_mode_32 0
		.amdhsa_float_round_mode_16_64 0
		.amdhsa_float_denorm_mode_32 3
		.amdhsa_float_denorm_mode_16_64 3
		.amdhsa_fp16_overflow 0
		.amdhsa_memory_ordered 1
		.amdhsa_forward_progress 1
		.amdhsa_inst_pref_size 24
		.amdhsa_round_robin_scheduling 0
		.amdhsa_exception_fp_ieee_invalid_op 0
		.amdhsa_exception_fp_denorm_src 0
		.amdhsa_exception_fp_ieee_div_zero 0
		.amdhsa_exception_fp_ieee_overflow 0
		.amdhsa_exception_fp_ieee_underflow 0
		.amdhsa_exception_fp_ieee_inexact 0
		.amdhsa_exception_int_div_zero 0
	.end_amdhsa_kernel
	.section	.text._ZN12_GLOBAL__N_135rocblas_gemm_batched_general_kernelI19rocblas_complex_numIdELi16ELi16ELi32ELi32ELi8ELi32ELi8ELi8ELi32ELc67ELc84EKS2_S3_S2_EEvlllT_PT11_llS6_llS4_PT12_llPT13_lli,"axG",@progbits,_ZN12_GLOBAL__N_135rocblas_gemm_batched_general_kernelI19rocblas_complex_numIdELi16ELi16ELi32ELi32ELi8ELi32ELi8ELi8ELi32ELc67ELc84EKS2_S3_S2_EEvlllT_PT11_llS6_llS4_PT12_llPT13_lli,comdat
.Lfunc_end553:
	.size	_ZN12_GLOBAL__N_135rocblas_gemm_batched_general_kernelI19rocblas_complex_numIdELi16ELi16ELi32ELi32ELi8ELi32ELi8ELi8ELi32ELc67ELc84EKS2_S3_S2_EEvlllT_PT11_llS6_llS4_PT12_llPT13_lli, .Lfunc_end553-_ZN12_GLOBAL__N_135rocblas_gemm_batched_general_kernelI19rocblas_complex_numIdELi16ELi16ELi32ELi32ELi8ELi32ELi8ELi8ELi32ELc67ELc84EKS2_S3_S2_EEvlllT_PT11_llS6_llS4_PT12_llPT13_lli
                                        ; -- End function
	.set _ZN12_GLOBAL__N_135rocblas_gemm_batched_general_kernelI19rocblas_complex_numIdELi16ELi16ELi32ELi32ELi8ELi32ELi8ELi8ELi32ELc67ELc84EKS2_S3_S2_EEvlllT_PT11_llS6_llS4_PT12_llPT13_lli.num_vgpr, 132
	.set _ZN12_GLOBAL__N_135rocblas_gemm_batched_general_kernelI19rocblas_complex_numIdELi16ELi16ELi32ELi32ELi8ELi32ELi8ELi8ELi32ELc67ELc84EKS2_S3_S2_EEvlllT_PT11_llS6_llS4_PT12_llPT13_lli.num_agpr, 0
	.set _ZN12_GLOBAL__N_135rocblas_gemm_batched_general_kernelI19rocblas_complex_numIdELi16ELi16ELi32ELi32ELi8ELi32ELi8ELi8ELi32ELc67ELc84EKS2_S3_S2_EEvlllT_PT11_llS6_llS4_PT12_llPT13_lli.numbered_sgpr, 52
	.set _ZN12_GLOBAL__N_135rocblas_gemm_batched_general_kernelI19rocblas_complex_numIdELi16ELi16ELi32ELi32ELi8ELi32ELi8ELi8ELi32ELc67ELc84EKS2_S3_S2_EEvlllT_PT11_llS6_llS4_PT12_llPT13_lli.num_named_barrier, 0
	.set _ZN12_GLOBAL__N_135rocblas_gemm_batched_general_kernelI19rocblas_complex_numIdELi16ELi16ELi32ELi32ELi8ELi32ELi8ELi8ELi32ELc67ELc84EKS2_S3_S2_EEvlllT_PT11_llS6_llS4_PT12_llPT13_lli.private_seg_size, 0
	.set _ZN12_GLOBAL__N_135rocblas_gemm_batched_general_kernelI19rocblas_complex_numIdELi16ELi16ELi32ELi32ELi8ELi32ELi8ELi8ELi32ELc67ELc84EKS2_S3_S2_EEvlllT_PT11_llS6_llS4_PT12_llPT13_lli.uses_vcc, 1
	.set _ZN12_GLOBAL__N_135rocblas_gemm_batched_general_kernelI19rocblas_complex_numIdELi16ELi16ELi32ELi32ELi8ELi32ELi8ELi8ELi32ELc67ELc84EKS2_S3_S2_EEvlllT_PT11_llS6_llS4_PT12_llPT13_lli.uses_flat_scratch, 0
	.set _ZN12_GLOBAL__N_135rocblas_gemm_batched_general_kernelI19rocblas_complex_numIdELi16ELi16ELi32ELi32ELi8ELi32ELi8ELi8ELi32ELc67ELc84EKS2_S3_S2_EEvlllT_PT11_llS6_llS4_PT12_llPT13_lli.has_dyn_sized_stack, 0
	.set _ZN12_GLOBAL__N_135rocblas_gemm_batched_general_kernelI19rocblas_complex_numIdELi16ELi16ELi32ELi32ELi8ELi32ELi8ELi8ELi32ELc67ELc84EKS2_S3_S2_EEvlllT_PT11_llS6_llS4_PT12_llPT13_lli.has_recursion, 0
	.set _ZN12_GLOBAL__N_135rocblas_gemm_batched_general_kernelI19rocblas_complex_numIdELi16ELi16ELi32ELi32ELi8ELi32ELi8ELi8ELi32ELc67ELc84EKS2_S3_S2_EEvlllT_PT11_llS6_llS4_PT12_llPT13_lli.has_indirect_call, 0
	.section	.AMDGPU.csdata,"",@progbits
; Kernel info:
; codeLenInByte = 3020
; TotalNumSgprs: 54
; NumVgprs: 132
; ScratchSize: 0
; MemoryBound: 1
; FloatMode: 240
; IeeeMode: 1
; LDSByteSize: 8192 bytes/workgroup (compile time only)
; SGPRBlocks: 0
; VGPRBlocks: 8
; NumSGPRsForWavesPerEU: 54
; NumVGPRsForWavesPerEU: 132
; NamedBarCnt: 0
; Occupancy: 7
; WaveLimiterHint : 0
; COMPUTE_PGM_RSRC2:SCRATCH_EN: 0
; COMPUTE_PGM_RSRC2:USER_SGPR: 2
; COMPUTE_PGM_RSRC2:TRAP_HANDLER: 0
; COMPUTE_PGM_RSRC2:TGID_X_EN: 1
; COMPUTE_PGM_RSRC2:TGID_Y_EN: 1
; COMPUTE_PGM_RSRC2:TGID_Z_EN: 1
; COMPUTE_PGM_RSRC2:TIDIG_COMP_CNT: 1
	.section	.text._ZN12_GLOBAL__N_135rocblas_gemm_batched_general_kernelI19rocblas_complex_numIdELi16ELi16ELi32ELi32ELi8ELi32ELi8ELi8ELi32ELc78ELc67EKS2_S3_S2_EEvlllT_PT11_llS6_llS4_PT12_llPT13_lli,"axG",@progbits,_ZN12_GLOBAL__N_135rocblas_gemm_batched_general_kernelI19rocblas_complex_numIdELi16ELi16ELi32ELi32ELi8ELi32ELi8ELi8ELi32ELc78ELc67EKS2_S3_S2_EEvlllT_PT11_llS6_llS4_PT12_llPT13_lli,comdat
	.globl	_ZN12_GLOBAL__N_135rocblas_gemm_batched_general_kernelI19rocblas_complex_numIdELi16ELi16ELi32ELi32ELi8ELi32ELi8ELi8ELi32ELc78ELc67EKS2_S3_S2_EEvlllT_PT11_llS6_llS4_PT12_llPT13_lli ; -- Begin function _ZN12_GLOBAL__N_135rocblas_gemm_batched_general_kernelI19rocblas_complex_numIdELi16ELi16ELi32ELi32ELi8ELi32ELi8ELi8ELi32ELc78ELc67EKS2_S3_S2_EEvlllT_PT11_llS6_llS4_PT12_llPT13_lli
	.p2align	8
	.type	_ZN12_GLOBAL__N_135rocblas_gemm_batched_general_kernelI19rocblas_complex_numIdELi16ELi16ELi32ELi32ELi8ELi32ELi8ELi8ELi32ELc78ELc67EKS2_S3_S2_EEvlllT_PT11_llS6_llS4_PT12_llPT13_lli,@function
_ZN12_GLOBAL__N_135rocblas_gemm_batched_general_kernelI19rocblas_complex_numIdELi16ELi16ELi32ELi32ELi8ELi32ELi8ELi8ELi32ELc78ELc67EKS2_S3_S2_EEvlllT_PT11_llS6_llS4_PT12_llPT13_lli: ; @_ZN12_GLOBAL__N_135rocblas_gemm_batched_general_kernelI19rocblas_complex_numIdELi16ELi16ELi32ELi32ELi8ELi32ELi8ELi8ELi32ELc78ELc67EKS2_S3_S2_EEvlllT_PT11_llS6_llS4_PT12_llPT13_lli
; %bb.0:
	s_load_b32 s33, s[0:1], 0x98
	s_bfe_u32 s2, ttmp6, 0x40014
	s_lshr_b32 s3, ttmp7, 16
	s_add_co_i32 s2, s2, 1
	s_bfe_u32 s5, ttmp6, 0x40008
	s_mul_i32 s4, s3, s2
	s_getreg_b32 s2, hwreg(HW_REG_IB_STS2, 6, 4)
	s_add_co_i32 s5, s5, s4
	s_cmp_eq_u32 s2, 0
	s_mov_b32 s25, 0
	s_cselect_b32 s24, s3, s5
	s_wait_kmcnt 0x0
	s_cmp_ge_i32 s24, s33
	s_cbranch_scc1 .LBB554_37
; %bb.1:
	s_load_b512 s[4:19], s[0:1], 0x40
	s_bfe_u32 s3, ttmp6, 0x4000c
	s_bfe_u32 s28, ttmp6, 0x40010
	s_add_co_i32 s3, s3, 1
	s_and_b32 s27, ttmp7, 0xffff
	s_add_co_i32 s28, s28, 1
	v_bfe_u32 v4, v0, 10, 10
	v_and_b32_e32 v6, 0x3ff, v0
	s_and_b32 s26, ttmp6, 15
	s_mul_i32 s3, ttmp9, s3
	s_mul_i32 s28, s27, s28
	s_bfe_u32 s29, ttmp6, 0x40004
	s_clause 0x1
	s_load_b512 s[36:51], s[0:1], 0x0
	s_load_b128 s[20:23], s[0:1], 0x80
	s_add_co_i32 s26, s26, s3
	s_add_co_i32 s29, s29, s28
	s_cmp_eq_u32 s2, 0
	v_lshl_add_u32 v1, v4, 4, v6
	v_mov_b32_e32 v2, 0
	s_cselect_b32 s2, ttmp9, s26
	s_cselect_b32 s34, s27, s29
	s_ashr_i32 s3, s2, 31
	v_dual_lshrrev_b32 v8, 5, v1 :: v_dual_bitop2_b32 v3, 31, v1 bitop3:0x40
	v_dual_lshrrev_b32 v14, 3, v1 :: v_dual_bitop2_b32 v0, 7, v0 bitop3:0x40
	v_mov_b32_e32 v15, v2
	s_lshl_b64 s[28:29], s[2:3], 5
	s_delay_alu instid0(VALU_DEP_3) | instid1(SALU_CYCLE_1)
	v_dual_mov_b32 v1, v2 :: v_dual_bitop2_b32 v10, s28, v3 bitop3:0x54
	v_dual_mov_b32 v5, v2 :: v_dual_mov_b32 v9, v2
	s_lshl_b32 s26, s34, 5
	s_wait_kmcnt 0x0
	s_delay_alu instid0(VALU_DEP_2)
	v_mul_u64_e32 v[16:17], s[6:7], v[0:1]
	s_mov_b32 s27, s25
	v_cmp_eq_f64_e64 s30, s[10:11], 0
	v_mul_u64_e32 v[18:19], s[48:49], v[8:9]
	v_add_nc_u64_e32 v[20:21], s[26:27], v[4:5]
	v_add_nc_u64_e32 v[12:13], s[26:27], v[14:15]
	v_cmp_eq_f64_e64 s31, s[12:13], 0
	v_dual_mov_b32 v11, s29 :: v_dual_lshlrev_b32 v5, 4, v0
	v_dual_mov_b32 v7, v2 :: v_dual_lshlrev_b32 v22, 4, v3
	v_mul_u64_e32 v[24:25], s[16:17], v[20:21]
	s_load_b64 s[26:27], s[0:1], 0x90
	s_wait_xcnt 0x0
	v_cmp_gt_i64_e64 s0, s[38:39], v[12:13]
	v_mul_u64_e32 v[12:13], s[22:23], v[20:21]
	v_cmp_gt_i64_e32 vcc_lo, s[36:37], v[10:11]
	v_add_nc_u64_e32 v[10:11], s[28:29], v[6:7]
	s_lshl_b32 s28, s34, 9
	s_mov_b32 s29, s25
	v_lshl_or_b32 v3, v14, 7, v5
	v_dual_mov_b32 v23, v2 :: v_dual_lshlrev_b32 v14, 4, v14
	v_lshlrev_b32_e32 v44, 4, v6
	v_lshl_add_u32 v45, v4, 7, 0x1000
	v_add_nc_u64_e32 v[4:5], 16, v[10:11]
	s_lshl_b64 s[2:3], s[2:3], 9
	v_cmp_gt_i64_e64 s1, s[38:39], v[20:21]
	v_lshl_or_b32 v42, v8, 9, v22
	v_add_nc_u32_e32 v43, 0x1000, v3
	s_lshl_b64 s[22:23], s[22:23], 4
	s_lshl_b64 s[16:17], s[16:17], 4
	;; [unrolled: 1-line block ×3, first 2 shown]
	v_lshl_add_u64 v[16:17], v[16:17], 4, s[28:29]
	s_lshl_b64 s[6:7], s[6:7], 7
	s_lshl_b64 s[28:29], s[48:49], 7
	s_xor_b32 s35, vcc_lo, -1
	s_delay_alu instid0(VALU_DEP_1)
	v_add_nc_u64_e32 v[6:7], v[16:17], v[14:15]
	v_lshl_add_u64 v[16:17], v[18:19], 4, s[2:3]
	v_add_nc_u64_e32 v[14:15], 16, v[20:21]
	v_cmp_gt_i64_e64 s3, s[36:37], v[4:5]
	v_cmp_gt_i64_e64 s2, s[36:37], v[10:11]
	s_and_b32 s34, s30, s31
	v_add_nc_u64_e32 v[4:5], v[16:17], v[22:23]
	v_add_nc_u64_e32 v[6:7], s[4:5], v[6:7]
	v_cmp_gt_i64_e64 s5, s[40:41], 0
	v_cmp_gt_i64_e64 s4, s[38:39], v[14:15]
	v_lshl_add_u64 v[14:15], v[24:25], 4, s[14:15]
	s_lshl_b64 s[14:15], s[50:51], 4
	v_add_nc_u64_e32 v[18:19], s[46:47], v[4:5]
	v_add_nc_u64_e32 v[16:17], 8, v[6:7]
	s_branch .LBB554_4
.LBB554_2:                              ;   in Loop: Header=BB554_4 Depth=1
	s_wait_xcnt 0x0
	s_or_b32 exec_lo, exec_lo, s36
.LBB554_3:                              ;   in Loop: Header=BB554_4 Depth=1
	s_add_co_i32 s24, s24, 0x10000
	s_delay_alu instid0(SALU_CYCLE_1)
	s_cmp_lt_i32 s24, s33
	s_cbranch_scc0 .LBB554_37
.LBB554_4:                              ; =>This Loop Header: Depth=1
                                        ;     Child Loop BB554_7 Depth 2
	s_and_not1_b32 vcc_lo, exec_lo, s5
	s_cbranch_vccnz .LBB554_13
; %bb.5:                                ;   in Loop: Header=BB554_4 Depth=1
	s_delay_alu instid0(VALU_DEP_1) | instskip(NEXT) | instid1(VALU_DEP_3)
	v_mad_nc_u64_u32 v[34:35], s8, s24, v[16:17]
	v_mad_nc_u64_u32 v[38:39], s14, s24, v[18:19]
	v_mov_b64_e32 v[22:23], 0
	v_mov_b64_e32 v[20:21], 0
	;; [unrolled: 1-line block ×8, first 2 shown]
	s_mov_b64 s[30:31], 0
	v_mad_u32 v35, s9, s24, v35
	v_mad_u32 v39, s15, s24, v39
	s_branch .LBB554_7
.LBB554_6:                              ;   in Loop: Header=BB554_7 Depth=2
	s_wait_xcnt 0x0
	s_or_b32 exec_lo, exec_lo, s36
	ds_store_b128 v43, v[4:7]
	s_wait_dscnt 0x0
	s_barrier_signal -1
	s_barrier_wait -1
	ds_load_b128 v[4:7], v45
	ds_load_b128 v[46:49], v44
	ds_load_b128 v[50:53], v44 offset:256
	ds_load_b128 v[54:57], v45 offset:2048
	;; [unrolled: 1-line block ×10, first 2 shown]
	s_add_nc_u64 s[30:31], s[30:31], 8
	v_add_nc_u64_e32 v[34:35], s[6:7], v[34:35]
	v_cmp_lt_i64_e64 s36, s[30:31], s[40:41]
	v_add_nc_u64_e32 v[38:39], s[28:29], v[38:39]
	s_and_b32 vcc_lo, exec_lo, s36
	s_wait_dscnt 0xa
	v_mul_f64_e32 v[40:41], v[6:7], v[48:49]
	v_mul_f64_e32 v[90:91], v[4:5], v[48:49]
	s_wait_dscnt 0x9
	v_mul_f64_e32 v[92:93], v[6:7], v[52:53]
	v_mul_f64_e32 v[94:95], v[4:5], v[52:53]
	s_wait_dscnt 0x8
	v_mul_f64_e32 v[96:97], v[56:57], v[48:49]
	v_mul_f64_e32 v[98:99], v[54:55], v[48:49]
	v_mul_f64_e32 v[48:49], v[56:57], v[52:53]
	v_mul_f64_e32 v[100:101], v[54:55], v[52:53]
	s_wait_dscnt 0x6
	v_mul_f64_e32 v[102:103], v[60:61], v[64:65]
	v_mul_f64_e32 v[104:105], v[58:59], v[64:65]
	s_wait_dscnt 0x5
	v_mul_f64_e32 v[106:107], v[60:61], v[68:69]
	v_mul_f64_e32 v[108:109], v[58:59], v[68:69]
	s_wait_dscnt 0x4
	v_mul_f64_e32 v[110:111], v[72:73], v[64:65]
	v_mul_f64_e32 v[64:65], v[70:71], v[64:65]
	v_mul_f64_e32 v[112:113], v[72:73], v[68:69]
	v_mul_f64_e32 v[68:69], v[70:71], v[68:69]
	;; [unrolled: 11-line block ×3, first 2 shown]
	v_fma_f64 v[40:41], v[4:5], v[46:47], -v[40:41]
	v_fmac_f64_e32 v[90:91], v[6:7], v[46:47]
	v_fma_f64 v[92:93], v[4:5], v[50:51], -v[92:93]
	v_fmac_f64_e32 v[94:95], v[6:7], v[50:51]
	;; [unrolled: 2-line block ×8, first 2 shown]
	ds_load_b128 v[4:7], v45 offset:48
	ds_load_b128 v[46:49], v45 offset:2096
	;; [unrolled: 1-line block ×4, first 2 shown]
	v_fma_f64 v[116:117], v[74:75], v[78:79], -v[116:117]
	v_fmac_f64_e32 v[118:119], v[76:77], v[78:79]
	v_fma_f64 v[120:121], v[74:75], v[82:83], -v[120:121]
	v_fmac_f64_e32 v[122:123], v[76:77], v[82:83]
	;; [unrolled: 2-line block ×4, first 2 shown]
	v_add_f64_e32 v[32:33], v[32:33], v[40:41]
	v_add_f64_e32 v[36:37], v[90:91], v[36:37]
	;; [unrolled: 1-line block ×8, first 2 shown]
	s_wait_dscnt 0x1
	v_mul_f64_e32 v[94:95], v[6:7], v[52:53]
	v_mul_f64_e32 v[96:97], v[4:5], v[52:53]
	s_wait_dscnt 0x0
	v_mul_f64_e32 v[98:99], v[6:7], v[56:57]
	v_mul_f64_e32 v[100:101], v[4:5], v[56:57]
	;; [unrolled: 1-line block ×6, first 2 shown]
	ds_load_b128 v[20:23], v45 offset:64
	ds_load_b128 v[24:27], v44 offset:2048
	;; [unrolled: 1-line block ×4, first 2 shown]
	v_add_f64_e32 v[32:33], v[32:33], v[102:103]
	v_add_f64_e32 v[36:37], v[104:105], v[36:37]
	;; [unrolled: 1-line block ×8, first 2 shown]
	s_wait_dscnt 0x2
	v_mul_f64_e32 v[102:103], v[22:23], v[26:27]
	v_mul_f64_e32 v[104:105], v[20:21], v[26:27]
	s_wait_dscnt 0x1
	v_mul_f64_e32 v[106:107], v[22:23], v[30:31]
	v_mul_f64_e32 v[108:109], v[20:21], v[30:31]
	;; [unrolled: 3-line block ×3, first 2 shown]
	v_mul_f64_e32 v[26:27], v[60:61], v[30:31]
	v_mul_f64_e32 v[128:129], v[58:59], v[30:31]
	v_fma_f64 v[94:95], v[4:5], v[50:51], -v[94:95]
	v_fmac_f64_e32 v[96:97], v[6:7], v[50:51]
	v_fma_f64 v[98:99], v[4:5], v[54:55], -v[98:99]
	v_fmac_f64_e32 v[100:101], v[6:7], v[54:55]
	;; [unrolled: 2-line block ×4, first 2 shown]
	ds_load_b128 v[62:65], v45 offset:80
	ds_load_b128 v[66:69], v45 offset:2128
	;; [unrolled: 1-line block ×4, first 2 shown]
	v_add_f64_e32 v[54:55], v[32:33], v[116:117]
	v_add_f64_e32 v[36:37], v[118:119], v[36:37]
	;; [unrolled: 1-line block ×8, first 2 shown]
	v_fma_f64 v[102:103], v[20:21], v[24:25], -v[102:103]
	v_fmac_f64_e32 v[104:105], v[22:23], v[24:25]
	v_fma_f64 v[106:107], v[20:21], v[28:29], -v[106:107]
	s_wait_dscnt 0x1
	v_mul_f64_e32 v[88:89], v[64:65], v[72:73]
	v_mul_f64_e32 v[90:91], v[62:63], v[72:73]
	s_wait_dscnt 0x0
	v_mul_f64_e32 v[92:93], v[64:65], v[76:77]
	v_mul_f64_e32 v[116:117], v[62:63], v[76:77]
	;; [unrolled: 1-line block ×6, first 2 shown]
	v_fmac_f64_e32 v[108:109], v[22:23], v[28:29]
	v_fma_f64 v[110:111], v[58:59], v[24:25], -v[110:111]
	v_fmac_f64_e32 v[126:127], v[60:61], v[24:25]
	v_fma_f64 v[122:123], v[58:59], v[28:29], -v[26:27]
	v_fmac_f64_e32 v[128:129], v[60:61], v[28:29]
	ds_load_b128 v[4:7], v45 offset:96
	ds_load_b128 v[30:33], v44 offset:3072
	;; [unrolled: 1-line block ×4, first 2 shown]
	v_add_f64_e32 v[28:29], v[54:55], v[94:95]
	v_add_f64_e32 v[36:37], v[96:97], v[36:37]
	;; [unrolled: 1-line block ×8, first 2 shown]
	ds_load_b128 v[20:23], v45 offset:112
	ds_load_b128 v[24:27], v45 offset:2160
	ds_load_b128 v[54:57], v44 offset:3584
	ds_load_b128 v[58:61], v44 offset:3840
	s_wait_dscnt 0x0
	v_mul_f64_e32 v[94:95], v[6:7], v[32:33]
	v_mul_f64_e32 v[96:97], v[4:5], v[32:33]
	;; [unrolled: 1-line block ×8, first 2 shown]
	v_fma_f64 v[88:89], v[62:63], v[70:71], -v[88:89]
	v_fmac_f64_e32 v[90:91], v[64:65], v[70:71]
	v_fma_f64 v[62:63], v[62:63], v[74:75], -v[92:93]
	v_fmac_f64_e32 v[116:117], v[64:65], v[74:75]
	;; [unrolled: 2-line block ×4, first 2 shown]
	s_barrier_signal -1
	s_barrier_wait -1
	v_mul_f64_e32 v[92:93], v[20:21], v[60:61]
	v_add_f64_e32 v[28:29], v[28:29], v[102:103]
	v_add_f64_e32 v[36:37], v[104:105], v[36:37]
	;; [unrolled: 1-line block ×8, first 2 shown]
	v_mul_f64_e32 v[82:83], v[22:23], v[56:57]
	v_mul_f64_e32 v[84:85], v[20:21], v[56:57]
	;; [unrolled: 1-line block ×7, first 2 shown]
	v_fma_f64 v[94:95], v[4:5], v[30:31], -v[94:95]
	v_fmac_f64_e32 v[96:97], v[6:7], v[30:31]
	v_fma_f64 v[4:5], v[4:5], v[46:47], -v[98:99]
	v_fmac_f64_e32 v[100:101], v[6:7], v[46:47]
	v_fma_f64 v[6:7], v[50:51], v[30:31], -v[112:113]
	v_fmac_f64_e32 v[32:33], v[52:53], v[30:31]
	v_fma_f64 v[30:31], v[50:51], v[46:47], -v[114:115]
	v_fmac_f64_e32 v[48:49], v[52:53], v[46:47]
	v_fmac_f64_e32 v[92:93], v[22:23], v[58:59]
	v_add_f64_e32 v[28:29], v[28:29], v[88:89]
	v_add_f64_e32 v[36:37], v[90:91], v[36:37]
	;; [unrolled: 1-line block ×8, first 2 shown]
	v_fma_f64 v[66:67], v[20:21], v[54:55], -v[82:83]
	v_fmac_f64_e32 v[84:85], v[22:23], v[54:55]
	v_fma_f64 v[20:21], v[20:21], v[58:59], -v[86:87]
	v_fma_f64 v[22:23], v[24:25], v[54:55], -v[102:103]
	v_fmac_f64_e32 v[56:57], v[26:27], v[54:55]
	v_fma_f64 v[54:55], v[24:25], v[58:59], -v[104:105]
	v_fmac_f64_e32 v[60:61], v[26:27], v[58:59]
	v_add_f64_e32 v[24:25], v[28:29], v[94:95]
	v_add_f64_e32 v[26:27], v[96:97], v[36:37]
	v_add_f64_e32 v[4:5], v[40:41], v[4:5]
	v_add_f64_e32 v[40:41], v[100:101], v[46:47]
	v_add_f64_e32 v[6:7], v[50:51], v[6:7]
	v_add_f64_e32 v[46:47], v[32:33], v[52:53]
	v_add_f64_e32 v[50:51], v[62:63], v[30:31]
	v_add_f64_e32 v[48:49], v[48:49], v[64:65]
	v_add_f64_e32 v[32:33], v[24:25], v[66:67]
	v_add_f64_e32 v[36:37], v[84:85], v[26:27]
	v_add_f64_e32 v[28:29], v[4:5], v[20:21]
	v_add_f64_e32 v[30:31], v[92:93], v[40:41]
	v_add_f64_e32 v[24:25], v[6:7], v[22:23]
	v_add_f64_e32 v[26:27], v[56:57], v[46:47]
	v_add_f64_e32 v[20:21], v[50:51], v[54:55]
	v_add_f64_e32 v[22:23], v[60:61], v[48:49]
	s_cbranch_vccz .LBB554_14
.LBB554_7:                              ;   Parent Loop BB554_4 Depth=1
                                        ; =>  This Inner Loop Header: Depth=2
	v_add_nc_u64_e32 v[4:5], s[30:31], v[8:9]
	s_delay_alu instid0(VALU_DEP_1) | instskip(SKIP_1) | instid1(SALU_CYCLE_1)
	v_cmp_le_i64_e32 vcc_lo, s[40:41], v[4:5]
	s_or_b32 s36, s35, vcc_lo
	s_and_saveexec_b32 s37, s36
	s_delay_alu instid0(SALU_CYCLE_1)
	s_xor_b32 s36, exec_lo, s37
; %bb.8:                                ;   in Loop: Header=BB554_7 Depth=2
	v_dual_mov_b32 v3, v2 :: v_dual_mov_b32 v4, v2
	v_mov_b32_e32 v5, v2
	ds_store_b128 v42, v[2:5]
; %bb.9:                                ;   in Loop: Header=BB554_7 Depth=2
	s_and_not1_saveexec_b32 s36, s36
	s_cbranch_execz .LBB554_11
; %bb.10:                               ;   in Loop: Header=BB554_7 Depth=2
	global_load_b128 v[4:7], v[38:39], off
	s_wait_loadcnt 0x0
	ds_store_2addr_b64 v42, v[4:5], v[6:7] offset1:1
.LBB554_11:                             ;   in Loop: Header=BB554_7 Depth=2
	s_wait_xcnt 0x0
	s_or_b32 exec_lo, exec_lo, s36
	v_add_nc_u64_e32 v[4:5], s[30:31], v[0:1]
	v_mov_b64_e32 v[6:7], 0
	s_delay_alu instid0(VALU_DEP_2) | instskip(SKIP_2) | instid1(SALU_CYCLE_1)
	v_cmp_gt_i64_e32 vcc_lo, s[40:41], v[4:5]
	v_mov_b64_e32 v[4:5], 0
	s_and_b32 s37, vcc_lo, s0
	s_and_saveexec_b32 s36, s37
	s_cbranch_execz .LBB554_6
; %bb.12:                               ;   in Loop: Header=BB554_7 Depth=2
	global_load_b128 v[4:7], v[34:35], off offset:-8
	s_wait_loadcnt 0x0
	v_xor_b32_e32 v7, 0x80000000, v7
	s_branch .LBB554_6
.LBB554_13:                             ;   in Loop: Header=BB554_4 Depth=1
	v_mov_b64_e32 v[32:33], 0
	v_mov_b64_e32 v[36:37], 0
	;; [unrolled: 1-line block ×8, first 2 shown]
.LBB554_14:                             ;   in Loop: Header=BB554_4 Depth=1
	s_wait_kmcnt 0x0
	s_mul_u64 s[30:31], s[26:27], s[24:25]
	s_and_not1_b32 vcc_lo, exec_lo, s34
	s_lshl_b64 s[30:31], s[30:31], 4
	s_mov_b32 s36, -1
	s_add_nc_u64 s[30:31], s[20:21], s[30:31]
	s_cbranch_vccz .LBB554_16
; %bb.15:                               ;   in Loop: Header=BB554_4 Depth=1
	s_and_not1_b32 vcc_lo, exec_lo, s36
	s_cbranch_vccnz .LBB554_3
	s_branch .LBB554_27
.LBB554_16:                             ;   in Loop: Header=BB554_4 Depth=1
	s_and_saveexec_b32 s36, s1
	s_cbranch_execz .LBB554_26
; %bb.17:                               ;   in Loop: Header=BB554_4 Depth=1
	v_lshl_add_u64 v[4:5], v[12:13], 4, s[30:31]
	s_delay_alu instid0(VALU_DEP_1)
	v_lshl_add_u64 v[6:7], v[10:11], 4, v[4:5]
	s_and_saveexec_b32 s37, s2
	s_cbranch_execnz .LBB554_20
; %bb.18:                               ;   in Loop: Header=BB554_4 Depth=1
	s_or_b32 exec_lo, exec_lo, s37
	s_and_saveexec_b32 s37, s3
	s_cbranch_execnz .LBB554_21
.LBB554_19:                             ;   in Loop: Header=BB554_4 Depth=1
	s_or_b32 exec_lo, exec_lo, s37
	s_delay_alu instid0(SALU_CYCLE_1)
	s_and_b32 exec_lo, exec_lo, s4
	s_cbranch_execnz .LBB554_22
	s_branch .LBB554_26
.LBB554_20:                             ;   in Loop: Header=BB554_4 Depth=1
	v_mul_f64_e32 v[34:35], s[44:45], v[36:37]
	v_mul_f64_e32 v[40:41], s[42:43], v[36:37]
	s_delay_alu instid0(VALU_DEP_2) | instskip(NEXT) | instid1(VALU_DEP_2)
	v_fma_f64 v[38:39], s[42:43], v[32:33], -v[34:35]
	v_fmac_f64_e32 v[40:41], s[44:45], v[32:33]
	global_store_b128 v[6:7], v[38:41], off
	s_wait_xcnt 0x0
	s_or_b32 exec_lo, exec_lo, s37
	s_and_saveexec_b32 s37, s3
	s_cbranch_execz .LBB554_19
.LBB554_21:                             ;   in Loop: Header=BB554_4 Depth=1
	v_mul_f64_e32 v[34:35], s[44:45], v[30:31]
	v_mul_f64_e32 v[40:41], s[42:43], v[30:31]
	s_delay_alu instid0(VALU_DEP_2) | instskip(NEXT) | instid1(VALU_DEP_2)
	v_fma_f64 v[38:39], s[42:43], v[28:29], -v[34:35]
	v_fmac_f64_e32 v[40:41], s[44:45], v[28:29]
	global_store_b128 v[6:7], v[38:41], off offset:256
	s_wait_xcnt 0x0
	s_or_b32 exec_lo, exec_lo, s37
	s_delay_alu instid0(SALU_CYCLE_1)
	s_and_b32 exec_lo, exec_lo, s4
	s_cbranch_execz .LBB554_26
.LBB554_22:                             ;   in Loop: Header=BB554_4 Depth=1
	v_lshl_add_u64 v[4:5], s[22:23], 4, v[4:5]
	s_delay_alu instid0(VALU_DEP_1)
	v_lshl_add_u64 v[4:5], v[10:11], 4, v[4:5]
	s_and_saveexec_b32 s37, s2
	s_cbranch_execz .LBB554_24
; %bb.23:                               ;   in Loop: Header=BB554_4 Depth=1
	v_mul_f64_e32 v[6:7], s[44:45], v[26:27]
	v_mul_f64_e32 v[40:41], s[42:43], v[26:27]
	s_delay_alu instid0(VALU_DEP_2) | instskip(NEXT) | instid1(VALU_DEP_2)
	v_fma_f64 v[38:39], s[42:43], v[24:25], -v[6:7]
	v_fmac_f64_e32 v[40:41], s[44:45], v[24:25]
	global_store_b128 v[4:5], v[38:41], off
.LBB554_24:                             ;   in Loop: Header=BB554_4 Depth=1
	s_wait_xcnt 0x0
	s_or_b32 exec_lo, exec_lo, s37
	s_delay_alu instid0(SALU_CYCLE_1)
	s_and_b32 exec_lo, exec_lo, s3
	s_cbranch_execz .LBB554_26
; %bb.25:                               ;   in Loop: Header=BB554_4 Depth=1
	v_mul_f64_e32 v[6:7], s[44:45], v[22:23]
	v_mul_f64_e32 v[40:41], s[42:43], v[22:23]
	s_delay_alu instid0(VALU_DEP_2) | instskip(NEXT) | instid1(VALU_DEP_2)
	v_fma_f64 v[38:39], s[42:43], v[20:21], -v[6:7]
	v_fmac_f64_e32 v[40:41], s[44:45], v[20:21]
	global_store_b128 v[4:5], v[38:41], off offset:256
.LBB554_26:                             ;   in Loop: Header=BB554_4 Depth=1
	s_wait_xcnt 0x0
	s_or_b32 exec_lo, exec_lo, s36
	s_cbranch_execnz .LBB554_3
.LBB554_27:                             ;   in Loop: Header=BB554_4 Depth=1
	s_and_saveexec_b32 s36, s1
	s_cbranch_execz .LBB554_2
; %bb.28:                               ;   in Loop: Header=BB554_4 Depth=1
	s_mul_u64 s[38:39], s[18:19], s[24:25]
	v_lshlrev_b64_e32 v[4:5], 4, v[10:11]
	v_lshl_add_u64 v[6:7], s[38:39], 4, v[14:15]
	v_lshl_add_u64 v[34:35], v[12:13], 4, s[30:31]
	s_delay_alu instid0(VALU_DEP_2) | instskip(NEXT) | instid1(VALU_DEP_2)
	v_add_nc_u64_e32 v[40:41], v[6:7], v[4:5]
	v_add_nc_u64_e32 v[38:39], v[34:35], v[4:5]
	s_and_saveexec_b32 s30, s2
	s_cbranch_execnz .LBB554_31
; %bb.29:                               ;   in Loop: Header=BB554_4 Depth=1
	s_or_b32 exec_lo, exec_lo, s30
	s_and_saveexec_b32 s30, s3
	s_cbranch_execnz .LBB554_32
.LBB554_30:                             ;   in Loop: Header=BB554_4 Depth=1
	s_or_b32 exec_lo, exec_lo, s30
	s_delay_alu instid0(SALU_CYCLE_1)
	s_and_b32 exec_lo, exec_lo, s4
	s_cbranch_execz .LBB554_2
	s_branch .LBB554_33
.LBB554_31:                             ;   in Loop: Header=BB554_4 Depth=1
	global_load_b128 v[46:49], v[40:41], off
	v_mul_f64_e32 v[50:51], s[44:45], v[36:37]
	v_mul_f64_e32 v[36:37], s[42:43], v[36:37]
	s_delay_alu instid0(VALU_DEP_2) | instskip(NEXT) | instid1(VALU_DEP_2)
	v_fma_f64 v[50:51], s[42:43], v[32:33], -v[50:51]
	v_fmac_f64_e32 v[36:37], s[44:45], v[32:33]
	s_wait_loadcnt 0x0
	v_mul_f64_e32 v[52:53], s[12:13], v[48:49]
	v_mul_f64_e32 v[48:49], s[10:11], v[48:49]
	s_delay_alu instid0(VALU_DEP_2) | instskip(NEXT) | instid1(VALU_DEP_2)
	v_fma_f64 v[32:33], s[10:11], v[46:47], -v[52:53]
	v_fmac_f64_e32 v[48:49], s[12:13], v[46:47]
	s_delay_alu instid0(VALU_DEP_2) | instskip(NEXT) | instid1(VALU_DEP_2)
	v_add_f64_e32 v[46:47], v[50:51], v[32:33]
	v_add_f64_e32 v[48:49], v[36:37], v[48:49]
	global_store_b128 v[38:39], v[46:49], off
	s_wait_xcnt 0x0
	s_or_b32 exec_lo, exec_lo, s30
	s_and_saveexec_b32 s30, s3
	s_cbranch_execz .LBB554_30
.LBB554_32:                             ;   in Loop: Header=BB554_4 Depth=1
	global_load_b128 v[46:49], v[40:41], off offset:256
	v_mul_f64_e32 v[32:33], s[44:45], v[30:31]
	v_mul_f64_e32 v[30:31], s[42:43], v[30:31]
	s_delay_alu instid0(VALU_DEP_2) | instskip(NEXT) | instid1(VALU_DEP_2)
	v_fma_f64 v[32:33], s[42:43], v[28:29], -v[32:33]
	v_fmac_f64_e32 v[30:31], s[44:45], v[28:29]
	s_wait_loadcnt 0x0
	v_mul_f64_e32 v[36:37], s[12:13], v[48:49]
	s_wait_xcnt 0x0
	v_mul_f64_e32 v[40:41], s[10:11], v[48:49]
	s_delay_alu instid0(VALU_DEP_2) | instskip(NEXT) | instid1(VALU_DEP_2)
	v_fma_f64 v[28:29], s[10:11], v[46:47], -v[36:37]
	v_fmac_f64_e32 v[40:41], s[12:13], v[46:47]
	s_delay_alu instid0(VALU_DEP_2) | instskip(NEXT) | instid1(VALU_DEP_2)
	v_add_f64_e32 v[28:29], v[32:33], v[28:29]
	v_add_f64_e32 v[30:31], v[30:31], v[40:41]
	global_store_b128 v[38:39], v[28:31], off offset:256
	s_wait_xcnt 0x0
	s_or_b32 exec_lo, exec_lo, s30
	s_delay_alu instid0(SALU_CYCLE_1)
	s_and_b32 exec_lo, exec_lo, s4
	s_cbranch_execz .LBB554_2
.LBB554_33:                             ;   in Loop: Header=BB554_4 Depth=1
	v_lshl_add_u64 v[6:7], s[16:17], 4, v[6:7]
	v_lshl_add_u64 v[28:29], s[22:23], 4, v[34:35]
	s_delay_alu instid0(VALU_DEP_2) | instskip(NEXT) | instid1(VALU_DEP_2)
	v_add_nc_u64_e32 v[6:7], v[6:7], v[4:5]
	v_add_nc_u64_e32 v[4:5], v[28:29], v[4:5]
	s_and_saveexec_b32 s30, s2
	s_cbranch_execz .LBB554_35
; %bb.34:                               ;   in Loop: Header=BB554_4 Depth=1
	global_load_b128 v[28:31], v[6:7], off
	v_mul_f64_e32 v[32:33], s[44:45], v[26:27]
	v_mul_f64_e32 v[26:27], s[42:43], v[26:27]
	s_delay_alu instid0(VALU_DEP_2) | instskip(NEXT) | instid1(VALU_DEP_2)
	v_fma_f64 v[32:33], s[42:43], v[24:25], -v[32:33]
	v_fmac_f64_e32 v[26:27], s[44:45], v[24:25]
	s_wait_loadcnt 0x0
	v_mul_f64_e32 v[34:35], s[12:13], v[30:31]
	v_mul_f64_e32 v[30:31], s[10:11], v[30:31]
	s_delay_alu instid0(VALU_DEP_2) | instskip(NEXT) | instid1(VALU_DEP_2)
	v_fma_f64 v[24:25], s[10:11], v[28:29], -v[34:35]
	v_fmac_f64_e32 v[30:31], s[12:13], v[28:29]
	s_delay_alu instid0(VALU_DEP_2) | instskip(NEXT) | instid1(VALU_DEP_2)
	v_add_f64_e32 v[24:25], v[32:33], v[24:25]
	v_add_f64_e32 v[26:27], v[26:27], v[30:31]
	global_store_b128 v[4:5], v[24:27], off
.LBB554_35:                             ;   in Loop: Header=BB554_4 Depth=1
	s_wait_xcnt 0x0
	s_or_b32 exec_lo, exec_lo, s30
	s_delay_alu instid0(SALU_CYCLE_1)
	s_and_b32 exec_lo, exec_lo, s3
	s_cbranch_execz .LBB554_2
; %bb.36:                               ;   in Loop: Header=BB554_4 Depth=1
	global_load_b128 v[24:27], v[6:7], off offset:256
	s_wait_xcnt 0x0
	v_mul_f64_e32 v[6:7], s[44:45], v[22:23]
	v_mul_f64_e32 v[22:23], s[42:43], v[22:23]
	s_delay_alu instid0(VALU_DEP_2) | instskip(NEXT) | instid1(VALU_DEP_2)
	v_fma_f64 v[6:7], s[42:43], v[20:21], -v[6:7]
	v_fmac_f64_e32 v[22:23], s[44:45], v[20:21]
	s_wait_loadcnt 0x0
	v_mul_f64_e32 v[28:29], s[12:13], v[26:27]
	v_mul_f64_e32 v[26:27], s[10:11], v[26:27]
	s_delay_alu instid0(VALU_DEP_2) | instskip(NEXT) | instid1(VALU_DEP_2)
	v_fma_f64 v[20:21], s[10:11], v[24:25], -v[28:29]
	v_fmac_f64_e32 v[26:27], s[12:13], v[24:25]
	s_delay_alu instid0(VALU_DEP_2) | instskip(NEXT) | instid1(VALU_DEP_2)
	v_add_f64_e32 v[20:21], v[6:7], v[20:21]
	v_add_f64_e32 v[22:23], v[22:23], v[26:27]
	global_store_b128 v[4:5], v[20:23], off offset:256
	s_branch .LBB554_2
.LBB554_37:
	s_sendmsg sendmsg(MSG_DEALLOC_VGPRS)
	s_endpgm
	.section	.rodata,"a",@progbits
	.p2align	6, 0x0
	.amdhsa_kernel _ZN12_GLOBAL__N_135rocblas_gemm_batched_general_kernelI19rocblas_complex_numIdELi16ELi16ELi32ELi32ELi8ELi32ELi8ELi8ELi32ELc78ELc67EKS2_S3_S2_EEvlllT_PT11_llS6_llS4_PT12_llPT13_lli
		.amdhsa_group_segment_fixed_size 8192
		.amdhsa_private_segment_fixed_size 0
		.amdhsa_kernarg_size 156
		.amdhsa_user_sgpr_count 2
		.amdhsa_user_sgpr_dispatch_ptr 0
		.amdhsa_user_sgpr_queue_ptr 0
		.amdhsa_user_sgpr_kernarg_segment_ptr 1
		.amdhsa_user_sgpr_dispatch_id 0
		.amdhsa_user_sgpr_kernarg_preload_length 0
		.amdhsa_user_sgpr_kernarg_preload_offset 0
		.amdhsa_user_sgpr_private_segment_size 0
		.amdhsa_wavefront_size32 1
		.amdhsa_uses_dynamic_stack 0
		.amdhsa_enable_private_segment 0
		.amdhsa_system_sgpr_workgroup_id_x 1
		.amdhsa_system_sgpr_workgroup_id_y 1
		.amdhsa_system_sgpr_workgroup_id_z 1
		.amdhsa_system_sgpr_workgroup_info 0
		.amdhsa_system_vgpr_workitem_id 1
		.amdhsa_next_free_vgpr 132
		.amdhsa_next_free_sgpr 52
		.amdhsa_named_barrier_count 0
		.amdhsa_reserve_vcc 1
		.amdhsa_float_round_mode_32 0
		.amdhsa_float_round_mode_16_64 0
		.amdhsa_float_denorm_mode_32 3
		.amdhsa_float_denorm_mode_16_64 3
		.amdhsa_fp16_overflow 0
		.amdhsa_memory_ordered 1
		.amdhsa_forward_progress 1
		.amdhsa_inst_pref_size 24
		.amdhsa_round_robin_scheduling 0
		.amdhsa_exception_fp_ieee_invalid_op 0
		.amdhsa_exception_fp_denorm_src 0
		.amdhsa_exception_fp_ieee_div_zero 0
		.amdhsa_exception_fp_ieee_overflow 0
		.amdhsa_exception_fp_ieee_underflow 0
		.amdhsa_exception_fp_ieee_inexact 0
		.amdhsa_exception_int_div_zero 0
	.end_amdhsa_kernel
	.section	.text._ZN12_GLOBAL__N_135rocblas_gemm_batched_general_kernelI19rocblas_complex_numIdELi16ELi16ELi32ELi32ELi8ELi32ELi8ELi8ELi32ELc78ELc67EKS2_S3_S2_EEvlllT_PT11_llS6_llS4_PT12_llPT13_lli,"axG",@progbits,_ZN12_GLOBAL__N_135rocblas_gemm_batched_general_kernelI19rocblas_complex_numIdELi16ELi16ELi32ELi32ELi8ELi32ELi8ELi8ELi32ELc78ELc67EKS2_S3_S2_EEvlllT_PT11_llS6_llS4_PT12_llPT13_lli,comdat
.Lfunc_end554:
	.size	_ZN12_GLOBAL__N_135rocblas_gemm_batched_general_kernelI19rocblas_complex_numIdELi16ELi16ELi32ELi32ELi8ELi32ELi8ELi8ELi32ELc78ELc67EKS2_S3_S2_EEvlllT_PT11_llS6_llS4_PT12_llPT13_lli, .Lfunc_end554-_ZN12_GLOBAL__N_135rocblas_gemm_batched_general_kernelI19rocblas_complex_numIdELi16ELi16ELi32ELi32ELi8ELi32ELi8ELi8ELi32ELc78ELc67EKS2_S3_S2_EEvlllT_PT11_llS6_llS4_PT12_llPT13_lli
                                        ; -- End function
	.set _ZN12_GLOBAL__N_135rocblas_gemm_batched_general_kernelI19rocblas_complex_numIdELi16ELi16ELi32ELi32ELi8ELi32ELi8ELi8ELi32ELc78ELc67EKS2_S3_S2_EEvlllT_PT11_llS6_llS4_PT12_llPT13_lli.num_vgpr, 132
	.set _ZN12_GLOBAL__N_135rocblas_gemm_batched_general_kernelI19rocblas_complex_numIdELi16ELi16ELi32ELi32ELi8ELi32ELi8ELi8ELi32ELc78ELc67EKS2_S3_S2_EEvlllT_PT11_llS6_llS4_PT12_llPT13_lli.num_agpr, 0
	.set _ZN12_GLOBAL__N_135rocblas_gemm_batched_general_kernelI19rocblas_complex_numIdELi16ELi16ELi32ELi32ELi8ELi32ELi8ELi8ELi32ELc78ELc67EKS2_S3_S2_EEvlllT_PT11_llS6_llS4_PT12_llPT13_lli.numbered_sgpr, 52
	.set _ZN12_GLOBAL__N_135rocblas_gemm_batched_general_kernelI19rocblas_complex_numIdELi16ELi16ELi32ELi32ELi8ELi32ELi8ELi8ELi32ELc78ELc67EKS2_S3_S2_EEvlllT_PT11_llS6_llS4_PT12_llPT13_lli.num_named_barrier, 0
	.set _ZN12_GLOBAL__N_135rocblas_gemm_batched_general_kernelI19rocblas_complex_numIdELi16ELi16ELi32ELi32ELi8ELi32ELi8ELi8ELi32ELc78ELc67EKS2_S3_S2_EEvlllT_PT11_llS6_llS4_PT12_llPT13_lli.private_seg_size, 0
	.set _ZN12_GLOBAL__N_135rocblas_gemm_batched_general_kernelI19rocblas_complex_numIdELi16ELi16ELi32ELi32ELi8ELi32ELi8ELi8ELi32ELc78ELc67EKS2_S3_S2_EEvlllT_PT11_llS6_llS4_PT12_llPT13_lli.uses_vcc, 1
	.set _ZN12_GLOBAL__N_135rocblas_gemm_batched_general_kernelI19rocblas_complex_numIdELi16ELi16ELi32ELi32ELi8ELi32ELi8ELi8ELi32ELc78ELc67EKS2_S3_S2_EEvlllT_PT11_llS6_llS4_PT12_llPT13_lli.uses_flat_scratch, 0
	.set _ZN12_GLOBAL__N_135rocblas_gemm_batched_general_kernelI19rocblas_complex_numIdELi16ELi16ELi32ELi32ELi8ELi32ELi8ELi8ELi32ELc78ELc67EKS2_S3_S2_EEvlllT_PT11_llS6_llS4_PT12_llPT13_lli.has_dyn_sized_stack, 0
	.set _ZN12_GLOBAL__N_135rocblas_gemm_batched_general_kernelI19rocblas_complex_numIdELi16ELi16ELi32ELi32ELi8ELi32ELi8ELi8ELi32ELc78ELc67EKS2_S3_S2_EEvlllT_PT11_llS6_llS4_PT12_llPT13_lli.has_recursion, 0
	.set _ZN12_GLOBAL__N_135rocblas_gemm_batched_general_kernelI19rocblas_complex_numIdELi16ELi16ELi32ELi32ELi8ELi32ELi8ELi8ELi32ELc78ELc67EKS2_S3_S2_EEvlllT_PT11_llS6_llS4_PT12_llPT13_lli.has_indirect_call, 0
	.section	.AMDGPU.csdata,"",@progbits
; Kernel info:
; codeLenInByte = 3028
; TotalNumSgprs: 54
; NumVgprs: 132
; ScratchSize: 0
; MemoryBound: 1
; FloatMode: 240
; IeeeMode: 1
; LDSByteSize: 8192 bytes/workgroup (compile time only)
; SGPRBlocks: 0
; VGPRBlocks: 8
; NumSGPRsForWavesPerEU: 54
; NumVGPRsForWavesPerEU: 132
; NamedBarCnt: 0
; Occupancy: 7
; WaveLimiterHint : 0
; COMPUTE_PGM_RSRC2:SCRATCH_EN: 0
; COMPUTE_PGM_RSRC2:USER_SGPR: 2
; COMPUTE_PGM_RSRC2:TRAP_HANDLER: 0
; COMPUTE_PGM_RSRC2:TGID_X_EN: 1
; COMPUTE_PGM_RSRC2:TGID_Y_EN: 1
; COMPUTE_PGM_RSRC2:TGID_Z_EN: 1
; COMPUTE_PGM_RSRC2:TIDIG_COMP_CNT: 1
	.section	.text._ZN12_GLOBAL__N_135rocblas_gemm_batched_general_kernelI19rocblas_complex_numIdELi16ELi16ELi32ELi32ELi8ELi32ELi8ELi8ELi32ELc84ELc67EKS2_S3_S2_EEvlllT_PT11_llS6_llS4_PT12_llPT13_lli,"axG",@progbits,_ZN12_GLOBAL__N_135rocblas_gemm_batched_general_kernelI19rocblas_complex_numIdELi16ELi16ELi32ELi32ELi8ELi32ELi8ELi8ELi32ELc84ELc67EKS2_S3_S2_EEvlllT_PT11_llS6_llS4_PT12_llPT13_lli,comdat
	.globl	_ZN12_GLOBAL__N_135rocblas_gemm_batched_general_kernelI19rocblas_complex_numIdELi16ELi16ELi32ELi32ELi8ELi32ELi8ELi8ELi32ELc84ELc67EKS2_S3_S2_EEvlllT_PT11_llS6_llS4_PT12_llPT13_lli ; -- Begin function _ZN12_GLOBAL__N_135rocblas_gemm_batched_general_kernelI19rocblas_complex_numIdELi16ELi16ELi32ELi32ELi8ELi32ELi8ELi8ELi32ELc84ELc67EKS2_S3_S2_EEvlllT_PT11_llS6_llS4_PT12_llPT13_lli
	.p2align	8
	.type	_ZN12_GLOBAL__N_135rocblas_gemm_batched_general_kernelI19rocblas_complex_numIdELi16ELi16ELi32ELi32ELi8ELi32ELi8ELi8ELi32ELc84ELc67EKS2_S3_S2_EEvlllT_PT11_llS6_llS4_PT12_llPT13_lli,@function
_ZN12_GLOBAL__N_135rocblas_gemm_batched_general_kernelI19rocblas_complex_numIdELi16ELi16ELi32ELi32ELi8ELi32ELi8ELi8ELi32ELc84ELc67EKS2_S3_S2_EEvlllT_PT11_llS6_llS4_PT12_llPT13_lli: ; @_ZN12_GLOBAL__N_135rocblas_gemm_batched_general_kernelI19rocblas_complex_numIdELi16ELi16ELi32ELi32ELi8ELi32ELi8ELi8ELi32ELc84ELc67EKS2_S3_S2_EEvlllT_PT11_llS6_llS4_PT12_llPT13_lli
; %bb.0:
	s_load_b32 s30, s[0:1], 0x98
	s_bfe_u32 s2, ttmp6, 0x40014
	s_lshr_b32 s3, ttmp7, 16
	s_add_co_i32 s2, s2, 1
	s_bfe_u32 s5, ttmp6, 0x40008
	s_mul_i32 s4, s3, s2
	s_getreg_b32 s2, hwreg(HW_REG_IB_STS2, 6, 4)
	s_add_co_i32 s5, s5, s4
	s_cmp_eq_u32 s2, 0
	s_mov_b32 s25, 0
	s_cselect_b32 s24, s3, s5
	s_wait_kmcnt 0x0
	s_cmp_ge_i32 s24, s30
	s_cbranch_scc1 .LBB555_37
; %bb.1:
	s_clause 0x1
	s_load_b512 s[4:19], s[0:1], 0x0
	s_load_b512 s[36:51], s[0:1], 0x40
	v_bfe_u32 v4, v0, 10, 10
	v_and_b32_e32 v6, 0x3ff, v0
	v_dual_mov_b32 v2, 0 :: v_dual_bitop2_b32 v0, 7, v0 bitop3:0x40
	s_bfe_u32 s3, ttmp6, 0x4000c
	s_bfe_u32 s27, ttmp6, 0x40010
	s_delay_alu instid0(VALU_DEP_2) | instskip(NEXT) | instid1(VALU_DEP_2)
	v_lshl_add_u32 v3, v4, 4, v6
	v_mov_b32_e32 v1, v2
	s_add_co_i32 s3, s3, 1
	s_and_b32 s28, ttmp7, 0xffff
	s_add_co_i32 s27, s27, 1
	s_and_b32 s26, ttmp6, 15
	s_mul_i32 s3, ttmp9, s3
	s_mul_i32 s27, s28, s27
	s_bfe_u32 s29, ttmp6, 0x40004
	s_add_co_i32 s26, s26, s3
	s_add_co_i32 s29, s29, s27
	v_lshrrev_b32_e32 v16, 3, v3
	s_cmp_eq_u32 s2, 0
	s_wait_kmcnt 0x0
	v_mul_u64_e32 v[14:15], s[38:39], v[0:1]
	s_cselect_b32 s2, ttmp9, s26
	v_dual_mov_b32 v5, v2 :: v_dual_bitop2_b32 v7, 31, v3 bitop3:0x40
	s_cselect_b32 s31, s28, s29
	s_ashr_i32 s3, s2, 31
	s_clause 0x1
	s_load_b128 s[20:23], s[0:1], 0x80
	s_load_b64 s[26:27], s[0:1], 0x90
	s_lshl_b64 s[2:3], s[2:3], 5
	s_delay_alu instid0(SALU_CYCLE_1)
	v_dual_mov_b32 v17, v2 :: v_dual_bitop2_b32 v10, s2, v7 bitop3:0x54
	v_dual_mov_b32 v11, s3 :: v_dual_lshrrev_b32 v8, 5, v3
	s_lshl_b32 s28, s31, 5
	s_mov_b32 s29, s25
	v_cmp_eq_f64_e64 s33, s[42:43], 0
	v_add_nc_u64_e32 v[18:19], s[28:29], v[4:5]
	v_mul_u64_e32 v[20:21], s[16:17], v[10:11]
	v_cmp_eq_f64_e64 s34, s[44:45], 0
	v_add_nc_u64_e32 v[12:13], s[28:29], v[16:17]
	v_cmp_gt_i64_e32 vcc_lo, s[4:5], v[10:11]
	v_dual_lshlrev_b32 v3, 4, v7 :: v_dual_mov_b32 v7, v2
	v_mul_u64_e32 v[22:23], s[48:49], v[18:19]
	v_dual_lshlrev_b32 v5, 4, v0 :: v_dual_mov_b32 v9, v2
	s_wait_kmcnt 0x0
	v_mul_u64_e32 v[10:11], s[22:23], v[18:19]
	s_lshl_b32 s16, s31, 9
	s_mov_b32 s17, s25
	v_lshl_or_b32 v42, v8, 9, v3
	v_cmp_gt_i64_e64 s0, s[6:7], v[12:13]
	v_lshl_or_b32 v3, v16, 7, v5
	v_add_nc_u64_e32 v[12:13], s[2:3], v[6:7]
	v_lshl_add_u64 v[14:15], v[14:15], 4, s[16:17]
	v_dual_lshlrev_b32 v16, 4, v16 :: v_dual_lshlrev_b32 v44, 4, v6
	v_lshl_add_u32 v45, v4, 7, 0x1000
	v_cmp_gt_i64_e64 s1, s[6:7], v[18:19]
	v_add_nc_u32_e32 v43, 0x1000, v3
	s_delay_alu instid0(VALU_DEP_4)
	v_add_nc_u64_e32 v[4:5], v[14:15], v[16:17]
	v_add_nc_u64_e32 v[6:7], 16, v[12:13]
	v_lshlrev_b32_e32 v16, 4, v8
	v_add_nc_u64_e32 v[14:15], 16, v[18:19]
	v_cmp_gt_i64_e64 s2, s[4:5], v[12:13]
	s_lshl_b64 s[16:17], s[48:49], 4
	s_lshl_b64 s[18:19], s[18:19], 4
	v_add_nc_u64_e32 v[4:5], s[36:37], v[4:5]
	v_cmp_gt_i64_e64 s3, s[4:5], v[6:7]
	v_cmp_gt_i64_e64 s5, s[8:9], 0
	v_lshl_add_u64 v[6:7], v[20:21], 4, v[16:17]
	v_cmp_gt_i64_e64 s4, s[6:7], v[14:15]
	s_and_b32 s31, s33, s34
	s_lshl_b64 s[6:7], s[22:23], 4
	v_add_nc_u64_e32 v[16:17], 8, v[4:5]
	v_add_nc_u64_e32 v[18:19], s[14:15], v[6:7]
	v_lshl_add_u64 v[14:15], v[22:23], 4, s[46:47]
	s_lshl_b64 s[22:23], s[40:41], 4
	s_lshl_b64 s[14:15], s[38:39], 7
	s_xor_b32 s33, vcc_lo, -1
	s_branch .LBB555_4
.LBB555_2:                              ;   in Loop: Header=BB555_4 Depth=1
	s_wait_xcnt 0x0
	s_or_b32 exec_lo, exec_lo, s34
.LBB555_3:                              ;   in Loop: Header=BB555_4 Depth=1
	s_add_co_i32 s24, s24, 0x10000
	s_delay_alu instid0(SALU_CYCLE_1)
	s_cmp_lt_i32 s24, s30
	s_cbranch_scc0 .LBB555_37
.LBB555_4:                              ; =>This Loop Header: Depth=1
                                        ;     Child Loop BB555_7 Depth 2
	s_and_not1_b32 vcc_lo, exec_lo, s5
	s_cbranch_vccnz .LBB555_13
; %bb.5:                                ;   in Loop: Header=BB555_4 Depth=1
	v_mad_nc_u64_u32 v[34:35], s22, s24, v[16:17]
	v_mad_nc_u64_u32 v[38:39], s18, s24, v[18:19]
	v_mov_b64_e32 v[22:23], 0
	v_mov_b64_e32 v[20:21], 0
	;; [unrolled: 1-line block ×8, first 2 shown]
	s_mov_b64 s[28:29], 0
	v_mad_u32 v35, s23, s24, v35
	v_mad_u32 v39, s19, s24, v39
	s_branch .LBB555_7
.LBB555_6:                              ;   in Loop: Header=BB555_7 Depth=2
	s_wait_xcnt 0x0
	s_or_b32 exec_lo, exec_lo, s34
	ds_store_b128 v43, v[4:7]
	s_wait_dscnt 0x0
	s_barrier_signal -1
	s_barrier_wait -1
	ds_load_b128 v[4:7], v45
	ds_load_b128 v[46:49], v44
	ds_load_b128 v[50:53], v44 offset:256
	ds_load_b128 v[54:57], v45 offset:2048
	;; [unrolled: 1-line block ×10, first 2 shown]
	s_add_nc_u64 s[28:29], s[28:29], 8
	v_add_nc_u64_e32 v[34:35], s[14:15], v[34:35]
	v_cmp_lt_i64_e64 s34, s[28:29], s[8:9]
	v_add_nc_u64_e32 v[38:39], 0x80, v[38:39]
	s_and_b32 vcc_lo, exec_lo, s34
	s_wait_dscnt 0xa
	v_mul_f64_e32 v[40:41], v[6:7], v[48:49]
	v_mul_f64_e32 v[90:91], v[4:5], v[48:49]
	s_wait_dscnt 0x9
	v_mul_f64_e32 v[92:93], v[6:7], v[52:53]
	v_mul_f64_e32 v[94:95], v[4:5], v[52:53]
	s_wait_dscnt 0x8
	v_mul_f64_e32 v[96:97], v[56:57], v[48:49]
	v_mul_f64_e32 v[98:99], v[54:55], v[48:49]
	v_mul_f64_e32 v[48:49], v[56:57], v[52:53]
	v_mul_f64_e32 v[100:101], v[54:55], v[52:53]
	s_wait_dscnt 0x6
	v_mul_f64_e32 v[102:103], v[60:61], v[64:65]
	v_mul_f64_e32 v[104:105], v[58:59], v[64:65]
	s_wait_dscnt 0x5
	v_mul_f64_e32 v[106:107], v[60:61], v[68:69]
	v_mul_f64_e32 v[108:109], v[58:59], v[68:69]
	s_wait_dscnt 0x4
	v_mul_f64_e32 v[110:111], v[72:73], v[64:65]
	v_mul_f64_e32 v[64:65], v[70:71], v[64:65]
	v_mul_f64_e32 v[112:113], v[72:73], v[68:69]
	v_mul_f64_e32 v[68:69], v[70:71], v[68:69]
	;; [unrolled: 11-line block ×3, first 2 shown]
	v_fma_f64 v[40:41], v[4:5], v[46:47], -v[40:41]
	v_fmac_f64_e32 v[90:91], v[6:7], v[46:47]
	v_fma_f64 v[92:93], v[4:5], v[50:51], -v[92:93]
	v_fmac_f64_e32 v[94:95], v[6:7], v[50:51]
	;; [unrolled: 2-line block ×8, first 2 shown]
	ds_load_b128 v[4:7], v45 offset:48
	ds_load_b128 v[46:49], v45 offset:2096
	;; [unrolled: 1-line block ×4, first 2 shown]
	v_fma_f64 v[116:117], v[74:75], v[78:79], -v[116:117]
	v_fmac_f64_e32 v[118:119], v[76:77], v[78:79]
	v_fma_f64 v[120:121], v[74:75], v[82:83], -v[120:121]
	v_fmac_f64_e32 v[122:123], v[76:77], v[82:83]
	v_fma_f64 v[124:125], v[86:87], v[78:79], -v[124:125]
	v_fmac_f64_e32 v[80:81], v[88:89], v[78:79]
	v_fma_f64 v[78:79], v[86:87], v[82:83], -v[126:127]
	v_fmac_f64_e32 v[84:85], v[88:89], v[82:83]
	v_add_f64_e32 v[32:33], v[32:33], v[40:41]
	v_add_f64_e32 v[36:37], v[90:91], v[36:37]
	;; [unrolled: 1-line block ×8, first 2 shown]
	s_wait_dscnt 0x1
	v_mul_f64_e32 v[94:95], v[6:7], v[52:53]
	v_mul_f64_e32 v[96:97], v[4:5], v[52:53]
	s_wait_dscnt 0x0
	v_mul_f64_e32 v[98:99], v[6:7], v[56:57]
	v_mul_f64_e32 v[100:101], v[4:5], v[56:57]
	;; [unrolled: 1-line block ×6, first 2 shown]
	ds_load_b128 v[20:23], v45 offset:64
	ds_load_b128 v[24:27], v44 offset:2048
	;; [unrolled: 1-line block ×4, first 2 shown]
	v_add_f64_e32 v[32:33], v[32:33], v[102:103]
	v_add_f64_e32 v[36:37], v[104:105], v[36:37]
	;; [unrolled: 1-line block ×8, first 2 shown]
	s_wait_dscnt 0x2
	v_mul_f64_e32 v[102:103], v[22:23], v[26:27]
	v_mul_f64_e32 v[104:105], v[20:21], v[26:27]
	s_wait_dscnt 0x1
	v_mul_f64_e32 v[106:107], v[22:23], v[30:31]
	v_mul_f64_e32 v[108:109], v[20:21], v[30:31]
	;; [unrolled: 3-line block ×3, first 2 shown]
	v_mul_f64_e32 v[26:27], v[60:61], v[30:31]
	v_mul_f64_e32 v[128:129], v[58:59], v[30:31]
	v_fma_f64 v[94:95], v[4:5], v[50:51], -v[94:95]
	v_fmac_f64_e32 v[96:97], v[6:7], v[50:51]
	v_fma_f64 v[98:99], v[4:5], v[54:55], -v[98:99]
	v_fmac_f64_e32 v[100:101], v[6:7], v[54:55]
	;; [unrolled: 2-line block ×4, first 2 shown]
	ds_load_b128 v[62:65], v45 offset:80
	ds_load_b128 v[66:69], v45 offset:2128
	;; [unrolled: 1-line block ×4, first 2 shown]
	v_add_f64_e32 v[54:55], v[32:33], v[116:117]
	v_add_f64_e32 v[36:37], v[118:119], v[36:37]
	;; [unrolled: 1-line block ×8, first 2 shown]
	v_fma_f64 v[102:103], v[20:21], v[24:25], -v[102:103]
	v_fmac_f64_e32 v[104:105], v[22:23], v[24:25]
	v_fma_f64 v[106:107], v[20:21], v[28:29], -v[106:107]
	s_wait_dscnt 0x1
	v_mul_f64_e32 v[88:89], v[64:65], v[72:73]
	v_mul_f64_e32 v[90:91], v[62:63], v[72:73]
	s_wait_dscnt 0x0
	v_mul_f64_e32 v[92:93], v[64:65], v[76:77]
	v_mul_f64_e32 v[116:117], v[62:63], v[76:77]
	;; [unrolled: 1-line block ×6, first 2 shown]
	v_fmac_f64_e32 v[108:109], v[22:23], v[28:29]
	v_fma_f64 v[110:111], v[58:59], v[24:25], -v[110:111]
	v_fmac_f64_e32 v[126:127], v[60:61], v[24:25]
	v_fma_f64 v[122:123], v[58:59], v[28:29], -v[26:27]
	v_fmac_f64_e32 v[128:129], v[60:61], v[28:29]
	ds_load_b128 v[4:7], v45 offset:96
	ds_load_b128 v[30:33], v44 offset:3072
	;; [unrolled: 1-line block ×4, first 2 shown]
	v_add_f64_e32 v[28:29], v[54:55], v[94:95]
	v_add_f64_e32 v[36:37], v[96:97], v[36:37]
	;; [unrolled: 1-line block ×8, first 2 shown]
	ds_load_b128 v[20:23], v45 offset:112
	ds_load_b128 v[24:27], v45 offset:2160
	;; [unrolled: 1-line block ×4, first 2 shown]
	s_wait_dscnt 0x0
	v_mul_f64_e32 v[94:95], v[6:7], v[32:33]
	v_mul_f64_e32 v[96:97], v[4:5], v[32:33]
	;; [unrolled: 1-line block ×8, first 2 shown]
	v_fma_f64 v[88:89], v[62:63], v[70:71], -v[88:89]
	v_fmac_f64_e32 v[90:91], v[64:65], v[70:71]
	v_fma_f64 v[62:63], v[62:63], v[74:75], -v[92:93]
	v_fmac_f64_e32 v[116:117], v[64:65], v[74:75]
	;; [unrolled: 2-line block ×4, first 2 shown]
	s_barrier_signal -1
	s_barrier_wait -1
	v_mul_f64_e32 v[92:93], v[20:21], v[60:61]
	v_add_f64_e32 v[28:29], v[28:29], v[102:103]
	v_add_f64_e32 v[36:37], v[104:105], v[36:37]
	v_add_f64_e32 v[40:41], v[40:41], v[106:107]
	v_add_f64_e32 v[68:69], v[108:109], v[82:83]
	v_add_f64_e32 v[70:71], v[86:87], v[110:111]
	v_add_f64_e32 v[74:75], v[126:127], v[80:81]
	v_add_f64_e32 v[78:79], v[78:79], v[122:123]
	v_add_f64_e32 v[80:81], v[128:129], v[84:85]
	v_mul_f64_e32 v[82:83], v[22:23], v[56:57]
	v_mul_f64_e32 v[84:85], v[20:21], v[56:57]
	;; [unrolled: 1-line block ×7, first 2 shown]
	v_fma_f64 v[94:95], v[4:5], v[30:31], -v[94:95]
	v_fmac_f64_e32 v[96:97], v[6:7], v[30:31]
	v_fma_f64 v[4:5], v[4:5], v[46:47], -v[98:99]
	v_fmac_f64_e32 v[100:101], v[6:7], v[46:47]
	;; [unrolled: 2-line block ×4, first 2 shown]
	v_fmac_f64_e32 v[92:93], v[22:23], v[58:59]
	v_add_f64_e32 v[28:29], v[28:29], v[88:89]
	v_add_f64_e32 v[36:37], v[90:91], v[36:37]
	;; [unrolled: 1-line block ×8, first 2 shown]
	v_fma_f64 v[66:67], v[20:21], v[54:55], -v[82:83]
	v_fmac_f64_e32 v[84:85], v[22:23], v[54:55]
	v_fma_f64 v[20:21], v[20:21], v[58:59], -v[86:87]
	v_fma_f64 v[22:23], v[24:25], v[54:55], -v[102:103]
	v_fmac_f64_e32 v[56:57], v[26:27], v[54:55]
	v_fma_f64 v[54:55], v[24:25], v[58:59], -v[104:105]
	v_fmac_f64_e32 v[60:61], v[26:27], v[58:59]
	v_add_f64_e32 v[24:25], v[28:29], v[94:95]
	v_add_f64_e32 v[26:27], v[96:97], v[36:37]
	;; [unrolled: 1-line block ×16, first 2 shown]
	s_cbranch_vccz .LBB555_14
.LBB555_7:                              ;   Parent Loop BB555_4 Depth=1
                                        ; =>  This Inner Loop Header: Depth=2
	v_add_nc_u64_e32 v[4:5], s[28:29], v[8:9]
	s_delay_alu instid0(VALU_DEP_1) | instskip(SKIP_1) | instid1(SALU_CYCLE_1)
	v_cmp_le_i64_e32 vcc_lo, s[8:9], v[4:5]
	s_or_b32 s34, s33, vcc_lo
	s_and_saveexec_b32 s35, s34
	s_delay_alu instid0(SALU_CYCLE_1)
	s_xor_b32 s34, exec_lo, s35
; %bb.8:                                ;   in Loop: Header=BB555_7 Depth=2
	v_dual_mov_b32 v3, v2 :: v_dual_mov_b32 v4, v2
	v_mov_b32_e32 v5, v2
	ds_store_b128 v42, v[2:5]
; %bb.9:                                ;   in Loop: Header=BB555_7 Depth=2
	s_and_not1_saveexec_b32 s34, s34
	s_cbranch_execz .LBB555_11
; %bb.10:                               ;   in Loop: Header=BB555_7 Depth=2
	global_load_b128 v[4:7], v[38:39], off
	s_wait_loadcnt 0x0
	ds_store_2addr_b64 v42, v[4:5], v[6:7] offset1:1
.LBB555_11:                             ;   in Loop: Header=BB555_7 Depth=2
	s_wait_xcnt 0x0
	s_or_b32 exec_lo, exec_lo, s34
	v_add_nc_u64_e32 v[4:5], s[28:29], v[0:1]
	v_mov_b64_e32 v[6:7], 0
	s_delay_alu instid0(VALU_DEP_2) | instskip(SKIP_2) | instid1(SALU_CYCLE_1)
	v_cmp_gt_i64_e32 vcc_lo, s[8:9], v[4:5]
	v_mov_b64_e32 v[4:5], 0
	s_and_b32 s35, vcc_lo, s0
	s_and_saveexec_b32 s34, s35
	s_cbranch_execz .LBB555_6
; %bb.12:                               ;   in Loop: Header=BB555_7 Depth=2
	global_load_b128 v[4:7], v[34:35], off offset:-8
	s_wait_loadcnt 0x0
	v_xor_b32_e32 v7, 0x80000000, v7
	s_branch .LBB555_6
.LBB555_13:                             ;   in Loop: Header=BB555_4 Depth=1
	v_mov_b64_e32 v[32:33], 0
	v_mov_b64_e32 v[36:37], 0
	;; [unrolled: 1-line block ×8, first 2 shown]
.LBB555_14:                             ;   in Loop: Header=BB555_4 Depth=1
	s_mul_u64 s[28:29], s[26:27], s[24:25]
	s_and_not1_b32 vcc_lo, exec_lo, s31
	s_lshl_b64 s[28:29], s[28:29], 4
	s_mov_b32 s34, -1
	s_add_nc_u64 s[28:29], s[20:21], s[28:29]
	s_cbranch_vccz .LBB555_16
; %bb.15:                               ;   in Loop: Header=BB555_4 Depth=1
	s_and_not1_b32 vcc_lo, exec_lo, s34
	s_cbranch_vccnz .LBB555_3
	s_branch .LBB555_27
.LBB555_16:                             ;   in Loop: Header=BB555_4 Depth=1
	s_and_saveexec_b32 s34, s1
	s_cbranch_execz .LBB555_26
; %bb.17:                               ;   in Loop: Header=BB555_4 Depth=1
	v_lshl_add_u64 v[4:5], v[10:11], 4, s[28:29]
	s_delay_alu instid0(VALU_DEP_1)
	v_lshl_add_u64 v[6:7], v[12:13], 4, v[4:5]
	s_and_saveexec_b32 s35, s2
	s_cbranch_execnz .LBB555_20
; %bb.18:                               ;   in Loop: Header=BB555_4 Depth=1
	s_or_b32 exec_lo, exec_lo, s35
	s_and_saveexec_b32 s35, s3
	s_cbranch_execnz .LBB555_21
.LBB555_19:                             ;   in Loop: Header=BB555_4 Depth=1
	s_or_b32 exec_lo, exec_lo, s35
	s_delay_alu instid0(SALU_CYCLE_1)
	s_and_b32 exec_lo, exec_lo, s4
	s_cbranch_execnz .LBB555_22
	s_branch .LBB555_26
.LBB555_20:                             ;   in Loop: Header=BB555_4 Depth=1
	v_mul_f64_e32 v[34:35], s[12:13], v[36:37]
	v_mul_f64_e32 v[40:41], s[10:11], v[36:37]
	s_delay_alu instid0(VALU_DEP_2) | instskip(NEXT) | instid1(VALU_DEP_2)
	v_fma_f64 v[38:39], s[10:11], v[32:33], -v[34:35]
	v_fmac_f64_e32 v[40:41], s[12:13], v[32:33]
	global_store_b128 v[6:7], v[38:41], off
	s_wait_xcnt 0x0
	s_or_b32 exec_lo, exec_lo, s35
	s_and_saveexec_b32 s35, s3
	s_cbranch_execz .LBB555_19
.LBB555_21:                             ;   in Loop: Header=BB555_4 Depth=1
	v_mul_f64_e32 v[34:35], s[12:13], v[30:31]
	v_mul_f64_e32 v[40:41], s[10:11], v[30:31]
	s_delay_alu instid0(VALU_DEP_2) | instskip(NEXT) | instid1(VALU_DEP_2)
	v_fma_f64 v[38:39], s[10:11], v[28:29], -v[34:35]
	v_fmac_f64_e32 v[40:41], s[12:13], v[28:29]
	global_store_b128 v[6:7], v[38:41], off offset:256
	s_wait_xcnt 0x0
	s_or_b32 exec_lo, exec_lo, s35
	s_delay_alu instid0(SALU_CYCLE_1)
	s_and_b32 exec_lo, exec_lo, s4
	s_cbranch_execz .LBB555_26
.LBB555_22:                             ;   in Loop: Header=BB555_4 Depth=1
	v_lshl_add_u64 v[4:5], s[6:7], 4, v[4:5]
	s_delay_alu instid0(VALU_DEP_1)
	v_lshl_add_u64 v[4:5], v[12:13], 4, v[4:5]
	s_and_saveexec_b32 s35, s2
	s_cbranch_execz .LBB555_24
; %bb.23:                               ;   in Loop: Header=BB555_4 Depth=1
	v_mul_f64_e32 v[6:7], s[12:13], v[26:27]
	v_mul_f64_e32 v[40:41], s[10:11], v[26:27]
	s_delay_alu instid0(VALU_DEP_2) | instskip(NEXT) | instid1(VALU_DEP_2)
	v_fma_f64 v[38:39], s[10:11], v[24:25], -v[6:7]
	v_fmac_f64_e32 v[40:41], s[12:13], v[24:25]
	global_store_b128 v[4:5], v[38:41], off
.LBB555_24:                             ;   in Loop: Header=BB555_4 Depth=1
	s_wait_xcnt 0x0
	s_or_b32 exec_lo, exec_lo, s35
	s_delay_alu instid0(SALU_CYCLE_1)
	s_and_b32 exec_lo, exec_lo, s3
	s_cbranch_execz .LBB555_26
; %bb.25:                               ;   in Loop: Header=BB555_4 Depth=1
	v_mul_f64_e32 v[6:7], s[12:13], v[22:23]
	v_mul_f64_e32 v[40:41], s[10:11], v[22:23]
	s_delay_alu instid0(VALU_DEP_2) | instskip(NEXT) | instid1(VALU_DEP_2)
	v_fma_f64 v[38:39], s[10:11], v[20:21], -v[6:7]
	v_fmac_f64_e32 v[40:41], s[12:13], v[20:21]
	global_store_b128 v[4:5], v[38:41], off offset:256
.LBB555_26:                             ;   in Loop: Header=BB555_4 Depth=1
	s_wait_xcnt 0x0
	s_or_b32 exec_lo, exec_lo, s34
	s_cbranch_execnz .LBB555_3
.LBB555_27:                             ;   in Loop: Header=BB555_4 Depth=1
	s_and_saveexec_b32 s34, s1
	s_cbranch_execz .LBB555_2
; %bb.28:                               ;   in Loop: Header=BB555_4 Depth=1
	s_mul_u64 s[36:37], s[50:51], s[24:25]
	v_lshlrev_b64_e32 v[4:5], 4, v[12:13]
	v_lshl_add_u64 v[6:7], s[36:37], 4, v[14:15]
	v_lshl_add_u64 v[34:35], v[10:11], 4, s[28:29]
	s_delay_alu instid0(VALU_DEP_2) | instskip(NEXT) | instid1(VALU_DEP_2)
	v_add_nc_u64_e32 v[40:41], v[6:7], v[4:5]
	v_add_nc_u64_e32 v[38:39], v[34:35], v[4:5]
	s_and_saveexec_b32 s28, s2
	s_cbranch_execnz .LBB555_31
; %bb.29:                               ;   in Loop: Header=BB555_4 Depth=1
	s_or_b32 exec_lo, exec_lo, s28
	s_and_saveexec_b32 s28, s3
	s_cbranch_execnz .LBB555_32
.LBB555_30:                             ;   in Loop: Header=BB555_4 Depth=1
	s_or_b32 exec_lo, exec_lo, s28
	s_delay_alu instid0(SALU_CYCLE_1)
	s_and_b32 exec_lo, exec_lo, s4
	s_cbranch_execz .LBB555_2
	s_branch .LBB555_33
.LBB555_31:                             ;   in Loop: Header=BB555_4 Depth=1
	global_load_b128 v[46:49], v[40:41], off
	v_mul_f64_e32 v[50:51], s[12:13], v[36:37]
	v_mul_f64_e32 v[36:37], s[10:11], v[36:37]
	s_delay_alu instid0(VALU_DEP_2) | instskip(NEXT) | instid1(VALU_DEP_2)
	v_fma_f64 v[50:51], s[10:11], v[32:33], -v[50:51]
	v_fmac_f64_e32 v[36:37], s[12:13], v[32:33]
	s_wait_loadcnt 0x0
	v_mul_f64_e32 v[52:53], s[44:45], v[48:49]
	v_mul_f64_e32 v[48:49], s[42:43], v[48:49]
	s_delay_alu instid0(VALU_DEP_2) | instskip(NEXT) | instid1(VALU_DEP_2)
	v_fma_f64 v[32:33], s[42:43], v[46:47], -v[52:53]
	v_fmac_f64_e32 v[48:49], s[44:45], v[46:47]
	s_delay_alu instid0(VALU_DEP_2) | instskip(NEXT) | instid1(VALU_DEP_2)
	v_add_f64_e32 v[46:47], v[50:51], v[32:33]
	v_add_f64_e32 v[48:49], v[36:37], v[48:49]
	global_store_b128 v[38:39], v[46:49], off
	s_wait_xcnt 0x0
	s_or_b32 exec_lo, exec_lo, s28
	s_and_saveexec_b32 s28, s3
	s_cbranch_execz .LBB555_30
.LBB555_32:                             ;   in Loop: Header=BB555_4 Depth=1
	global_load_b128 v[46:49], v[40:41], off offset:256
	v_mul_f64_e32 v[32:33], s[12:13], v[30:31]
	v_mul_f64_e32 v[30:31], s[10:11], v[30:31]
	s_delay_alu instid0(VALU_DEP_2) | instskip(NEXT) | instid1(VALU_DEP_2)
	v_fma_f64 v[32:33], s[10:11], v[28:29], -v[32:33]
	v_fmac_f64_e32 v[30:31], s[12:13], v[28:29]
	s_wait_loadcnt 0x0
	v_mul_f64_e32 v[36:37], s[44:45], v[48:49]
	s_wait_xcnt 0x0
	v_mul_f64_e32 v[40:41], s[42:43], v[48:49]
	s_delay_alu instid0(VALU_DEP_2) | instskip(NEXT) | instid1(VALU_DEP_2)
	v_fma_f64 v[28:29], s[42:43], v[46:47], -v[36:37]
	v_fmac_f64_e32 v[40:41], s[44:45], v[46:47]
	s_delay_alu instid0(VALU_DEP_2) | instskip(NEXT) | instid1(VALU_DEP_2)
	v_add_f64_e32 v[28:29], v[32:33], v[28:29]
	v_add_f64_e32 v[30:31], v[30:31], v[40:41]
	global_store_b128 v[38:39], v[28:31], off offset:256
	s_wait_xcnt 0x0
	s_or_b32 exec_lo, exec_lo, s28
	s_delay_alu instid0(SALU_CYCLE_1)
	s_and_b32 exec_lo, exec_lo, s4
	s_cbranch_execz .LBB555_2
.LBB555_33:                             ;   in Loop: Header=BB555_4 Depth=1
	v_lshl_add_u64 v[6:7], s[16:17], 4, v[6:7]
	v_lshl_add_u64 v[28:29], s[6:7], 4, v[34:35]
	s_delay_alu instid0(VALU_DEP_2) | instskip(NEXT) | instid1(VALU_DEP_2)
	v_add_nc_u64_e32 v[6:7], v[6:7], v[4:5]
	v_add_nc_u64_e32 v[4:5], v[28:29], v[4:5]
	s_and_saveexec_b32 s28, s2
	s_cbranch_execz .LBB555_35
; %bb.34:                               ;   in Loop: Header=BB555_4 Depth=1
	global_load_b128 v[28:31], v[6:7], off
	v_mul_f64_e32 v[32:33], s[12:13], v[26:27]
	v_mul_f64_e32 v[26:27], s[10:11], v[26:27]
	s_delay_alu instid0(VALU_DEP_2) | instskip(NEXT) | instid1(VALU_DEP_2)
	v_fma_f64 v[32:33], s[10:11], v[24:25], -v[32:33]
	v_fmac_f64_e32 v[26:27], s[12:13], v[24:25]
	s_wait_loadcnt 0x0
	v_mul_f64_e32 v[34:35], s[44:45], v[30:31]
	v_mul_f64_e32 v[30:31], s[42:43], v[30:31]
	s_delay_alu instid0(VALU_DEP_2) | instskip(NEXT) | instid1(VALU_DEP_2)
	v_fma_f64 v[24:25], s[42:43], v[28:29], -v[34:35]
	v_fmac_f64_e32 v[30:31], s[44:45], v[28:29]
	s_delay_alu instid0(VALU_DEP_2) | instskip(NEXT) | instid1(VALU_DEP_2)
	v_add_f64_e32 v[24:25], v[32:33], v[24:25]
	v_add_f64_e32 v[26:27], v[26:27], v[30:31]
	global_store_b128 v[4:5], v[24:27], off
.LBB555_35:                             ;   in Loop: Header=BB555_4 Depth=1
	s_wait_xcnt 0x0
	s_or_b32 exec_lo, exec_lo, s28
	s_delay_alu instid0(SALU_CYCLE_1)
	s_and_b32 exec_lo, exec_lo, s3
	s_cbranch_execz .LBB555_2
; %bb.36:                               ;   in Loop: Header=BB555_4 Depth=1
	global_load_b128 v[24:27], v[6:7], off offset:256
	s_wait_xcnt 0x0
	v_mul_f64_e32 v[6:7], s[12:13], v[22:23]
	v_mul_f64_e32 v[22:23], s[10:11], v[22:23]
	s_delay_alu instid0(VALU_DEP_2) | instskip(NEXT) | instid1(VALU_DEP_2)
	v_fma_f64 v[6:7], s[10:11], v[20:21], -v[6:7]
	v_fmac_f64_e32 v[22:23], s[12:13], v[20:21]
	s_wait_loadcnt 0x0
	v_mul_f64_e32 v[28:29], s[44:45], v[26:27]
	v_mul_f64_e32 v[26:27], s[42:43], v[26:27]
	s_delay_alu instid0(VALU_DEP_2) | instskip(NEXT) | instid1(VALU_DEP_2)
	v_fma_f64 v[20:21], s[42:43], v[24:25], -v[28:29]
	v_fmac_f64_e32 v[26:27], s[44:45], v[24:25]
	s_delay_alu instid0(VALU_DEP_2) | instskip(NEXT) | instid1(VALU_DEP_2)
	v_add_f64_e32 v[20:21], v[6:7], v[20:21]
	v_add_f64_e32 v[22:23], v[22:23], v[26:27]
	global_store_b128 v[4:5], v[20:23], off offset:256
	s_branch .LBB555_2
.LBB555_37:
	s_sendmsg sendmsg(MSG_DEALLOC_VGPRS)
	s_endpgm
	.section	.rodata,"a",@progbits
	.p2align	6, 0x0
	.amdhsa_kernel _ZN12_GLOBAL__N_135rocblas_gemm_batched_general_kernelI19rocblas_complex_numIdELi16ELi16ELi32ELi32ELi8ELi32ELi8ELi8ELi32ELc84ELc67EKS2_S3_S2_EEvlllT_PT11_llS6_llS4_PT12_llPT13_lli
		.amdhsa_group_segment_fixed_size 8192
		.amdhsa_private_segment_fixed_size 0
		.amdhsa_kernarg_size 156
		.amdhsa_user_sgpr_count 2
		.amdhsa_user_sgpr_dispatch_ptr 0
		.amdhsa_user_sgpr_queue_ptr 0
		.amdhsa_user_sgpr_kernarg_segment_ptr 1
		.amdhsa_user_sgpr_dispatch_id 0
		.amdhsa_user_sgpr_kernarg_preload_length 0
		.amdhsa_user_sgpr_kernarg_preload_offset 0
		.amdhsa_user_sgpr_private_segment_size 0
		.amdhsa_wavefront_size32 1
		.amdhsa_uses_dynamic_stack 0
		.amdhsa_enable_private_segment 0
		.amdhsa_system_sgpr_workgroup_id_x 1
		.amdhsa_system_sgpr_workgroup_id_y 1
		.amdhsa_system_sgpr_workgroup_id_z 1
		.amdhsa_system_sgpr_workgroup_info 0
		.amdhsa_system_vgpr_workitem_id 1
		.amdhsa_next_free_vgpr 132
		.amdhsa_next_free_sgpr 52
		.amdhsa_named_barrier_count 0
		.amdhsa_reserve_vcc 1
		.amdhsa_float_round_mode_32 0
		.amdhsa_float_round_mode_16_64 0
		.amdhsa_float_denorm_mode_32 3
		.amdhsa_float_denorm_mode_16_64 3
		.amdhsa_fp16_overflow 0
		.amdhsa_memory_ordered 1
		.amdhsa_forward_progress 1
		.amdhsa_inst_pref_size 24
		.amdhsa_round_robin_scheduling 0
		.amdhsa_exception_fp_ieee_invalid_op 0
		.amdhsa_exception_fp_denorm_src 0
		.amdhsa_exception_fp_ieee_div_zero 0
		.amdhsa_exception_fp_ieee_overflow 0
		.amdhsa_exception_fp_ieee_underflow 0
		.amdhsa_exception_fp_ieee_inexact 0
		.amdhsa_exception_int_div_zero 0
	.end_amdhsa_kernel
	.section	.text._ZN12_GLOBAL__N_135rocblas_gemm_batched_general_kernelI19rocblas_complex_numIdELi16ELi16ELi32ELi32ELi8ELi32ELi8ELi8ELi32ELc84ELc67EKS2_S3_S2_EEvlllT_PT11_llS6_llS4_PT12_llPT13_lli,"axG",@progbits,_ZN12_GLOBAL__N_135rocblas_gemm_batched_general_kernelI19rocblas_complex_numIdELi16ELi16ELi32ELi32ELi8ELi32ELi8ELi8ELi32ELc84ELc67EKS2_S3_S2_EEvlllT_PT11_llS6_llS4_PT12_llPT13_lli,comdat
.Lfunc_end555:
	.size	_ZN12_GLOBAL__N_135rocblas_gemm_batched_general_kernelI19rocblas_complex_numIdELi16ELi16ELi32ELi32ELi8ELi32ELi8ELi8ELi32ELc84ELc67EKS2_S3_S2_EEvlllT_PT11_llS6_llS4_PT12_llPT13_lli, .Lfunc_end555-_ZN12_GLOBAL__N_135rocblas_gemm_batched_general_kernelI19rocblas_complex_numIdELi16ELi16ELi32ELi32ELi8ELi32ELi8ELi8ELi32ELc84ELc67EKS2_S3_S2_EEvlllT_PT11_llS6_llS4_PT12_llPT13_lli
                                        ; -- End function
	.set _ZN12_GLOBAL__N_135rocblas_gemm_batched_general_kernelI19rocblas_complex_numIdELi16ELi16ELi32ELi32ELi8ELi32ELi8ELi8ELi32ELc84ELc67EKS2_S3_S2_EEvlllT_PT11_llS6_llS4_PT12_llPT13_lli.num_vgpr, 132
	.set _ZN12_GLOBAL__N_135rocblas_gemm_batched_general_kernelI19rocblas_complex_numIdELi16ELi16ELi32ELi32ELi8ELi32ELi8ELi8ELi32ELc84ELc67EKS2_S3_S2_EEvlllT_PT11_llS6_llS4_PT12_llPT13_lli.num_agpr, 0
	.set _ZN12_GLOBAL__N_135rocblas_gemm_batched_general_kernelI19rocblas_complex_numIdELi16ELi16ELi32ELi32ELi8ELi32ELi8ELi8ELi32ELc84ELc67EKS2_S3_S2_EEvlllT_PT11_llS6_llS4_PT12_llPT13_lli.numbered_sgpr, 52
	.set _ZN12_GLOBAL__N_135rocblas_gemm_batched_general_kernelI19rocblas_complex_numIdELi16ELi16ELi32ELi32ELi8ELi32ELi8ELi8ELi32ELc84ELc67EKS2_S3_S2_EEvlllT_PT11_llS6_llS4_PT12_llPT13_lli.num_named_barrier, 0
	.set _ZN12_GLOBAL__N_135rocblas_gemm_batched_general_kernelI19rocblas_complex_numIdELi16ELi16ELi32ELi32ELi8ELi32ELi8ELi8ELi32ELc84ELc67EKS2_S3_S2_EEvlllT_PT11_llS6_llS4_PT12_llPT13_lli.private_seg_size, 0
	.set _ZN12_GLOBAL__N_135rocblas_gemm_batched_general_kernelI19rocblas_complex_numIdELi16ELi16ELi32ELi32ELi8ELi32ELi8ELi8ELi32ELc84ELc67EKS2_S3_S2_EEvlllT_PT11_llS6_llS4_PT12_llPT13_lli.uses_vcc, 1
	.set _ZN12_GLOBAL__N_135rocblas_gemm_batched_general_kernelI19rocblas_complex_numIdELi16ELi16ELi32ELi32ELi8ELi32ELi8ELi8ELi32ELc84ELc67EKS2_S3_S2_EEvlllT_PT11_llS6_llS4_PT12_llPT13_lli.uses_flat_scratch, 0
	.set _ZN12_GLOBAL__N_135rocblas_gemm_batched_general_kernelI19rocblas_complex_numIdELi16ELi16ELi32ELi32ELi8ELi32ELi8ELi8ELi32ELc84ELc67EKS2_S3_S2_EEvlllT_PT11_llS6_llS4_PT12_llPT13_lli.has_dyn_sized_stack, 0
	.set _ZN12_GLOBAL__N_135rocblas_gemm_batched_general_kernelI19rocblas_complex_numIdELi16ELi16ELi32ELi32ELi8ELi32ELi8ELi8ELi32ELc84ELc67EKS2_S3_S2_EEvlllT_PT11_llS6_llS4_PT12_llPT13_lli.has_recursion, 0
	.set _ZN12_GLOBAL__N_135rocblas_gemm_batched_general_kernelI19rocblas_complex_numIdELi16ELi16ELi32ELi32ELi8ELi32ELi8ELi8ELi32ELc84ELc67EKS2_S3_S2_EEvlllT_PT11_llS6_llS4_PT12_llPT13_lli.has_indirect_call, 0
	.section	.AMDGPU.csdata,"",@progbits
; Kernel info:
; codeLenInByte = 3020
; TotalNumSgprs: 54
; NumVgprs: 132
; ScratchSize: 0
; MemoryBound: 1
; FloatMode: 240
; IeeeMode: 1
; LDSByteSize: 8192 bytes/workgroup (compile time only)
; SGPRBlocks: 0
; VGPRBlocks: 8
; NumSGPRsForWavesPerEU: 54
; NumVGPRsForWavesPerEU: 132
; NamedBarCnt: 0
; Occupancy: 7
; WaveLimiterHint : 0
; COMPUTE_PGM_RSRC2:SCRATCH_EN: 0
; COMPUTE_PGM_RSRC2:USER_SGPR: 2
; COMPUTE_PGM_RSRC2:TRAP_HANDLER: 0
; COMPUTE_PGM_RSRC2:TGID_X_EN: 1
; COMPUTE_PGM_RSRC2:TGID_Y_EN: 1
; COMPUTE_PGM_RSRC2:TGID_Z_EN: 1
; COMPUTE_PGM_RSRC2:TIDIG_COMP_CNT: 1
	.section	.AMDGPU.gpr_maximums,"",@progbits
	.set amdgpu.max_num_vgpr, 0
	.set amdgpu.max_num_agpr, 0
	.set amdgpu.max_num_sgpr, 0
	.section	.AMDGPU.csdata,"",@progbits
	.type	__hip_cuid_79e6ff2afa0f3d0,@object ; @__hip_cuid_79e6ff2afa0f3d0
	.section	.bss,"aw",@nobits
	.globl	__hip_cuid_79e6ff2afa0f3d0
__hip_cuid_79e6ff2afa0f3d0:
	.byte	0                               ; 0x0
	.size	__hip_cuid_79e6ff2afa0f3d0, 1

	.ident	"AMD clang version 22.0.0git (https://github.com/RadeonOpenCompute/llvm-project roc-7.2.4 26084 f58b06dce1f9c15707c5f808fd002e18c2accf7e)"
	.section	".note.GNU-stack","",@progbits
	.addrsig
	.addrsig_sym __hip_cuid_79e6ff2afa0f3d0
	.amdgpu_metadata
---
amdhsa.kernels:
  - .args:
      - .offset:         0
        .size:           4
        .value_kind:     by_value
      - .offset:         4
        .size:           4
        .value_kind:     by_value
      - .offset:         8
        .size:           8
        .value_kind:     by_value
      - .address_space:  global
        .offset:         16
        .size:           8
        .value_kind:     global_buffer
      - .offset:         24
        .size:           8
        .value_kind:     by_value
      - .offset:         32
        .size:           8
        .value_kind:     by_value
      - .offset:         40
        .size:           8
        .value_kind:     by_value
      - .address_space:  global
        .offset:         48
        .size:           8
        .value_kind:     global_buffer
      - .offset:         56
        .size:           8
        .value_kind:     by_value
      - .offset:         64
        .size:           8
        .value_kind:     by_value
      - .offset:         72
        .size:           8
        .value_kind:     by_value
      - .offset:         80
        .size:           4
        .value_kind:     by_value
    .group_segment_fixed_size: 0
    .kernarg_segment_align: 8
    .kernarg_segment_size: 84
    .language:       OpenCL C
    .language_version:
      - 2
      - 0
    .max_flat_workgroup_size: 1024
    .name:           _ZN12_GLOBAL__N_120gemm_ex_scale_kernelILi32ELi32EdPKPKdPKPdEEviiT1_T2_lllT3_llli
    .private_segment_fixed_size: 0
    .sgpr_count:     23
    .sgpr_spill_count: 0
    .symbol:         _ZN12_GLOBAL__N_120gemm_ex_scale_kernelILi32ELi32EdPKPKdPKPdEEviiT1_T2_lllT3_llli.kd
    .uniform_work_group_size: 1
    .uses_dynamic_stack: false
    .vgpr_count:     10
    .vgpr_spill_count: 0
    .wavefront_size: 32
  - .args:
      - .offset:         0
        .size:           8
        .value_kind:     by_value
      - .offset:         8
        .size:           8
        .value_kind:     by_value
      - .offset:         16
        .size:           8
        .value_kind:     by_value
      - .offset:         24
        .size:           8
        .value_kind:     by_value
      - .address_space:  global
        .offset:         32
        .size:           8
        .value_kind:     global_buffer
      - .offset:         40
        .size:           8
        .value_kind:     by_value
      - .offset:         48
        .size:           8
        .value_kind:     by_value
      - .address_space:  global
        .offset:         56
        .size:           8
        .value_kind:     global_buffer
      - .offset:         64
        .size:           8
        .value_kind:     by_value
      - .offset:         72
        .size:           8
        .value_kind:     by_value
      - .offset:         80
        .size:           8
        .value_kind:     by_value
      - .address_space:  global
        .offset:         88
        .size:           8
        .value_kind:     global_buffer
      - .offset:         96
        .size:           8
        .value_kind:     by_value
      - .offset:         104
        .size:           8
        .value_kind:     by_value
      - .address_space:  global
        .offset:         112
        .size:           8
        .value_kind:     global_buffer
      - .offset:         120
        .size:           8
        .value_kind:     by_value
      - .offset:         128
        .size:           8
        .value_kind:     by_value
      - .offset:         136
        .size:           4
        .value_kind:     by_value
    .group_segment_fixed_size: 4096
    .kernarg_segment_align: 8
    .kernarg_segment_size: 140
    .language:       OpenCL C
    .language_version:
      - 2
      - 0
    .max_flat_workgroup_size: 256
    .name:           _ZN12_GLOBAL__N_127rocblas_gemm_batched_kernelIdLi16ELi16ELi64ELi64ELi4ELi64ELi4ELi4ELi64ELc78ELc78EKPKdS3_KPdEEvlllT_PT11_llS8_llS6_PT12_llPT13_lli
    .private_segment_fixed_size: 0
    .sgpr_count:     46
    .sgpr_spill_count: 0
    .symbol:         _ZN12_GLOBAL__N_127rocblas_gemm_batched_kernelIdLi16ELi16ELi64ELi64ELi4ELi64ELi4ELi4ELi64ELc78ELc78EKPKdS3_KPdEEvlllT_PT11_llS8_llS6_PT12_llPT13_lli.kd
    .uniform_work_group_size: 1
    .uses_dynamic_stack: false
    .vgpr_count:     100
    .vgpr_spill_count: 0
    .wavefront_size: 32
  - .args:
      - .offset:         0
        .size:           8
        .value_kind:     by_value
      - .offset:         8
        .size:           8
        .value_kind:     by_value
      - .offset:         16
        .size:           8
        .value_kind:     by_value
      - .offset:         24
        .size:           8
        .value_kind:     by_value
      - .address_space:  global
        .offset:         32
        .size:           8
        .value_kind:     global_buffer
      - .offset:         40
        .size:           8
        .value_kind:     by_value
      - .offset:         48
        .size:           8
        .value_kind:     by_value
      - .address_space:  global
        .offset:         56
        .size:           8
        .value_kind:     global_buffer
      - .offset:         64
        .size:           8
        .value_kind:     by_value
      - .offset:         72
        .size:           8
        .value_kind:     by_value
      - .offset:         80
        .size:           8
        .value_kind:     by_value
      - .address_space:  global
        .offset:         88
        .size:           8
        .value_kind:     global_buffer
      - .offset:         96
        .size:           8
        .value_kind:     by_value
      - .offset:         104
        .size:           8
        .value_kind:     by_value
      - .address_space:  global
        .offset:         112
        .size:           8
        .value_kind:     global_buffer
      - .offset:         120
        .size:           8
        .value_kind:     by_value
      - .offset:         128
        .size:           8
        .value_kind:     by_value
      - .offset:         136
        .size:           4
        .value_kind:     by_value
    .group_segment_fixed_size: 4096
    .kernarg_segment_align: 8
    .kernarg_segment_size: 140
    .language:       OpenCL C
    .language_version:
      - 2
      - 0
    .max_flat_workgroup_size: 256
    .name:           _ZN12_GLOBAL__N_127rocblas_gemm_batched_kernelIdLi16ELi16ELi64ELi64ELi4ELi64ELi4ELi4ELi64ELc84ELc78EKPKdS3_KPdEEvlllT_PT11_llS8_llS6_PT12_llPT13_lli
    .private_segment_fixed_size: 0
    .sgpr_count:     46
    .sgpr_spill_count: 0
    .symbol:         _ZN12_GLOBAL__N_127rocblas_gemm_batched_kernelIdLi16ELi16ELi64ELi64ELi4ELi64ELi4ELi4ELi64ELc84ELc78EKPKdS3_KPdEEvlllT_PT11_llS8_llS6_PT12_llPT13_lli.kd
    .uniform_work_group_size: 1
    .uses_dynamic_stack: false
    .vgpr_count:     100
    .vgpr_spill_count: 0
    .wavefront_size: 32
  - .args:
      - .offset:         0
        .size:           8
        .value_kind:     by_value
      - .offset:         8
        .size:           8
        .value_kind:     by_value
      - .offset:         16
        .size:           8
        .value_kind:     by_value
      - .offset:         24
        .size:           8
        .value_kind:     by_value
      - .address_space:  global
        .offset:         32
        .size:           8
        .value_kind:     global_buffer
      - .offset:         40
        .size:           8
        .value_kind:     by_value
      - .offset:         48
        .size:           8
        .value_kind:     by_value
      - .address_space:  global
        .offset:         56
        .size:           8
        .value_kind:     global_buffer
      - .offset:         64
        .size:           8
        .value_kind:     by_value
      - .offset:         72
        .size:           8
        .value_kind:     by_value
      - .offset:         80
        .size:           8
        .value_kind:     by_value
      - .address_space:  global
        .offset:         88
        .size:           8
        .value_kind:     global_buffer
      - .offset:         96
        .size:           8
        .value_kind:     by_value
      - .offset:         104
        .size:           8
        .value_kind:     by_value
      - .address_space:  global
        .offset:         112
        .size:           8
        .value_kind:     global_buffer
      - .offset:         120
        .size:           8
        .value_kind:     by_value
      - .offset:         128
        .size:           8
        .value_kind:     by_value
      - .offset:         136
        .size:           4
        .value_kind:     by_value
    .group_segment_fixed_size: 4096
    .kernarg_segment_align: 8
    .kernarg_segment_size: 140
    .language:       OpenCL C
    .language_version:
      - 2
      - 0
    .max_flat_workgroup_size: 256
    .name:           _ZN12_GLOBAL__N_127rocblas_gemm_batched_kernelIdLi16ELi16ELi64ELi64ELi4ELi64ELi4ELi4ELi64ELc78ELc84EKPKdS3_KPdEEvlllT_PT11_llS8_llS6_PT12_llPT13_lli
    .private_segment_fixed_size: 0
    .sgpr_count:     46
    .sgpr_spill_count: 0
    .symbol:         _ZN12_GLOBAL__N_127rocblas_gemm_batched_kernelIdLi16ELi16ELi64ELi64ELi4ELi64ELi4ELi4ELi64ELc78ELc84EKPKdS3_KPdEEvlllT_PT11_llS8_llS6_PT12_llPT13_lli.kd
    .uniform_work_group_size: 1
    .uses_dynamic_stack: false
    .vgpr_count:     100
    .vgpr_spill_count: 0
    .wavefront_size: 32
  - .args:
      - .offset:         0
        .size:           8
        .value_kind:     by_value
      - .offset:         8
        .size:           8
        .value_kind:     by_value
      - .offset:         16
        .size:           8
        .value_kind:     by_value
      - .offset:         24
        .size:           8
        .value_kind:     by_value
      - .address_space:  global
        .offset:         32
        .size:           8
        .value_kind:     global_buffer
      - .offset:         40
        .size:           8
        .value_kind:     by_value
      - .offset:         48
        .size:           8
        .value_kind:     by_value
      - .address_space:  global
        .offset:         56
        .size:           8
        .value_kind:     global_buffer
      - .offset:         64
        .size:           8
        .value_kind:     by_value
      - .offset:         72
        .size:           8
        .value_kind:     by_value
      - .offset:         80
        .size:           8
        .value_kind:     by_value
      - .address_space:  global
        .offset:         88
        .size:           8
        .value_kind:     global_buffer
      - .offset:         96
        .size:           8
        .value_kind:     by_value
      - .offset:         104
        .size:           8
        .value_kind:     by_value
      - .address_space:  global
        .offset:         112
        .size:           8
        .value_kind:     global_buffer
      - .offset:         120
        .size:           8
        .value_kind:     by_value
      - .offset:         128
        .size:           8
        .value_kind:     by_value
      - .offset:         136
        .size:           4
        .value_kind:     by_value
    .group_segment_fixed_size: 4096
    .kernarg_segment_align: 8
    .kernarg_segment_size: 140
    .language:       OpenCL C
    .language_version:
      - 2
      - 0
    .max_flat_workgroup_size: 256
    .name:           _ZN12_GLOBAL__N_127rocblas_gemm_batched_kernelIdLi16ELi16ELi64ELi64ELi4ELi64ELi4ELi4ELi64ELc84ELc84EKPKdS3_KPdEEvlllT_PT11_llS8_llS6_PT12_llPT13_lli
    .private_segment_fixed_size: 0
    .sgpr_count:     46
    .sgpr_spill_count: 0
    .symbol:         _ZN12_GLOBAL__N_127rocblas_gemm_batched_kernelIdLi16ELi16ELi64ELi64ELi4ELi64ELi4ELi4ELi64ELc84ELc84EKPKdS3_KPdEEvlllT_PT11_llS8_llS6_PT12_llPT13_lli.kd
    .uniform_work_group_size: 1
    .uses_dynamic_stack: false
    .vgpr_count:     100
    .vgpr_spill_count: 0
    .wavefront_size: 32
  - .args:
      - .offset:         0
        .size:           8
        .value_kind:     by_value
      - .offset:         8
        .size:           8
        .value_kind:     by_value
      - .offset:         16
        .size:           8
        .value_kind:     by_value
      - .offset:         24
        .size:           8
        .value_kind:     by_value
      - .address_space:  global
        .offset:         32
        .size:           8
        .value_kind:     global_buffer
      - .offset:         40
        .size:           8
        .value_kind:     by_value
      - .offset:         48
        .size:           8
        .value_kind:     by_value
      - .address_space:  global
        .offset:         56
        .size:           8
        .value_kind:     global_buffer
      - .offset:         64
        .size:           8
        .value_kind:     by_value
      - .offset:         72
        .size:           8
        .value_kind:     by_value
      - .offset:         80
        .size:           8
        .value_kind:     by_value
      - .address_space:  global
        .offset:         88
        .size:           8
        .value_kind:     global_buffer
      - .offset:         96
        .size:           8
        .value_kind:     by_value
      - .offset:         104
        .size:           8
        .value_kind:     by_value
      - .address_space:  global
        .offset:         112
        .size:           8
        .value_kind:     global_buffer
      - .offset:         120
        .size:           8
        .value_kind:     by_value
      - .offset:         128
        .size:           8
        .value_kind:     by_value
      - .offset:         136
        .size:           4
        .value_kind:     by_value
    .group_segment_fixed_size: 4096
    .kernarg_segment_align: 8
    .kernarg_segment_size: 140
    .language:       OpenCL C
    .language_version:
      - 2
      - 0
    .max_flat_workgroup_size: 256
    .name:           _ZN12_GLOBAL__N_127rocblas_gemm_batched_kernelIdLi16ELi16ELi64ELi64ELi4ELi64ELi4ELi4ELi64ELc67ELc67EKPKdS3_KPdEEvlllT_PT11_llS8_llS6_PT12_llPT13_lli
    .private_segment_fixed_size: 0
    .sgpr_count:     46
    .sgpr_spill_count: 0
    .symbol:         _ZN12_GLOBAL__N_127rocblas_gemm_batched_kernelIdLi16ELi16ELi64ELi64ELi4ELi64ELi4ELi4ELi64ELc67ELc67EKPKdS3_KPdEEvlllT_PT11_llS8_llS6_PT12_llPT13_lli.kd
    .uniform_work_group_size: 1
    .uses_dynamic_stack: false
    .vgpr_count:     100
    .vgpr_spill_count: 0
    .wavefront_size: 32
  - .args:
      - .offset:         0
        .size:           8
        .value_kind:     by_value
      - .offset:         8
        .size:           8
        .value_kind:     by_value
      - .offset:         16
        .size:           8
        .value_kind:     by_value
      - .offset:         24
        .size:           8
        .value_kind:     by_value
      - .address_space:  global
        .offset:         32
        .size:           8
        .value_kind:     global_buffer
      - .offset:         40
        .size:           8
        .value_kind:     by_value
      - .offset:         48
        .size:           8
        .value_kind:     by_value
      - .address_space:  global
        .offset:         56
        .size:           8
        .value_kind:     global_buffer
      - .offset:         64
        .size:           8
        .value_kind:     by_value
      - .offset:         72
        .size:           8
        .value_kind:     by_value
      - .offset:         80
        .size:           8
        .value_kind:     by_value
      - .address_space:  global
        .offset:         88
        .size:           8
        .value_kind:     global_buffer
      - .offset:         96
        .size:           8
        .value_kind:     by_value
      - .offset:         104
        .size:           8
        .value_kind:     by_value
      - .address_space:  global
        .offset:         112
        .size:           8
        .value_kind:     global_buffer
      - .offset:         120
        .size:           8
        .value_kind:     by_value
      - .offset:         128
        .size:           8
        .value_kind:     by_value
      - .offset:         136
        .size:           4
        .value_kind:     by_value
    .group_segment_fixed_size: 4096
    .kernarg_segment_align: 8
    .kernarg_segment_size: 140
    .language:       OpenCL C
    .language_version:
      - 2
      - 0
    .max_flat_workgroup_size: 256
    .name:           _ZN12_GLOBAL__N_127rocblas_gemm_batched_kernelIdLi16ELi16ELi64ELi64ELi4ELi64ELi4ELi4ELi64ELc67ELc78EKPKdS3_KPdEEvlllT_PT11_llS8_llS6_PT12_llPT13_lli
    .private_segment_fixed_size: 0
    .sgpr_count:     46
    .sgpr_spill_count: 0
    .symbol:         _ZN12_GLOBAL__N_127rocblas_gemm_batched_kernelIdLi16ELi16ELi64ELi64ELi4ELi64ELi4ELi4ELi64ELc67ELc78EKPKdS3_KPdEEvlllT_PT11_llS8_llS6_PT12_llPT13_lli.kd
    .uniform_work_group_size: 1
    .uses_dynamic_stack: false
    .vgpr_count:     100
    .vgpr_spill_count: 0
    .wavefront_size: 32
  - .args:
      - .offset:         0
        .size:           8
        .value_kind:     by_value
      - .offset:         8
        .size:           8
        .value_kind:     by_value
      - .offset:         16
        .size:           8
        .value_kind:     by_value
      - .offset:         24
        .size:           8
        .value_kind:     by_value
      - .address_space:  global
        .offset:         32
        .size:           8
        .value_kind:     global_buffer
      - .offset:         40
        .size:           8
        .value_kind:     by_value
      - .offset:         48
        .size:           8
        .value_kind:     by_value
      - .address_space:  global
        .offset:         56
        .size:           8
        .value_kind:     global_buffer
      - .offset:         64
        .size:           8
        .value_kind:     by_value
      - .offset:         72
        .size:           8
        .value_kind:     by_value
      - .offset:         80
        .size:           8
        .value_kind:     by_value
      - .address_space:  global
        .offset:         88
        .size:           8
        .value_kind:     global_buffer
      - .offset:         96
        .size:           8
        .value_kind:     by_value
      - .offset:         104
        .size:           8
        .value_kind:     by_value
      - .address_space:  global
        .offset:         112
        .size:           8
        .value_kind:     global_buffer
      - .offset:         120
        .size:           8
        .value_kind:     by_value
      - .offset:         128
        .size:           8
        .value_kind:     by_value
      - .offset:         136
        .size:           4
        .value_kind:     by_value
    .group_segment_fixed_size: 4096
    .kernarg_segment_align: 8
    .kernarg_segment_size: 140
    .language:       OpenCL C
    .language_version:
      - 2
      - 0
    .max_flat_workgroup_size: 256
    .name:           _ZN12_GLOBAL__N_127rocblas_gemm_batched_kernelIdLi16ELi16ELi64ELi64ELi4ELi64ELi4ELi4ELi64ELc67ELc84EKPKdS3_KPdEEvlllT_PT11_llS8_llS6_PT12_llPT13_lli
    .private_segment_fixed_size: 0
    .sgpr_count:     46
    .sgpr_spill_count: 0
    .symbol:         _ZN12_GLOBAL__N_127rocblas_gemm_batched_kernelIdLi16ELi16ELi64ELi64ELi4ELi64ELi4ELi4ELi64ELc67ELc84EKPKdS3_KPdEEvlllT_PT11_llS8_llS6_PT12_llPT13_lli.kd
    .uniform_work_group_size: 1
    .uses_dynamic_stack: false
    .vgpr_count:     100
    .vgpr_spill_count: 0
    .wavefront_size: 32
  - .args:
      - .offset:         0
        .size:           8
        .value_kind:     by_value
      - .offset:         8
        .size:           8
        .value_kind:     by_value
      - .offset:         16
        .size:           8
        .value_kind:     by_value
      - .offset:         24
        .size:           8
        .value_kind:     by_value
      - .address_space:  global
        .offset:         32
        .size:           8
        .value_kind:     global_buffer
      - .offset:         40
        .size:           8
        .value_kind:     by_value
      - .offset:         48
        .size:           8
        .value_kind:     by_value
      - .address_space:  global
        .offset:         56
        .size:           8
        .value_kind:     global_buffer
      - .offset:         64
        .size:           8
        .value_kind:     by_value
      - .offset:         72
        .size:           8
        .value_kind:     by_value
      - .offset:         80
        .size:           8
        .value_kind:     by_value
      - .address_space:  global
        .offset:         88
        .size:           8
        .value_kind:     global_buffer
      - .offset:         96
        .size:           8
        .value_kind:     by_value
      - .offset:         104
        .size:           8
        .value_kind:     by_value
      - .address_space:  global
        .offset:         112
        .size:           8
        .value_kind:     global_buffer
      - .offset:         120
        .size:           8
        .value_kind:     by_value
      - .offset:         128
        .size:           8
        .value_kind:     by_value
      - .offset:         136
        .size:           4
        .value_kind:     by_value
    .group_segment_fixed_size: 4096
    .kernarg_segment_align: 8
    .kernarg_segment_size: 140
    .language:       OpenCL C
    .language_version:
      - 2
      - 0
    .max_flat_workgroup_size: 256
    .name:           _ZN12_GLOBAL__N_127rocblas_gemm_batched_kernelIdLi16ELi16ELi64ELi64ELi4ELi64ELi4ELi4ELi64ELc78ELc67EKPKdS3_KPdEEvlllT_PT11_llS8_llS6_PT12_llPT13_lli
    .private_segment_fixed_size: 0
    .sgpr_count:     46
    .sgpr_spill_count: 0
    .symbol:         _ZN12_GLOBAL__N_127rocblas_gemm_batched_kernelIdLi16ELi16ELi64ELi64ELi4ELi64ELi4ELi4ELi64ELc78ELc67EKPKdS3_KPdEEvlllT_PT11_llS8_llS6_PT12_llPT13_lli.kd
    .uniform_work_group_size: 1
    .uses_dynamic_stack: false
    .vgpr_count:     100
    .vgpr_spill_count: 0
    .wavefront_size: 32
  - .args:
      - .offset:         0
        .size:           8
        .value_kind:     by_value
      - .offset:         8
        .size:           8
        .value_kind:     by_value
      - .offset:         16
        .size:           8
        .value_kind:     by_value
      - .offset:         24
        .size:           8
        .value_kind:     by_value
      - .address_space:  global
        .offset:         32
        .size:           8
        .value_kind:     global_buffer
      - .offset:         40
        .size:           8
        .value_kind:     by_value
      - .offset:         48
        .size:           8
        .value_kind:     by_value
      - .address_space:  global
        .offset:         56
        .size:           8
        .value_kind:     global_buffer
      - .offset:         64
        .size:           8
        .value_kind:     by_value
      - .offset:         72
        .size:           8
        .value_kind:     by_value
      - .offset:         80
        .size:           8
        .value_kind:     by_value
      - .address_space:  global
        .offset:         88
        .size:           8
        .value_kind:     global_buffer
      - .offset:         96
        .size:           8
        .value_kind:     by_value
      - .offset:         104
        .size:           8
        .value_kind:     by_value
      - .address_space:  global
        .offset:         112
        .size:           8
        .value_kind:     global_buffer
      - .offset:         120
        .size:           8
        .value_kind:     by_value
      - .offset:         128
        .size:           8
        .value_kind:     by_value
      - .offset:         136
        .size:           4
        .value_kind:     by_value
    .group_segment_fixed_size: 4096
    .kernarg_segment_align: 8
    .kernarg_segment_size: 140
    .language:       OpenCL C
    .language_version:
      - 2
      - 0
    .max_flat_workgroup_size: 256
    .name:           _ZN12_GLOBAL__N_127rocblas_gemm_batched_kernelIdLi16ELi16ELi64ELi64ELi4ELi64ELi4ELi4ELi64ELc84ELc67EKPKdS3_KPdEEvlllT_PT11_llS8_llS6_PT12_llPT13_lli
    .private_segment_fixed_size: 0
    .sgpr_count:     46
    .sgpr_spill_count: 0
    .symbol:         _ZN12_GLOBAL__N_127rocblas_gemm_batched_kernelIdLi16ELi16ELi64ELi64ELi4ELi64ELi4ELi4ELi64ELc84ELc67EKPKdS3_KPdEEvlllT_PT11_llS8_llS6_PT12_llPT13_lli.kd
    .uniform_work_group_size: 1
    .uses_dynamic_stack: false
    .vgpr_count:     100
    .vgpr_spill_count: 0
    .wavefront_size: 32
  - .args:
      - .offset:         0
        .size:           8
        .value_kind:     by_value
      - .offset:         8
        .size:           8
        .value_kind:     by_value
      - .offset:         16
        .size:           8
        .value_kind:     by_value
      - .offset:         24
        .size:           8
        .value_kind:     by_value
      - .address_space:  global
        .offset:         32
        .size:           8
        .value_kind:     global_buffer
      - .offset:         40
        .size:           8
        .value_kind:     by_value
      - .offset:         48
        .size:           8
        .value_kind:     by_value
      - .address_space:  global
        .offset:         56
        .size:           8
        .value_kind:     global_buffer
      - .offset:         64
        .size:           8
        .value_kind:     by_value
      - .offset:         72
        .size:           8
        .value_kind:     by_value
      - .offset:         80
        .size:           8
        .value_kind:     by_value
      - .address_space:  global
        .offset:         88
        .size:           8
        .value_kind:     global_buffer
      - .offset:         96
        .size:           8
        .value_kind:     by_value
      - .offset:         104
        .size:           8
        .value_kind:     by_value
      - .address_space:  global
        .offset:         112
        .size:           8
        .value_kind:     global_buffer
      - .offset:         120
        .size:           8
        .value_kind:     by_value
      - .offset:         128
        .size:           8
        .value_kind:     by_value
      - .offset:         136
        .size:           4
        .value_kind:     by_value
    .group_segment_fixed_size: 4096
    .kernarg_segment_align: 8
    .kernarg_segment_size: 140
    .language:       OpenCL C
    .language_version:
      - 2
      - 0
    .max_flat_workgroup_size: 256
    .name:           _ZN12_GLOBAL__N_127rocblas_gemm_batched_kernelIdLi16ELi16ELi32ELi32ELi8ELi32ELi8ELi8ELi32ELc78ELc78EKPKdS3_KPdEEvlllT_PT11_llS8_llS6_PT12_llPT13_lli
    .private_segment_fixed_size: 0
    .sgpr_count:     46
    .sgpr_spill_count: 0
    .symbol:         _ZN12_GLOBAL__N_127rocblas_gemm_batched_kernelIdLi16ELi16ELi32ELi32ELi8ELi32ELi8ELi8ELi32ELc78ELc78EKPKdS3_KPdEEvlllT_PT11_llS8_llS6_PT12_llPT13_lli.kd
    .uniform_work_group_size: 1
    .uses_dynamic_stack: false
    .vgpr_count:     52
    .vgpr_spill_count: 0
    .wavefront_size: 32
  - .args:
      - .offset:         0
        .size:           8
        .value_kind:     by_value
      - .offset:         8
        .size:           8
        .value_kind:     by_value
      - .offset:         16
        .size:           8
        .value_kind:     by_value
      - .offset:         24
        .size:           8
        .value_kind:     by_value
      - .address_space:  global
        .offset:         32
        .size:           8
        .value_kind:     global_buffer
      - .offset:         40
        .size:           8
        .value_kind:     by_value
      - .offset:         48
        .size:           8
        .value_kind:     by_value
      - .address_space:  global
        .offset:         56
        .size:           8
        .value_kind:     global_buffer
      - .offset:         64
        .size:           8
        .value_kind:     by_value
      - .offset:         72
        .size:           8
        .value_kind:     by_value
      - .offset:         80
        .size:           8
        .value_kind:     by_value
      - .address_space:  global
        .offset:         88
        .size:           8
        .value_kind:     global_buffer
      - .offset:         96
        .size:           8
        .value_kind:     by_value
      - .offset:         104
        .size:           8
        .value_kind:     by_value
      - .address_space:  global
        .offset:         112
        .size:           8
        .value_kind:     global_buffer
      - .offset:         120
        .size:           8
        .value_kind:     by_value
      - .offset:         128
        .size:           8
        .value_kind:     by_value
      - .offset:         136
        .size:           4
        .value_kind:     by_value
    .group_segment_fixed_size: 4096
    .kernarg_segment_align: 8
    .kernarg_segment_size: 140
    .language:       OpenCL C
    .language_version:
      - 2
      - 0
    .max_flat_workgroup_size: 256
    .name:           _ZN12_GLOBAL__N_127rocblas_gemm_batched_kernelIdLi16ELi16ELi32ELi32ELi8ELi32ELi8ELi8ELi32ELc84ELc78EKPKdS3_KPdEEvlllT_PT11_llS8_llS6_PT12_llPT13_lli
    .private_segment_fixed_size: 0
    .sgpr_count:     46
    .sgpr_spill_count: 0
    .symbol:         _ZN12_GLOBAL__N_127rocblas_gemm_batched_kernelIdLi16ELi16ELi32ELi32ELi8ELi32ELi8ELi8ELi32ELc84ELc78EKPKdS3_KPdEEvlllT_PT11_llS8_llS6_PT12_llPT13_lli.kd
    .uniform_work_group_size: 1
    .uses_dynamic_stack: false
    .vgpr_count:     52
    .vgpr_spill_count: 0
    .wavefront_size: 32
  - .args:
      - .offset:         0
        .size:           8
        .value_kind:     by_value
      - .offset:         8
        .size:           8
        .value_kind:     by_value
      - .offset:         16
        .size:           8
        .value_kind:     by_value
      - .offset:         24
        .size:           8
        .value_kind:     by_value
      - .address_space:  global
        .offset:         32
        .size:           8
        .value_kind:     global_buffer
      - .offset:         40
        .size:           8
        .value_kind:     by_value
      - .offset:         48
        .size:           8
        .value_kind:     by_value
      - .address_space:  global
        .offset:         56
        .size:           8
        .value_kind:     global_buffer
      - .offset:         64
        .size:           8
        .value_kind:     by_value
      - .offset:         72
        .size:           8
        .value_kind:     by_value
      - .offset:         80
        .size:           8
        .value_kind:     by_value
      - .address_space:  global
        .offset:         88
        .size:           8
        .value_kind:     global_buffer
      - .offset:         96
        .size:           8
        .value_kind:     by_value
      - .offset:         104
        .size:           8
        .value_kind:     by_value
      - .address_space:  global
        .offset:         112
        .size:           8
        .value_kind:     global_buffer
      - .offset:         120
        .size:           8
        .value_kind:     by_value
      - .offset:         128
        .size:           8
        .value_kind:     by_value
      - .offset:         136
        .size:           4
        .value_kind:     by_value
    .group_segment_fixed_size: 4096
    .kernarg_segment_align: 8
    .kernarg_segment_size: 140
    .language:       OpenCL C
    .language_version:
      - 2
      - 0
    .max_flat_workgroup_size: 256
    .name:           _ZN12_GLOBAL__N_127rocblas_gemm_batched_kernelIdLi16ELi16ELi32ELi32ELi8ELi32ELi8ELi8ELi32ELc78ELc84EKPKdS3_KPdEEvlllT_PT11_llS8_llS6_PT12_llPT13_lli
    .private_segment_fixed_size: 0
    .sgpr_count:     46
    .sgpr_spill_count: 0
    .symbol:         _ZN12_GLOBAL__N_127rocblas_gemm_batched_kernelIdLi16ELi16ELi32ELi32ELi8ELi32ELi8ELi8ELi32ELc78ELc84EKPKdS3_KPdEEvlllT_PT11_llS8_llS6_PT12_llPT13_lli.kd
    .uniform_work_group_size: 1
    .uses_dynamic_stack: false
    .vgpr_count:     52
    .vgpr_spill_count: 0
    .wavefront_size: 32
  - .args:
      - .offset:         0
        .size:           8
        .value_kind:     by_value
      - .offset:         8
        .size:           8
        .value_kind:     by_value
      - .offset:         16
        .size:           8
        .value_kind:     by_value
      - .offset:         24
        .size:           8
        .value_kind:     by_value
      - .address_space:  global
        .offset:         32
        .size:           8
        .value_kind:     global_buffer
      - .offset:         40
        .size:           8
        .value_kind:     by_value
      - .offset:         48
        .size:           8
        .value_kind:     by_value
      - .address_space:  global
        .offset:         56
        .size:           8
        .value_kind:     global_buffer
      - .offset:         64
        .size:           8
        .value_kind:     by_value
      - .offset:         72
        .size:           8
        .value_kind:     by_value
      - .offset:         80
        .size:           8
        .value_kind:     by_value
      - .address_space:  global
        .offset:         88
        .size:           8
        .value_kind:     global_buffer
      - .offset:         96
        .size:           8
        .value_kind:     by_value
      - .offset:         104
        .size:           8
        .value_kind:     by_value
      - .address_space:  global
        .offset:         112
        .size:           8
        .value_kind:     global_buffer
      - .offset:         120
        .size:           8
        .value_kind:     by_value
      - .offset:         128
        .size:           8
        .value_kind:     by_value
      - .offset:         136
        .size:           4
        .value_kind:     by_value
    .group_segment_fixed_size: 4096
    .kernarg_segment_align: 8
    .kernarg_segment_size: 140
    .language:       OpenCL C
    .language_version:
      - 2
      - 0
    .max_flat_workgroup_size: 256
    .name:           _ZN12_GLOBAL__N_127rocblas_gemm_batched_kernelIdLi16ELi16ELi32ELi32ELi8ELi32ELi8ELi8ELi32ELc84ELc84EKPKdS3_KPdEEvlllT_PT11_llS8_llS6_PT12_llPT13_lli
    .private_segment_fixed_size: 0
    .sgpr_count:     46
    .sgpr_spill_count: 0
    .symbol:         _ZN12_GLOBAL__N_127rocblas_gemm_batched_kernelIdLi16ELi16ELi32ELi32ELi8ELi32ELi8ELi8ELi32ELc84ELc84EKPKdS3_KPdEEvlllT_PT11_llS8_llS6_PT12_llPT13_lli.kd
    .uniform_work_group_size: 1
    .uses_dynamic_stack: false
    .vgpr_count:     52
    .vgpr_spill_count: 0
    .wavefront_size: 32
  - .args:
      - .offset:         0
        .size:           8
        .value_kind:     by_value
      - .offset:         8
        .size:           8
        .value_kind:     by_value
      - .offset:         16
        .size:           8
        .value_kind:     by_value
      - .offset:         24
        .size:           8
        .value_kind:     by_value
      - .address_space:  global
        .offset:         32
        .size:           8
        .value_kind:     global_buffer
      - .offset:         40
        .size:           8
        .value_kind:     by_value
      - .offset:         48
        .size:           8
        .value_kind:     by_value
      - .address_space:  global
        .offset:         56
        .size:           8
        .value_kind:     global_buffer
      - .offset:         64
        .size:           8
        .value_kind:     by_value
      - .offset:         72
        .size:           8
        .value_kind:     by_value
      - .offset:         80
        .size:           8
        .value_kind:     by_value
      - .address_space:  global
        .offset:         88
        .size:           8
        .value_kind:     global_buffer
      - .offset:         96
        .size:           8
        .value_kind:     by_value
      - .offset:         104
        .size:           8
        .value_kind:     by_value
      - .address_space:  global
        .offset:         112
        .size:           8
        .value_kind:     global_buffer
      - .offset:         120
        .size:           8
        .value_kind:     by_value
      - .offset:         128
        .size:           8
        .value_kind:     by_value
      - .offset:         136
        .size:           4
        .value_kind:     by_value
    .group_segment_fixed_size: 4096
    .kernarg_segment_align: 8
    .kernarg_segment_size: 140
    .language:       OpenCL C
    .language_version:
      - 2
      - 0
    .max_flat_workgroup_size: 256
    .name:           _ZN12_GLOBAL__N_127rocblas_gemm_batched_kernelIdLi16ELi16ELi32ELi32ELi8ELi32ELi8ELi8ELi32ELc67ELc67EKPKdS3_KPdEEvlllT_PT11_llS8_llS6_PT12_llPT13_lli
    .private_segment_fixed_size: 0
    .sgpr_count:     46
    .sgpr_spill_count: 0
    .symbol:         _ZN12_GLOBAL__N_127rocblas_gemm_batched_kernelIdLi16ELi16ELi32ELi32ELi8ELi32ELi8ELi8ELi32ELc67ELc67EKPKdS3_KPdEEvlllT_PT11_llS8_llS6_PT12_llPT13_lli.kd
    .uniform_work_group_size: 1
    .uses_dynamic_stack: false
    .vgpr_count:     52
    .vgpr_spill_count: 0
    .wavefront_size: 32
  - .args:
      - .offset:         0
        .size:           8
        .value_kind:     by_value
      - .offset:         8
        .size:           8
        .value_kind:     by_value
      - .offset:         16
        .size:           8
        .value_kind:     by_value
      - .offset:         24
        .size:           8
        .value_kind:     by_value
      - .address_space:  global
        .offset:         32
        .size:           8
        .value_kind:     global_buffer
      - .offset:         40
        .size:           8
        .value_kind:     by_value
      - .offset:         48
        .size:           8
        .value_kind:     by_value
      - .address_space:  global
        .offset:         56
        .size:           8
        .value_kind:     global_buffer
      - .offset:         64
        .size:           8
        .value_kind:     by_value
      - .offset:         72
        .size:           8
        .value_kind:     by_value
      - .offset:         80
        .size:           8
        .value_kind:     by_value
      - .address_space:  global
        .offset:         88
        .size:           8
        .value_kind:     global_buffer
      - .offset:         96
        .size:           8
        .value_kind:     by_value
      - .offset:         104
        .size:           8
        .value_kind:     by_value
      - .address_space:  global
        .offset:         112
        .size:           8
        .value_kind:     global_buffer
      - .offset:         120
        .size:           8
        .value_kind:     by_value
      - .offset:         128
        .size:           8
        .value_kind:     by_value
      - .offset:         136
        .size:           4
        .value_kind:     by_value
    .group_segment_fixed_size: 4096
    .kernarg_segment_align: 8
    .kernarg_segment_size: 140
    .language:       OpenCL C
    .language_version:
      - 2
      - 0
    .max_flat_workgroup_size: 256
    .name:           _ZN12_GLOBAL__N_127rocblas_gemm_batched_kernelIdLi16ELi16ELi32ELi32ELi8ELi32ELi8ELi8ELi32ELc67ELc78EKPKdS3_KPdEEvlllT_PT11_llS8_llS6_PT12_llPT13_lli
    .private_segment_fixed_size: 0
    .sgpr_count:     46
    .sgpr_spill_count: 0
    .symbol:         _ZN12_GLOBAL__N_127rocblas_gemm_batched_kernelIdLi16ELi16ELi32ELi32ELi8ELi32ELi8ELi8ELi32ELc67ELc78EKPKdS3_KPdEEvlllT_PT11_llS8_llS6_PT12_llPT13_lli.kd
    .uniform_work_group_size: 1
    .uses_dynamic_stack: false
    .vgpr_count:     52
    .vgpr_spill_count: 0
    .wavefront_size: 32
  - .args:
      - .offset:         0
        .size:           8
        .value_kind:     by_value
      - .offset:         8
        .size:           8
        .value_kind:     by_value
      - .offset:         16
        .size:           8
        .value_kind:     by_value
      - .offset:         24
        .size:           8
        .value_kind:     by_value
      - .address_space:  global
        .offset:         32
        .size:           8
        .value_kind:     global_buffer
      - .offset:         40
        .size:           8
        .value_kind:     by_value
      - .offset:         48
        .size:           8
        .value_kind:     by_value
      - .address_space:  global
        .offset:         56
        .size:           8
        .value_kind:     global_buffer
      - .offset:         64
        .size:           8
        .value_kind:     by_value
      - .offset:         72
        .size:           8
        .value_kind:     by_value
      - .offset:         80
        .size:           8
        .value_kind:     by_value
      - .address_space:  global
        .offset:         88
        .size:           8
        .value_kind:     global_buffer
      - .offset:         96
        .size:           8
        .value_kind:     by_value
      - .offset:         104
        .size:           8
        .value_kind:     by_value
      - .address_space:  global
        .offset:         112
        .size:           8
        .value_kind:     global_buffer
      - .offset:         120
        .size:           8
        .value_kind:     by_value
      - .offset:         128
        .size:           8
        .value_kind:     by_value
      - .offset:         136
        .size:           4
        .value_kind:     by_value
    .group_segment_fixed_size: 4096
    .kernarg_segment_align: 8
    .kernarg_segment_size: 140
    .language:       OpenCL C
    .language_version:
      - 2
      - 0
    .max_flat_workgroup_size: 256
    .name:           _ZN12_GLOBAL__N_127rocblas_gemm_batched_kernelIdLi16ELi16ELi32ELi32ELi8ELi32ELi8ELi8ELi32ELc67ELc84EKPKdS3_KPdEEvlllT_PT11_llS8_llS6_PT12_llPT13_lli
    .private_segment_fixed_size: 0
    .sgpr_count:     46
    .sgpr_spill_count: 0
    .symbol:         _ZN12_GLOBAL__N_127rocblas_gemm_batched_kernelIdLi16ELi16ELi32ELi32ELi8ELi32ELi8ELi8ELi32ELc67ELc84EKPKdS3_KPdEEvlllT_PT11_llS8_llS6_PT12_llPT13_lli.kd
    .uniform_work_group_size: 1
    .uses_dynamic_stack: false
    .vgpr_count:     52
    .vgpr_spill_count: 0
    .wavefront_size: 32
  - .args:
      - .offset:         0
        .size:           8
        .value_kind:     by_value
      - .offset:         8
        .size:           8
        .value_kind:     by_value
      - .offset:         16
        .size:           8
        .value_kind:     by_value
      - .offset:         24
        .size:           8
        .value_kind:     by_value
      - .address_space:  global
        .offset:         32
        .size:           8
        .value_kind:     global_buffer
      - .offset:         40
        .size:           8
        .value_kind:     by_value
      - .offset:         48
        .size:           8
        .value_kind:     by_value
      - .address_space:  global
        .offset:         56
        .size:           8
        .value_kind:     global_buffer
      - .offset:         64
        .size:           8
        .value_kind:     by_value
      - .offset:         72
        .size:           8
        .value_kind:     by_value
      - .offset:         80
        .size:           8
        .value_kind:     by_value
      - .address_space:  global
        .offset:         88
        .size:           8
        .value_kind:     global_buffer
      - .offset:         96
        .size:           8
        .value_kind:     by_value
      - .offset:         104
        .size:           8
        .value_kind:     by_value
      - .address_space:  global
        .offset:         112
        .size:           8
        .value_kind:     global_buffer
      - .offset:         120
        .size:           8
        .value_kind:     by_value
      - .offset:         128
        .size:           8
        .value_kind:     by_value
      - .offset:         136
        .size:           4
        .value_kind:     by_value
    .group_segment_fixed_size: 4096
    .kernarg_segment_align: 8
    .kernarg_segment_size: 140
    .language:       OpenCL C
    .language_version:
      - 2
      - 0
    .max_flat_workgroup_size: 256
    .name:           _ZN12_GLOBAL__N_127rocblas_gemm_batched_kernelIdLi16ELi16ELi32ELi32ELi8ELi32ELi8ELi8ELi32ELc78ELc67EKPKdS3_KPdEEvlllT_PT11_llS8_llS6_PT12_llPT13_lli
    .private_segment_fixed_size: 0
    .sgpr_count:     46
    .sgpr_spill_count: 0
    .symbol:         _ZN12_GLOBAL__N_127rocblas_gemm_batched_kernelIdLi16ELi16ELi32ELi32ELi8ELi32ELi8ELi8ELi32ELc78ELc67EKPKdS3_KPdEEvlllT_PT11_llS8_llS6_PT12_llPT13_lli.kd
    .uniform_work_group_size: 1
    .uses_dynamic_stack: false
    .vgpr_count:     52
    .vgpr_spill_count: 0
    .wavefront_size: 32
  - .args:
      - .offset:         0
        .size:           8
        .value_kind:     by_value
      - .offset:         8
        .size:           8
        .value_kind:     by_value
      - .offset:         16
        .size:           8
        .value_kind:     by_value
      - .offset:         24
        .size:           8
        .value_kind:     by_value
      - .address_space:  global
        .offset:         32
        .size:           8
        .value_kind:     global_buffer
      - .offset:         40
        .size:           8
        .value_kind:     by_value
      - .offset:         48
        .size:           8
        .value_kind:     by_value
      - .address_space:  global
        .offset:         56
        .size:           8
        .value_kind:     global_buffer
      - .offset:         64
        .size:           8
        .value_kind:     by_value
      - .offset:         72
        .size:           8
        .value_kind:     by_value
      - .offset:         80
        .size:           8
        .value_kind:     by_value
      - .address_space:  global
        .offset:         88
        .size:           8
        .value_kind:     global_buffer
      - .offset:         96
        .size:           8
        .value_kind:     by_value
      - .offset:         104
        .size:           8
        .value_kind:     by_value
      - .address_space:  global
        .offset:         112
        .size:           8
        .value_kind:     global_buffer
      - .offset:         120
        .size:           8
        .value_kind:     by_value
      - .offset:         128
        .size:           8
        .value_kind:     by_value
      - .offset:         136
        .size:           4
        .value_kind:     by_value
    .group_segment_fixed_size: 4096
    .kernarg_segment_align: 8
    .kernarg_segment_size: 140
    .language:       OpenCL C
    .language_version:
      - 2
      - 0
    .max_flat_workgroup_size: 256
    .name:           _ZN12_GLOBAL__N_127rocblas_gemm_batched_kernelIdLi16ELi16ELi32ELi32ELi8ELi32ELi8ELi8ELi32ELc84ELc67EKPKdS3_KPdEEvlllT_PT11_llS8_llS6_PT12_llPT13_lli
    .private_segment_fixed_size: 0
    .sgpr_count:     46
    .sgpr_spill_count: 0
    .symbol:         _ZN12_GLOBAL__N_127rocblas_gemm_batched_kernelIdLi16ELi16ELi32ELi32ELi8ELi32ELi8ELi8ELi32ELc84ELc67EKPKdS3_KPdEEvlllT_PT11_llS8_llS6_PT12_llPT13_lli.kd
    .uniform_work_group_size: 1
    .uses_dynamic_stack: false
    .vgpr_count:     52
    .vgpr_spill_count: 0
    .wavefront_size: 32
  - .args:
      - .offset:         0
        .size:           8
        .value_kind:     by_value
      - .offset:         8
        .size:           8
        .value_kind:     by_value
      - .offset:         16
        .size:           8
        .value_kind:     by_value
      - .offset:         24
        .size:           8
        .value_kind:     by_value
      - .address_space:  global
        .offset:         32
        .size:           8
        .value_kind:     global_buffer
      - .offset:         40
        .size:           8
        .value_kind:     by_value
      - .offset:         48
        .size:           8
        .value_kind:     by_value
      - .address_space:  global
        .offset:         56
        .size:           8
        .value_kind:     global_buffer
      - .offset:         64
        .size:           8
        .value_kind:     by_value
      - .offset:         72
        .size:           8
        .value_kind:     by_value
      - .offset:         80
        .size:           8
        .value_kind:     by_value
      - .address_space:  global
        .offset:         88
        .size:           8
        .value_kind:     global_buffer
      - .offset:         96
        .size:           8
        .value_kind:     by_value
      - .offset:         104
        .size:           8
        .value_kind:     by_value
      - .address_space:  global
        .offset:         112
        .size:           8
        .value_kind:     global_buffer
      - .offset:         120
        .size:           8
        .value_kind:     by_value
      - .offset:         128
        .size:           8
        .value_kind:     by_value
      - .offset:         136
        .size:           4
        .value_kind:     by_value
    .group_segment_fixed_size: 4096
    .kernarg_segment_align: 8
    .kernarg_segment_size: 140
    .language:       OpenCL C
    .language_version:
      - 2
      - 0
    .max_flat_workgroup_size: 256
    .name:           _ZN12_GLOBAL__N_135rocblas_gemm_batched_general_kernelIdLi16ELi16ELi32ELi32ELi8ELi32ELi8ELi8ELi32ELc78ELc78EKPKdS3_KPdEEvlllT_PT11_llS8_llS6_PT12_llPT13_lli
    .private_segment_fixed_size: 0
    .sgpr_count:     54
    .sgpr_spill_count: 0
    .symbol:         _ZN12_GLOBAL__N_135rocblas_gemm_batched_general_kernelIdLi16ELi16ELi32ELi32ELi8ELi32ELi8ELi8ELi32ELc78ELc78EKPKdS3_KPdEEvlllT_PT11_llS8_llS6_PT12_llPT13_lli.kd
    .uniform_work_group_size: 1
    .uses_dynamic_stack: false
    .vgpr_count:     54
    .vgpr_spill_count: 0
    .wavefront_size: 32
  - .args:
      - .offset:         0
        .size:           8
        .value_kind:     by_value
      - .offset:         8
        .size:           8
        .value_kind:     by_value
      - .offset:         16
        .size:           8
        .value_kind:     by_value
      - .offset:         24
        .size:           8
        .value_kind:     by_value
      - .address_space:  global
        .offset:         32
        .size:           8
        .value_kind:     global_buffer
      - .offset:         40
        .size:           8
        .value_kind:     by_value
      - .offset:         48
        .size:           8
        .value_kind:     by_value
      - .address_space:  global
        .offset:         56
        .size:           8
        .value_kind:     global_buffer
      - .offset:         64
        .size:           8
        .value_kind:     by_value
      - .offset:         72
        .size:           8
        .value_kind:     by_value
      - .offset:         80
        .size:           8
        .value_kind:     by_value
      - .address_space:  global
        .offset:         88
        .size:           8
        .value_kind:     global_buffer
      - .offset:         96
        .size:           8
        .value_kind:     by_value
      - .offset:         104
        .size:           8
        .value_kind:     by_value
      - .address_space:  global
        .offset:         112
        .size:           8
        .value_kind:     global_buffer
      - .offset:         120
        .size:           8
        .value_kind:     by_value
      - .offset:         128
        .size:           8
        .value_kind:     by_value
      - .offset:         136
        .size:           4
        .value_kind:     by_value
    .group_segment_fixed_size: 4096
    .kernarg_segment_align: 8
    .kernarg_segment_size: 140
    .language:       OpenCL C
    .language_version:
      - 2
      - 0
    .max_flat_workgroup_size: 256
    .name:           _ZN12_GLOBAL__N_135rocblas_gemm_batched_general_kernelIdLi16ELi16ELi32ELi32ELi8ELi32ELi8ELi8ELi32ELc84ELc78EKPKdS3_KPdEEvlllT_PT11_llS8_llS6_PT12_llPT13_lli
    .private_segment_fixed_size: 0
    .sgpr_count:     54
    .sgpr_spill_count: 0
    .symbol:         _ZN12_GLOBAL__N_135rocblas_gemm_batched_general_kernelIdLi16ELi16ELi32ELi32ELi8ELi32ELi8ELi8ELi32ELc84ELc78EKPKdS3_KPdEEvlllT_PT11_llS8_llS6_PT12_llPT13_lli.kd
    .uniform_work_group_size: 1
    .uses_dynamic_stack: false
    .vgpr_count:     54
    .vgpr_spill_count: 0
    .wavefront_size: 32
  - .args:
      - .offset:         0
        .size:           8
        .value_kind:     by_value
      - .offset:         8
        .size:           8
        .value_kind:     by_value
      - .offset:         16
        .size:           8
        .value_kind:     by_value
      - .offset:         24
        .size:           8
        .value_kind:     by_value
      - .address_space:  global
        .offset:         32
        .size:           8
        .value_kind:     global_buffer
      - .offset:         40
        .size:           8
        .value_kind:     by_value
      - .offset:         48
        .size:           8
        .value_kind:     by_value
      - .address_space:  global
        .offset:         56
        .size:           8
        .value_kind:     global_buffer
      - .offset:         64
        .size:           8
        .value_kind:     by_value
      - .offset:         72
        .size:           8
        .value_kind:     by_value
      - .offset:         80
        .size:           8
        .value_kind:     by_value
      - .address_space:  global
        .offset:         88
        .size:           8
        .value_kind:     global_buffer
      - .offset:         96
        .size:           8
        .value_kind:     by_value
      - .offset:         104
        .size:           8
        .value_kind:     by_value
      - .address_space:  global
        .offset:         112
        .size:           8
        .value_kind:     global_buffer
      - .offset:         120
        .size:           8
        .value_kind:     by_value
      - .offset:         128
        .size:           8
        .value_kind:     by_value
      - .offset:         136
        .size:           4
        .value_kind:     by_value
    .group_segment_fixed_size: 4096
    .kernarg_segment_align: 8
    .kernarg_segment_size: 140
    .language:       OpenCL C
    .language_version:
      - 2
      - 0
    .max_flat_workgroup_size: 256
    .name:           _ZN12_GLOBAL__N_135rocblas_gemm_batched_general_kernelIdLi16ELi16ELi32ELi32ELi8ELi32ELi8ELi8ELi32ELc78ELc84EKPKdS3_KPdEEvlllT_PT11_llS8_llS6_PT12_llPT13_lli
    .private_segment_fixed_size: 0
    .sgpr_count:     54
    .sgpr_spill_count: 0
    .symbol:         _ZN12_GLOBAL__N_135rocblas_gemm_batched_general_kernelIdLi16ELi16ELi32ELi32ELi8ELi32ELi8ELi8ELi32ELc78ELc84EKPKdS3_KPdEEvlllT_PT11_llS8_llS6_PT12_llPT13_lli.kd
    .uniform_work_group_size: 1
    .uses_dynamic_stack: false
    .vgpr_count:     54
    .vgpr_spill_count: 0
    .wavefront_size: 32
  - .args:
      - .offset:         0
        .size:           8
        .value_kind:     by_value
      - .offset:         8
        .size:           8
        .value_kind:     by_value
      - .offset:         16
        .size:           8
        .value_kind:     by_value
      - .offset:         24
        .size:           8
        .value_kind:     by_value
      - .address_space:  global
        .offset:         32
        .size:           8
        .value_kind:     global_buffer
      - .offset:         40
        .size:           8
        .value_kind:     by_value
      - .offset:         48
        .size:           8
        .value_kind:     by_value
      - .address_space:  global
        .offset:         56
        .size:           8
        .value_kind:     global_buffer
      - .offset:         64
        .size:           8
        .value_kind:     by_value
      - .offset:         72
        .size:           8
        .value_kind:     by_value
      - .offset:         80
        .size:           8
        .value_kind:     by_value
      - .address_space:  global
        .offset:         88
        .size:           8
        .value_kind:     global_buffer
      - .offset:         96
        .size:           8
        .value_kind:     by_value
      - .offset:         104
        .size:           8
        .value_kind:     by_value
      - .address_space:  global
        .offset:         112
        .size:           8
        .value_kind:     global_buffer
      - .offset:         120
        .size:           8
        .value_kind:     by_value
      - .offset:         128
        .size:           8
        .value_kind:     by_value
      - .offset:         136
        .size:           4
        .value_kind:     by_value
    .group_segment_fixed_size: 4096
    .kernarg_segment_align: 8
    .kernarg_segment_size: 140
    .language:       OpenCL C
    .language_version:
      - 2
      - 0
    .max_flat_workgroup_size: 256
    .name:           _ZN12_GLOBAL__N_135rocblas_gemm_batched_general_kernelIdLi16ELi16ELi32ELi32ELi8ELi32ELi8ELi8ELi32ELc84ELc84EKPKdS3_KPdEEvlllT_PT11_llS8_llS6_PT12_llPT13_lli
    .private_segment_fixed_size: 0
    .sgpr_count:     54
    .sgpr_spill_count: 0
    .symbol:         _ZN12_GLOBAL__N_135rocblas_gemm_batched_general_kernelIdLi16ELi16ELi32ELi32ELi8ELi32ELi8ELi8ELi32ELc84ELc84EKPKdS3_KPdEEvlllT_PT11_llS8_llS6_PT12_llPT13_lli.kd
    .uniform_work_group_size: 1
    .uses_dynamic_stack: false
    .vgpr_count:     54
    .vgpr_spill_count: 0
    .wavefront_size: 32
  - .args:
      - .offset:         0
        .size:           8
        .value_kind:     by_value
      - .offset:         8
        .size:           8
        .value_kind:     by_value
      - .offset:         16
        .size:           8
        .value_kind:     by_value
      - .offset:         24
        .size:           8
        .value_kind:     by_value
      - .address_space:  global
        .offset:         32
        .size:           8
        .value_kind:     global_buffer
      - .offset:         40
        .size:           8
        .value_kind:     by_value
      - .offset:         48
        .size:           8
        .value_kind:     by_value
      - .address_space:  global
        .offset:         56
        .size:           8
        .value_kind:     global_buffer
      - .offset:         64
        .size:           8
        .value_kind:     by_value
      - .offset:         72
        .size:           8
        .value_kind:     by_value
      - .offset:         80
        .size:           8
        .value_kind:     by_value
      - .address_space:  global
        .offset:         88
        .size:           8
        .value_kind:     global_buffer
      - .offset:         96
        .size:           8
        .value_kind:     by_value
      - .offset:         104
        .size:           8
        .value_kind:     by_value
      - .address_space:  global
        .offset:         112
        .size:           8
        .value_kind:     global_buffer
      - .offset:         120
        .size:           8
        .value_kind:     by_value
      - .offset:         128
        .size:           8
        .value_kind:     by_value
      - .offset:         136
        .size:           4
        .value_kind:     by_value
    .group_segment_fixed_size: 4096
    .kernarg_segment_align: 8
    .kernarg_segment_size: 140
    .language:       OpenCL C
    .language_version:
      - 2
      - 0
    .max_flat_workgroup_size: 256
    .name:           _ZN12_GLOBAL__N_135rocblas_gemm_batched_general_kernelIdLi16ELi16ELi32ELi32ELi8ELi32ELi8ELi8ELi32ELc67ELc67EKPKdS3_KPdEEvlllT_PT11_llS8_llS6_PT12_llPT13_lli
    .private_segment_fixed_size: 0
    .sgpr_count:     54
    .sgpr_spill_count: 0
    .symbol:         _ZN12_GLOBAL__N_135rocblas_gemm_batched_general_kernelIdLi16ELi16ELi32ELi32ELi8ELi32ELi8ELi8ELi32ELc67ELc67EKPKdS3_KPdEEvlllT_PT11_llS8_llS6_PT12_llPT13_lli.kd
    .uniform_work_group_size: 1
    .uses_dynamic_stack: false
    .vgpr_count:     54
    .vgpr_spill_count: 0
    .wavefront_size: 32
  - .args:
      - .offset:         0
        .size:           8
        .value_kind:     by_value
      - .offset:         8
        .size:           8
        .value_kind:     by_value
      - .offset:         16
        .size:           8
        .value_kind:     by_value
      - .offset:         24
        .size:           8
        .value_kind:     by_value
      - .address_space:  global
        .offset:         32
        .size:           8
        .value_kind:     global_buffer
      - .offset:         40
        .size:           8
        .value_kind:     by_value
      - .offset:         48
        .size:           8
        .value_kind:     by_value
      - .address_space:  global
        .offset:         56
        .size:           8
        .value_kind:     global_buffer
      - .offset:         64
        .size:           8
        .value_kind:     by_value
      - .offset:         72
        .size:           8
        .value_kind:     by_value
      - .offset:         80
        .size:           8
        .value_kind:     by_value
      - .address_space:  global
        .offset:         88
        .size:           8
        .value_kind:     global_buffer
      - .offset:         96
        .size:           8
        .value_kind:     by_value
      - .offset:         104
        .size:           8
        .value_kind:     by_value
      - .address_space:  global
        .offset:         112
        .size:           8
        .value_kind:     global_buffer
      - .offset:         120
        .size:           8
        .value_kind:     by_value
      - .offset:         128
        .size:           8
        .value_kind:     by_value
      - .offset:         136
        .size:           4
        .value_kind:     by_value
    .group_segment_fixed_size: 4096
    .kernarg_segment_align: 8
    .kernarg_segment_size: 140
    .language:       OpenCL C
    .language_version:
      - 2
      - 0
    .max_flat_workgroup_size: 256
    .name:           _ZN12_GLOBAL__N_135rocblas_gemm_batched_general_kernelIdLi16ELi16ELi32ELi32ELi8ELi32ELi8ELi8ELi32ELc67ELc78EKPKdS3_KPdEEvlllT_PT11_llS8_llS6_PT12_llPT13_lli
    .private_segment_fixed_size: 0
    .sgpr_count:     54
    .sgpr_spill_count: 0
    .symbol:         _ZN12_GLOBAL__N_135rocblas_gemm_batched_general_kernelIdLi16ELi16ELi32ELi32ELi8ELi32ELi8ELi8ELi32ELc67ELc78EKPKdS3_KPdEEvlllT_PT11_llS8_llS6_PT12_llPT13_lli.kd
    .uniform_work_group_size: 1
    .uses_dynamic_stack: false
    .vgpr_count:     54
    .vgpr_spill_count: 0
    .wavefront_size: 32
  - .args:
      - .offset:         0
        .size:           8
        .value_kind:     by_value
      - .offset:         8
        .size:           8
        .value_kind:     by_value
      - .offset:         16
        .size:           8
        .value_kind:     by_value
      - .offset:         24
        .size:           8
        .value_kind:     by_value
      - .address_space:  global
        .offset:         32
        .size:           8
        .value_kind:     global_buffer
      - .offset:         40
        .size:           8
        .value_kind:     by_value
      - .offset:         48
        .size:           8
        .value_kind:     by_value
      - .address_space:  global
        .offset:         56
        .size:           8
        .value_kind:     global_buffer
      - .offset:         64
        .size:           8
        .value_kind:     by_value
      - .offset:         72
        .size:           8
        .value_kind:     by_value
      - .offset:         80
        .size:           8
        .value_kind:     by_value
      - .address_space:  global
        .offset:         88
        .size:           8
        .value_kind:     global_buffer
      - .offset:         96
        .size:           8
        .value_kind:     by_value
      - .offset:         104
        .size:           8
        .value_kind:     by_value
      - .address_space:  global
        .offset:         112
        .size:           8
        .value_kind:     global_buffer
      - .offset:         120
        .size:           8
        .value_kind:     by_value
      - .offset:         128
        .size:           8
        .value_kind:     by_value
      - .offset:         136
        .size:           4
        .value_kind:     by_value
    .group_segment_fixed_size: 4096
    .kernarg_segment_align: 8
    .kernarg_segment_size: 140
    .language:       OpenCL C
    .language_version:
      - 2
      - 0
    .max_flat_workgroup_size: 256
    .name:           _ZN12_GLOBAL__N_135rocblas_gemm_batched_general_kernelIdLi16ELi16ELi32ELi32ELi8ELi32ELi8ELi8ELi32ELc67ELc84EKPKdS3_KPdEEvlllT_PT11_llS8_llS6_PT12_llPT13_lli
    .private_segment_fixed_size: 0
    .sgpr_count:     54
    .sgpr_spill_count: 0
    .symbol:         _ZN12_GLOBAL__N_135rocblas_gemm_batched_general_kernelIdLi16ELi16ELi32ELi32ELi8ELi32ELi8ELi8ELi32ELc67ELc84EKPKdS3_KPdEEvlllT_PT11_llS8_llS6_PT12_llPT13_lli.kd
    .uniform_work_group_size: 1
    .uses_dynamic_stack: false
    .vgpr_count:     54
    .vgpr_spill_count: 0
    .wavefront_size: 32
  - .args:
      - .offset:         0
        .size:           8
        .value_kind:     by_value
      - .offset:         8
        .size:           8
        .value_kind:     by_value
      - .offset:         16
        .size:           8
        .value_kind:     by_value
      - .offset:         24
        .size:           8
        .value_kind:     by_value
      - .address_space:  global
        .offset:         32
        .size:           8
        .value_kind:     global_buffer
      - .offset:         40
        .size:           8
        .value_kind:     by_value
      - .offset:         48
        .size:           8
        .value_kind:     by_value
      - .address_space:  global
        .offset:         56
        .size:           8
        .value_kind:     global_buffer
      - .offset:         64
        .size:           8
        .value_kind:     by_value
      - .offset:         72
        .size:           8
        .value_kind:     by_value
      - .offset:         80
        .size:           8
        .value_kind:     by_value
      - .address_space:  global
        .offset:         88
        .size:           8
        .value_kind:     global_buffer
      - .offset:         96
        .size:           8
        .value_kind:     by_value
      - .offset:         104
        .size:           8
        .value_kind:     by_value
      - .address_space:  global
        .offset:         112
        .size:           8
        .value_kind:     global_buffer
      - .offset:         120
        .size:           8
        .value_kind:     by_value
      - .offset:         128
        .size:           8
        .value_kind:     by_value
      - .offset:         136
        .size:           4
        .value_kind:     by_value
    .group_segment_fixed_size: 4096
    .kernarg_segment_align: 8
    .kernarg_segment_size: 140
    .language:       OpenCL C
    .language_version:
      - 2
      - 0
    .max_flat_workgroup_size: 256
    .name:           _ZN12_GLOBAL__N_135rocblas_gemm_batched_general_kernelIdLi16ELi16ELi32ELi32ELi8ELi32ELi8ELi8ELi32ELc78ELc67EKPKdS3_KPdEEvlllT_PT11_llS8_llS6_PT12_llPT13_lli
    .private_segment_fixed_size: 0
    .sgpr_count:     54
    .sgpr_spill_count: 0
    .symbol:         _ZN12_GLOBAL__N_135rocblas_gemm_batched_general_kernelIdLi16ELi16ELi32ELi32ELi8ELi32ELi8ELi8ELi32ELc78ELc67EKPKdS3_KPdEEvlllT_PT11_llS8_llS6_PT12_llPT13_lli.kd
    .uniform_work_group_size: 1
    .uses_dynamic_stack: false
    .vgpr_count:     54
    .vgpr_spill_count: 0
    .wavefront_size: 32
  - .args:
      - .offset:         0
        .size:           8
        .value_kind:     by_value
      - .offset:         8
        .size:           8
        .value_kind:     by_value
      - .offset:         16
        .size:           8
        .value_kind:     by_value
      - .offset:         24
        .size:           8
        .value_kind:     by_value
      - .address_space:  global
        .offset:         32
        .size:           8
        .value_kind:     global_buffer
      - .offset:         40
        .size:           8
        .value_kind:     by_value
      - .offset:         48
        .size:           8
        .value_kind:     by_value
      - .address_space:  global
        .offset:         56
        .size:           8
        .value_kind:     global_buffer
      - .offset:         64
        .size:           8
        .value_kind:     by_value
      - .offset:         72
        .size:           8
        .value_kind:     by_value
      - .offset:         80
        .size:           8
        .value_kind:     by_value
      - .address_space:  global
        .offset:         88
        .size:           8
        .value_kind:     global_buffer
      - .offset:         96
        .size:           8
        .value_kind:     by_value
      - .offset:         104
        .size:           8
        .value_kind:     by_value
      - .address_space:  global
        .offset:         112
        .size:           8
        .value_kind:     global_buffer
      - .offset:         120
        .size:           8
        .value_kind:     by_value
      - .offset:         128
        .size:           8
        .value_kind:     by_value
      - .offset:         136
        .size:           4
        .value_kind:     by_value
    .group_segment_fixed_size: 4096
    .kernarg_segment_align: 8
    .kernarg_segment_size: 140
    .language:       OpenCL C
    .language_version:
      - 2
      - 0
    .max_flat_workgroup_size: 256
    .name:           _ZN12_GLOBAL__N_135rocblas_gemm_batched_general_kernelIdLi16ELi16ELi32ELi32ELi8ELi32ELi8ELi8ELi32ELc84ELc67EKPKdS3_KPdEEvlllT_PT11_llS8_llS6_PT12_llPT13_lli
    .private_segment_fixed_size: 0
    .sgpr_count:     54
    .sgpr_spill_count: 0
    .symbol:         _ZN12_GLOBAL__N_135rocblas_gemm_batched_general_kernelIdLi16ELi16ELi32ELi32ELi8ELi32ELi8ELi8ELi32ELc84ELc67EKPKdS3_KPdEEvlllT_PT11_llS8_llS6_PT12_llPT13_lli.kd
    .uniform_work_group_size: 1
    .uses_dynamic_stack: false
    .vgpr_count:     54
    .vgpr_spill_count: 0
    .wavefront_size: 32
  - .args:
      - .offset:         0
        .size:           4
        .value_kind:     by_value
      - .offset:         4
        .size:           4
        .value_kind:     by_value
      - .offset:         8
        .size:           4
        .value_kind:     by_value
      - .address_space:  global
        .offset:         16
        .size:           8
        .value_kind:     global_buffer
      - .offset:         24
        .size:           8
        .value_kind:     by_value
      - .offset:         32
        .size:           8
        .value_kind:     by_value
      - .offset:         40
        .size:           8
        .value_kind:     by_value
      - .address_space:  global
        .offset:         48
        .size:           8
        .value_kind:     global_buffer
      - .offset:         56
        .size:           8
        .value_kind:     by_value
      - .offset:         64
        .size:           8
        .value_kind:     by_value
      - .offset:         72
        .size:           8
        .value_kind:     by_value
      - .offset:         80
        .size:           4
        .value_kind:     by_value
    .group_segment_fixed_size: 0
    .kernarg_segment_align: 8
    .kernarg_segment_size: 84
    .language:       OpenCL C
    .language_version:
      - 2
      - 0
    .max_flat_workgroup_size: 1024
    .name:           _ZN12_GLOBAL__N_120gemm_ex_scale_kernelILi32ELi32EfPKPKfPKPfEEviiT1_T2_lllT3_llli
    .private_segment_fixed_size: 0
    .sgpr_count:     25
    .sgpr_spill_count: 0
    .symbol:         _ZN12_GLOBAL__N_120gemm_ex_scale_kernelILi32ELi32EfPKPKfPKPfEEviiT1_T2_lllT3_llli.kd
    .uniform_work_group_size: 1
    .uses_dynamic_stack: false
    .vgpr_count:     10
    .vgpr_spill_count: 0
    .wavefront_size: 32
  - .args:
      - .offset:         0
        .size:           8
        .value_kind:     by_value
      - .offset:         8
        .size:           8
        .value_kind:     by_value
      - .offset:         16
        .size:           8
        .value_kind:     by_value
      - .offset:         24
        .size:           4
        .value_kind:     by_value
      - .address_space:  global
        .offset:         32
        .size:           8
        .value_kind:     global_buffer
      - .offset:         40
        .size:           8
        .value_kind:     by_value
      - .offset:         48
        .size:           8
        .value_kind:     by_value
      - .address_space:  global
        .offset:         56
        .size:           8
        .value_kind:     global_buffer
      - .offset:         64
        .size:           8
        .value_kind:     by_value
      - .offset:         72
        .size:           8
        .value_kind:     by_value
      - .offset:         80
        .size:           4
        .value_kind:     by_value
      - .address_space:  global
        .offset:         88
        .size:           8
        .value_kind:     global_buffer
      - .offset:         96
        .size:           8
        .value_kind:     by_value
      - .offset:         104
        .size:           8
        .value_kind:     by_value
      - .address_space:  global
        .offset:         112
        .size:           8
        .value_kind:     global_buffer
      - .offset:         120
        .size:           8
        .value_kind:     by_value
      - .offset:         128
        .size:           8
        .value_kind:     by_value
      - .offset:         136
        .size:           4
        .value_kind:     by_value
    .group_segment_fixed_size: 2048
    .kernarg_segment_align: 8
    .kernarg_segment_size: 140
    .language:       OpenCL C
    .language_version:
      - 2
      - 0
    .max_flat_workgroup_size: 256
    .name:           _ZN12_GLOBAL__N_127rocblas_gemm_batched_kernelIfLi16ELi16ELi64ELi64ELi4ELi64ELi4ELi4ELi64ELc78ELc78EKPKfS3_KPfEEvlllT_PT11_llS8_llS6_PT12_llPT13_lli
    .private_segment_fixed_size: 0
    .sgpr_count:     40
    .sgpr_spill_count: 0
    .symbol:         _ZN12_GLOBAL__N_127rocblas_gemm_batched_kernelIfLi16ELi16ELi64ELi64ELi4ELi64ELi4ELi4ELi64ELc78ELc78EKPKfS3_KPfEEvlllT_PT11_llS8_llS6_PT12_llPT13_lli.kd
    .uniform_work_group_size: 1
    .uses_dynamic_stack: false
    .vgpr_count:     80
    .vgpr_spill_count: 0
    .wavefront_size: 32
  - .args:
      - .offset:         0
        .size:           8
        .value_kind:     by_value
      - .offset:         8
        .size:           8
        .value_kind:     by_value
      - .offset:         16
        .size:           8
        .value_kind:     by_value
      - .offset:         24
        .size:           4
        .value_kind:     by_value
      - .address_space:  global
        .offset:         32
        .size:           8
        .value_kind:     global_buffer
      - .offset:         40
        .size:           8
        .value_kind:     by_value
      - .offset:         48
        .size:           8
        .value_kind:     by_value
      - .address_space:  global
        .offset:         56
        .size:           8
        .value_kind:     global_buffer
      - .offset:         64
        .size:           8
        .value_kind:     by_value
      - .offset:         72
        .size:           8
        .value_kind:     by_value
      - .offset:         80
        .size:           4
        .value_kind:     by_value
      - .address_space:  global
        .offset:         88
        .size:           8
        .value_kind:     global_buffer
      - .offset:         96
        .size:           8
        .value_kind:     by_value
      - .offset:         104
        .size:           8
        .value_kind:     by_value
      - .address_space:  global
        .offset:         112
        .size:           8
        .value_kind:     global_buffer
      - .offset:         120
        .size:           8
        .value_kind:     by_value
      - .offset:         128
        .size:           8
        .value_kind:     by_value
      - .offset:         136
        .size:           4
        .value_kind:     by_value
    .group_segment_fixed_size: 2048
    .kernarg_segment_align: 8
    .kernarg_segment_size: 140
    .language:       OpenCL C
    .language_version:
      - 2
      - 0
    .max_flat_workgroup_size: 256
    .name:           _ZN12_GLOBAL__N_127rocblas_gemm_batched_kernelIfLi16ELi16ELi64ELi64ELi4ELi64ELi4ELi4ELi64ELc84ELc78EKPKfS3_KPfEEvlllT_PT11_llS8_llS6_PT12_llPT13_lli
    .private_segment_fixed_size: 0
    .sgpr_count:     40
    .sgpr_spill_count: 0
    .symbol:         _ZN12_GLOBAL__N_127rocblas_gemm_batched_kernelIfLi16ELi16ELi64ELi64ELi4ELi64ELi4ELi4ELi64ELc84ELc78EKPKfS3_KPfEEvlllT_PT11_llS8_llS6_PT12_llPT13_lli.kd
    .uniform_work_group_size: 1
    .uses_dynamic_stack: false
    .vgpr_count:     78
    .vgpr_spill_count: 0
    .wavefront_size: 32
  - .args:
      - .offset:         0
        .size:           8
        .value_kind:     by_value
      - .offset:         8
        .size:           8
        .value_kind:     by_value
      - .offset:         16
        .size:           8
        .value_kind:     by_value
      - .offset:         24
        .size:           4
        .value_kind:     by_value
      - .address_space:  global
        .offset:         32
        .size:           8
        .value_kind:     global_buffer
      - .offset:         40
        .size:           8
        .value_kind:     by_value
      - .offset:         48
        .size:           8
        .value_kind:     by_value
      - .address_space:  global
        .offset:         56
        .size:           8
        .value_kind:     global_buffer
      - .offset:         64
        .size:           8
        .value_kind:     by_value
      - .offset:         72
        .size:           8
        .value_kind:     by_value
      - .offset:         80
        .size:           4
        .value_kind:     by_value
      - .address_space:  global
        .offset:         88
        .size:           8
        .value_kind:     global_buffer
      - .offset:         96
        .size:           8
        .value_kind:     by_value
      - .offset:         104
        .size:           8
        .value_kind:     by_value
      - .address_space:  global
        .offset:         112
        .size:           8
        .value_kind:     global_buffer
      - .offset:         120
        .size:           8
        .value_kind:     by_value
      - .offset:         128
        .size:           8
        .value_kind:     by_value
      - .offset:         136
        .size:           4
        .value_kind:     by_value
    .group_segment_fixed_size: 2048
    .kernarg_segment_align: 8
    .kernarg_segment_size: 140
    .language:       OpenCL C
    .language_version:
      - 2
      - 0
    .max_flat_workgroup_size: 256
    .name:           _ZN12_GLOBAL__N_127rocblas_gemm_batched_kernelIfLi16ELi16ELi64ELi64ELi4ELi64ELi4ELi4ELi64ELc78ELc84EKPKfS3_KPfEEvlllT_PT11_llS8_llS6_PT12_llPT13_lli
    .private_segment_fixed_size: 0
    .sgpr_count:     40
    .sgpr_spill_count: 0
    .symbol:         _ZN12_GLOBAL__N_127rocblas_gemm_batched_kernelIfLi16ELi16ELi64ELi64ELi4ELi64ELi4ELi4ELi64ELc78ELc84EKPKfS3_KPfEEvlllT_PT11_llS8_llS6_PT12_llPT13_lli.kd
    .uniform_work_group_size: 1
    .uses_dynamic_stack: false
    .vgpr_count:     80
    .vgpr_spill_count: 0
    .wavefront_size: 32
  - .args:
      - .offset:         0
        .size:           8
        .value_kind:     by_value
      - .offset:         8
        .size:           8
        .value_kind:     by_value
      - .offset:         16
        .size:           8
        .value_kind:     by_value
      - .offset:         24
        .size:           4
        .value_kind:     by_value
      - .address_space:  global
        .offset:         32
        .size:           8
        .value_kind:     global_buffer
      - .offset:         40
        .size:           8
        .value_kind:     by_value
      - .offset:         48
        .size:           8
        .value_kind:     by_value
      - .address_space:  global
        .offset:         56
        .size:           8
        .value_kind:     global_buffer
      - .offset:         64
        .size:           8
        .value_kind:     by_value
      - .offset:         72
        .size:           8
        .value_kind:     by_value
      - .offset:         80
        .size:           4
        .value_kind:     by_value
      - .address_space:  global
        .offset:         88
        .size:           8
        .value_kind:     global_buffer
      - .offset:         96
        .size:           8
        .value_kind:     by_value
      - .offset:         104
        .size:           8
        .value_kind:     by_value
      - .address_space:  global
        .offset:         112
        .size:           8
        .value_kind:     global_buffer
      - .offset:         120
        .size:           8
        .value_kind:     by_value
      - .offset:         128
        .size:           8
        .value_kind:     by_value
      - .offset:         136
        .size:           4
        .value_kind:     by_value
    .group_segment_fixed_size: 2048
    .kernarg_segment_align: 8
    .kernarg_segment_size: 140
    .language:       OpenCL C
    .language_version:
      - 2
      - 0
    .max_flat_workgroup_size: 256
    .name:           _ZN12_GLOBAL__N_127rocblas_gemm_batched_kernelIfLi16ELi16ELi64ELi64ELi4ELi64ELi4ELi4ELi64ELc84ELc84EKPKfS3_KPfEEvlllT_PT11_llS8_llS6_PT12_llPT13_lli
    .private_segment_fixed_size: 0
    .sgpr_count:     38
    .sgpr_spill_count: 0
    .symbol:         _ZN12_GLOBAL__N_127rocblas_gemm_batched_kernelIfLi16ELi16ELi64ELi64ELi4ELi64ELi4ELi4ELi64ELc84ELc84EKPKfS3_KPfEEvlllT_PT11_llS8_llS6_PT12_llPT13_lli.kd
    .uniform_work_group_size: 1
    .uses_dynamic_stack: false
    .vgpr_count:     78
    .vgpr_spill_count: 0
    .wavefront_size: 32
  - .args:
      - .offset:         0
        .size:           8
        .value_kind:     by_value
      - .offset:         8
        .size:           8
        .value_kind:     by_value
      - .offset:         16
        .size:           8
        .value_kind:     by_value
      - .offset:         24
        .size:           4
        .value_kind:     by_value
      - .address_space:  global
        .offset:         32
        .size:           8
        .value_kind:     global_buffer
      - .offset:         40
        .size:           8
        .value_kind:     by_value
      - .offset:         48
        .size:           8
        .value_kind:     by_value
      - .address_space:  global
        .offset:         56
        .size:           8
        .value_kind:     global_buffer
      - .offset:         64
        .size:           8
        .value_kind:     by_value
      - .offset:         72
        .size:           8
        .value_kind:     by_value
      - .offset:         80
        .size:           4
        .value_kind:     by_value
      - .address_space:  global
        .offset:         88
        .size:           8
        .value_kind:     global_buffer
      - .offset:         96
        .size:           8
        .value_kind:     by_value
      - .offset:         104
        .size:           8
        .value_kind:     by_value
      - .address_space:  global
        .offset:         112
        .size:           8
        .value_kind:     global_buffer
      - .offset:         120
        .size:           8
        .value_kind:     by_value
      - .offset:         128
        .size:           8
        .value_kind:     by_value
      - .offset:         136
        .size:           4
        .value_kind:     by_value
    .group_segment_fixed_size: 2048
    .kernarg_segment_align: 8
    .kernarg_segment_size: 140
    .language:       OpenCL C
    .language_version:
      - 2
      - 0
    .max_flat_workgroup_size: 256
    .name:           _ZN12_GLOBAL__N_127rocblas_gemm_batched_kernelIfLi16ELi16ELi64ELi64ELi4ELi64ELi4ELi4ELi64ELc67ELc67EKPKfS3_KPfEEvlllT_PT11_llS8_llS6_PT12_llPT13_lli
    .private_segment_fixed_size: 0
    .sgpr_count:     38
    .sgpr_spill_count: 0
    .symbol:         _ZN12_GLOBAL__N_127rocblas_gemm_batched_kernelIfLi16ELi16ELi64ELi64ELi4ELi64ELi4ELi4ELi64ELc67ELc67EKPKfS3_KPfEEvlllT_PT11_llS8_llS6_PT12_llPT13_lli.kd
    .uniform_work_group_size: 1
    .uses_dynamic_stack: false
    .vgpr_count:     78
    .vgpr_spill_count: 0
    .wavefront_size: 32
  - .args:
      - .offset:         0
        .size:           8
        .value_kind:     by_value
      - .offset:         8
        .size:           8
        .value_kind:     by_value
      - .offset:         16
        .size:           8
        .value_kind:     by_value
      - .offset:         24
        .size:           4
        .value_kind:     by_value
      - .address_space:  global
        .offset:         32
        .size:           8
        .value_kind:     global_buffer
      - .offset:         40
        .size:           8
        .value_kind:     by_value
      - .offset:         48
        .size:           8
        .value_kind:     by_value
      - .address_space:  global
        .offset:         56
        .size:           8
        .value_kind:     global_buffer
      - .offset:         64
        .size:           8
        .value_kind:     by_value
      - .offset:         72
        .size:           8
        .value_kind:     by_value
      - .offset:         80
        .size:           4
        .value_kind:     by_value
      - .address_space:  global
        .offset:         88
        .size:           8
        .value_kind:     global_buffer
      - .offset:         96
        .size:           8
        .value_kind:     by_value
      - .offset:         104
        .size:           8
        .value_kind:     by_value
      - .address_space:  global
        .offset:         112
        .size:           8
        .value_kind:     global_buffer
      - .offset:         120
        .size:           8
        .value_kind:     by_value
      - .offset:         128
        .size:           8
        .value_kind:     by_value
      - .offset:         136
        .size:           4
        .value_kind:     by_value
    .group_segment_fixed_size: 2048
    .kernarg_segment_align: 8
    .kernarg_segment_size: 140
    .language:       OpenCL C
    .language_version:
      - 2
      - 0
    .max_flat_workgroup_size: 256
    .name:           _ZN12_GLOBAL__N_127rocblas_gemm_batched_kernelIfLi16ELi16ELi64ELi64ELi4ELi64ELi4ELi4ELi64ELc67ELc78EKPKfS3_KPfEEvlllT_PT11_llS8_llS6_PT12_llPT13_lli
    .private_segment_fixed_size: 0
    .sgpr_count:     40
    .sgpr_spill_count: 0
    .symbol:         _ZN12_GLOBAL__N_127rocblas_gemm_batched_kernelIfLi16ELi16ELi64ELi64ELi4ELi64ELi4ELi4ELi64ELc67ELc78EKPKfS3_KPfEEvlllT_PT11_llS8_llS6_PT12_llPT13_lli.kd
    .uniform_work_group_size: 1
    .uses_dynamic_stack: false
    .vgpr_count:     78
    .vgpr_spill_count: 0
    .wavefront_size: 32
  - .args:
      - .offset:         0
        .size:           8
        .value_kind:     by_value
      - .offset:         8
        .size:           8
        .value_kind:     by_value
      - .offset:         16
        .size:           8
        .value_kind:     by_value
      - .offset:         24
        .size:           4
        .value_kind:     by_value
      - .address_space:  global
        .offset:         32
        .size:           8
        .value_kind:     global_buffer
      - .offset:         40
        .size:           8
        .value_kind:     by_value
      - .offset:         48
        .size:           8
        .value_kind:     by_value
      - .address_space:  global
        .offset:         56
        .size:           8
        .value_kind:     global_buffer
      - .offset:         64
        .size:           8
        .value_kind:     by_value
      - .offset:         72
        .size:           8
        .value_kind:     by_value
      - .offset:         80
        .size:           4
        .value_kind:     by_value
      - .address_space:  global
        .offset:         88
        .size:           8
        .value_kind:     global_buffer
      - .offset:         96
        .size:           8
        .value_kind:     by_value
      - .offset:         104
        .size:           8
        .value_kind:     by_value
      - .address_space:  global
        .offset:         112
        .size:           8
        .value_kind:     global_buffer
      - .offset:         120
        .size:           8
        .value_kind:     by_value
      - .offset:         128
        .size:           8
        .value_kind:     by_value
      - .offset:         136
        .size:           4
        .value_kind:     by_value
    .group_segment_fixed_size: 2048
    .kernarg_segment_align: 8
    .kernarg_segment_size: 140
    .language:       OpenCL C
    .language_version:
      - 2
      - 0
    .max_flat_workgroup_size: 256
    .name:           _ZN12_GLOBAL__N_127rocblas_gemm_batched_kernelIfLi16ELi16ELi64ELi64ELi4ELi64ELi4ELi4ELi64ELc67ELc84EKPKfS3_KPfEEvlllT_PT11_llS8_llS6_PT12_llPT13_lli
    .private_segment_fixed_size: 0
    .sgpr_count:     38
    .sgpr_spill_count: 0
    .symbol:         _ZN12_GLOBAL__N_127rocblas_gemm_batched_kernelIfLi16ELi16ELi64ELi64ELi4ELi64ELi4ELi4ELi64ELc67ELc84EKPKfS3_KPfEEvlllT_PT11_llS8_llS6_PT12_llPT13_lli.kd
    .uniform_work_group_size: 1
    .uses_dynamic_stack: false
    .vgpr_count:     78
    .vgpr_spill_count: 0
    .wavefront_size: 32
  - .args:
      - .offset:         0
        .size:           8
        .value_kind:     by_value
      - .offset:         8
        .size:           8
        .value_kind:     by_value
      - .offset:         16
        .size:           8
        .value_kind:     by_value
      - .offset:         24
        .size:           4
        .value_kind:     by_value
      - .address_space:  global
        .offset:         32
        .size:           8
        .value_kind:     global_buffer
      - .offset:         40
        .size:           8
        .value_kind:     by_value
      - .offset:         48
        .size:           8
        .value_kind:     by_value
      - .address_space:  global
        .offset:         56
        .size:           8
        .value_kind:     global_buffer
      - .offset:         64
        .size:           8
        .value_kind:     by_value
      - .offset:         72
        .size:           8
        .value_kind:     by_value
      - .offset:         80
        .size:           4
        .value_kind:     by_value
      - .address_space:  global
        .offset:         88
        .size:           8
        .value_kind:     global_buffer
      - .offset:         96
        .size:           8
        .value_kind:     by_value
      - .offset:         104
        .size:           8
        .value_kind:     by_value
      - .address_space:  global
        .offset:         112
        .size:           8
        .value_kind:     global_buffer
      - .offset:         120
        .size:           8
        .value_kind:     by_value
      - .offset:         128
        .size:           8
        .value_kind:     by_value
      - .offset:         136
        .size:           4
        .value_kind:     by_value
    .group_segment_fixed_size: 2048
    .kernarg_segment_align: 8
    .kernarg_segment_size: 140
    .language:       OpenCL C
    .language_version:
      - 2
      - 0
    .max_flat_workgroup_size: 256
    .name:           _ZN12_GLOBAL__N_127rocblas_gemm_batched_kernelIfLi16ELi16ELi64ELi64ELi4ELi64ELi4ELi4ELi64ELc78ELc67EKPKfS3_KPfEEvlllT_PT11_llS8_llS6_PT12_llPT13_lli
    .private_segment_fixed_size: 0
    .sgpr_count:     40
    .sgpr_spill_count: 0
    .symbol:         _ZN12_GLOBAL__N_127rocblas_gemm_batched_kernelIfLi16ELi16ELi64ELi64ELi4ELi64ELi4ELi4ELi64ELc78ELc67EKPKfS3_KPfEEvlllT_PT11_llS8_llS6_PT12_llPT13_lli.kd
    .uniform_work_group_size: 1
    .uses_dynamic_stack: false
    .vgpr_count:     80
    .vgpr_spill_count: 0
    .wavefront_size: 32
  - .args:
      - .offset:         0
        .size:           8
        .value_kind:     by_value
      - .offset:         8
        .size:           8
        .value_kind:     by_value
      - .offset:         16
        .size:           8
        .value_kind:     by_value
      - .offset:         24
        .size:           4
        .value_kind:     by_value
      - .address_space:  global
        .offset:         32
        .size:           8
        .value_kind:     global_buffer
      - .offset:         40
        .size:           8
        .value_kind:     by_value
      - .offset:         48
        .size:           8
        .value_kind:     by_value
      - .address_space:  global
        .offset:         56
        .size:           8
        .value_kind:     global_buffer
      - .offset:         64
        .size:           8
        .value_kind:     by_value
      - .offset:         72
        .size:           8
        .value_kind:     by_value
      - .offset:         80
        .size:           4
        .value_kind:     by_value
      - .address_space:  global
        .offset:         88
        .size:           8
        .value_kind:     global_buffer
      - .offset:         96
        .size:           8
        .value_kind:     by_value
      - .offset:         104
        .size:           8
        .value_kind:     by_value
      - .address_space:  global
        .offset:         112
        .size:           8
        .value_kind:     global_buffer
      - .offset:         120
        .size:           8
        .value_kind:     by_value
      - .offset:         128
        .size:           8
        .value_kind:     by_value
      - .offset:         136
        .size:           4
        .value_kind:     by_value
    .group_segment_fixed_size: 2048
    .kernarg_segment_align: 8
    .kernarg_segment_size: 140
    .language:       OpenCL C
    .language_version:
      - 2
      - 0
    .max_flat_workgroup_size: 256
    .name:           _ZN12_GLOBAL__N_127rocblas_gemm_batched_kernelIfLi16ELi16ELi64ELi64ELi4ELi64ELi4ELi4ELi64ELc84ELc67EKPKfS3_KPfEEvlllT_PT11_llS8_llS6_PT12_llPT13_lli
    .private_segment_fixed_size: 0
    .sgpr_count:     38
    .sgpr_spill_count: 0
    .symbol:         _ZN12_GLOBAL__N_127rocblas_gemm_batched_kernelIfLi16ELi16ELi64ELi64ELi4ELi64ELi4ELi4ELi64ELc84ELc67EKPKfS3_KPfEEvlllT_PT11_llS8_llS6_PT12_llPT13_lli.kd
    .uniform_work_group_size: 1
    .uses_dynamic_stack: false
    .vgpr_count:     78
    .vgpr_spill_count: 0
    .wavefront_size: 32
  - .args:
      - .offset:         0
        .size:           8
        .value_kind:     by_value
      - .offset:         8
        .size:           8
        .value_kind:     by_value
      - .offset:         16
        .size:           8
        .value_kind:     by_value
      - .offset:         24
        .size:           4
        .value_kind:     by_value
      - .address_space:  global
        .offset:         32
        .size:           8
        .value_kind:     global_buffer
      - .offset:         40
        .size:           8
        .value_kind:     by_value
      - .offset:         48
        .size:           8
        .value_kind:     by_value
      - .address_space:  global
        .offset:         56
        .size:           8
        .value_kind:     global_buffer
      - .offset:         64
        .size:           8
        .value_kind:     by_value
      - .offset:         72
        .size:           8
        .value_kind:     by_value
      - .offset:         80
        .size:           4
        .value_kind:     by_value
      - .address_space:  global
        .offset:         88
        .size:           8
        .value_kind:     global_buffer
      - .offset:         96
        .size:           8
        .value_kind:     by_value
      - .offset:         104
        .size:           8
        .value_kind:     by_value
      - .address_space:  global
        .offset:         112
        .size:           8
        .value_kind:     global_buffer
      - .offset:         120
        .size:           8
        .value_kind:     by_value
      - .offset:         128
        .size:           8
        .value_kind:     by_value
      - .offset:         136
        .size:           4
        .value_kind:     by_value
    .group_segment_fixed_size: 2048
    .kernarg_segment_align: 8
    .kernarg_segment_size: 140
    .language:       OpenCL C
    .language_version:
      - 2
      - 0
    .max_flat_workgroup_size: 256
    .name:           _ZN12_GLOBAL__N_127rocblas_gemm_batched_kernelIfLi16ELi16ELi32ELi32ELi8ELi32ELi8ELi8ELi32ELc78ELc78EKPKfS3_KPfEEvlllT_PT11_llS8_llS6_PT12_llPT13_lli
    .private_segment_fixed_size: 0
    .sgpr_count:     38
    .sgpr_spill_count: 0
    .symbol:         _ZN12_GLOBAL__N_127rocblas_gemm_batched_kernelIfLi16ELi16ELi32ELi32ELi8ELi32ELi8ELi8ELi32ELc78ELc78EKPKfS3_KPfEEvlllT_PT11_llS8_llS6_PT12_llPT13_lli.kd
    .uniform_work_group_size: 1
    .uses_dynamic_stack: false
    .vgpr_count:     62
    .vgpr_spill_count: 0
    .wavefront_size: 32
  - .args:
      - .offset:         0
        .size:           8
        .value_kind:     by_value
      - .offset:         8
        .size:           8
        .value_kind:     by_value
      - .offset:         16
        .size:           8
        .value_kind:     by_value
      - .offset:         24
        .size:           4
        .value_kind:     by_value
      - .address_space:  global
        .offset:         32
        .size:           8
        .value_kind:     global_buffer
      - .offset:         40
        .size:           8
        .value_kind:     by_value
      - .offset:         48
        .size:           8
        .value_kind:     by_value
      - .address_space:  global
        .offset:         56
        .size:           8
        .value_kind:     global_buffer
      - .offset:         64
        .size:           8
        .value_kind:     by_value
      - .offset:         72
        .size:           8
        .value_kind:     by_value
      - .offset:         80
        .size:           4
        .value_kind:     by_value
      - .address_space:  global
        .offset:         88
        .size:           8
        .value_kind:     global_buffer
      - .offset:         96
        .size:           8
        .value_kind:     by_value
      - .offset:         104
        .size:           8
        .value_kind:     by_value
      - .address_space:  global
        .offset:         112
        .size:           8
        .value_kind:     global_buffer
      - .offset:         120
        .size:           8
        .value_kind:     by_value
      - .offset:         128
        .size:           8
        .value_kind:     by_value
      - .offset:         136
        .size:           4
        .value_kind:     by_value
    .group_segment_fixed_size: 2048
    .kernarg_segment_align: 8
    .kernarg_segment_size: 140
    .language:       OpenCL C
    .language_version:
      - 2
      - 0
    .max_flat_workgroup_size: 256
    .name:           _ZN12_GLOBAL__N_127rocblas_gemm_batched_kernelIfLi16ELi16ELi32ELi32ELi8ELi32ELi8ELi8ELi32ELc84ELc78EKPKfS3_KPfEEvlllT_PT11_llS8_llS6_PT12_llPT13_lli
    .private_segment_fixed_size: 0
    .sgpr_count:     38
    .sgpr_spill_count: 0
    .symbol:         _ZN12_GLOBAL__N_127rocblas_gemm_batched_kernelIfLi16ELi16ELi32ELi32ELi8ELi32ELi8ELi8ELi32ELc84ELc78EKPKfS3_KPfEEvlllT_PT11_llS8_llS6_PT12_llPT13_lli.kd
    .uniform_work_group_size: 1
    .uses_dynamic_stack: false
    .vgpr_count:     62
    .vgpr_spill_count: 0
    .wavefront_size: 32
  - .args:
      - .offset:         0
        .size:           8
        .value_kind:     by_value
      - .offset:         8
        .size:           8
        .value_kind:     by_value
      - .offset:         16
        .size:           8
        .value_kind:     by_value
      - .offset:         24
        .size:           4
        .value_kind:     by_value
      - .address_space:  global
        .offset:         32
        .size:           8
        .value_kind:     global_buffer
      - .offset:         40
        .size:           8
        .value_kind:     by_value
      - .offset:         48
        .size:           8
        .value_kind:     by_value
      - .address_space:  global
        .offset:         56
        .size:           8
        .value_kind:     global_buffer
      - .offset:         64
        .size:           8
        .value_kind:     by_value
      - .offset:         72
        .size:           8
        .value_kind:     by_value
      - .offset:         80
        .size:           4
        .value_kind:     by_value
      - .address_space:  global
        .offset:         88
        .size:           8
        .value_kind:     global_buffer
      - .offset:         96
        .size:           8
        .value_kind:     by_value
      - .offset:         104
        .size:           8
        .value_kind:     by_value
      - .address_space:  global
        .offset:         112
        .size:           8
        .value_kind:     global_buffer
      - .offset:         120
        .size:           8
        .value_kind:     by_value
      - .offset:         128
        .size:           8
        .value_kind:     by_value
      - .offset:         136
        .size:           4
        .value_kind:     by_value
    .group_segment_fixed_size: 2048
    .kernarg_segment_align: 8
    .kernarg_segment_size: 140
    .language:       OpenCL C
    .language_version:
      - 2
      - 0
    .max_flat_workgroup_size: 256
    .name:           _ZN12_GLOBAL__N_127rocblas_gemm_batched_kernelIfLi16ELi16ELi32ELi32ELi8ELi32ELi8ELi8ELi32ELc78ELc84EKPKfS3_KPfEEvlllT_PT11_llS8_llS6_PT12_llPT13_lli
    .private_segment_fixed_size: 0
    .sgpr_count:     40
    .sgpr_spill_count: 0
    .symbol:         _ZN12_GLOBAL__N_127rocblas_gemm_batched_kernelIfLi16ELi16ELi32ELi32ELi8ELi32ELi8ELi8ELi32ELc78ELc84EKPKfS3_KPfEEvlllT_PT11_llS8_llS6_PT12_llPT13_lli.kd
    .uniform_work_group_size: 1
    .uses_dynamic_stack: false
    .vgpr_count:     62
    .vgpr_spill_count: 0
    .wavefront_size: 32
  - .args:
      - .offset:         0
        .size:           8
        .value_kind:     by_value
      - .offset:         8
        .size:           8
        .value_kind:     by_value
      - .offset:         16
        .size:           8
        .value_kind:     by_value
      - .offset:         24
        .size:           4
        .value_kind:     by_value
      - .address_space:  global
        .offset:         32
        .size:           8
        .value_kind:     global_buffer
      - .offset:         40
        .size:           8
        .value_kind:     by_value
      - .offset:         48
        .size:           8
        .value_kind:     by_value
      - .address_space:  global
        .offset:         56
        .size:           8
        .value_kind:     global_buffer
      - .offset:         64
        .size:           8
        .value_kind:     by_value
      - .offset:         72
        .size:           8
        .value_kind:     by_value
      - .offset:         80
        .size:           4
        .value_kind:     by_value
      - .address_space:  global
        .offset:         88
        .size:           8
        .value_kind:     global_buffer
      - .offset:         96
        .size:           8
        .value_kind:     by_value
      - .offset:         104
        .size:           8
        .value_kind:     by_value
      - .address_space:  global
        .offset:         112
        .size:           8
        .value_kind:     global_buffer
      - .offset:         120
        .size:           8
        .value_kind:     by_value
      - .offset:         128
        .size:           8
        .value_kind:     by_value
      - .offset:         136
        .size:           4
        .value_kind:     by_value
    .group_segment_fixed_size: 2048
    .kernarg_segment_align: 8
    .kernarg_segment_size: 140
    .language:       OpenCL C
    .language_version:
      - 2
      - 0
    .max_flat_workgroup_size: 256
    .name:           _ZN12_GLOBAL__N_127rocblas_gemm_batched_kernelIfLi16ELi16ELi32ELi32ELi8ELi32ELi8ELi8ELi32ELc84ELc84EKPKfS3_KPfEEvlllT_PT11_llS8_llS6_PT12_llPT13_lli
    .private_segment_fixed_size: 0
    .sgpr_count:     38
    .sgpr_spill_count: 0
    .symbol:         _ZN12_GLOBAL__N_127rocblas_gemm_batched_kernelIfLi16ELi16ELi32ELi32ELi8ELi32ELi8ELi8ELi32ELc84ELc84EKPKfS3_KPfEEvlllT_PT11_llS8_llS6_PT12_llPT13_lli.kd
    .uniform_work_group_size: 1
    .uses_dynamic_stack: false
    .vgpr_count:     62
    .vgpr_spill_count: 0
    .wavefront_size: 32
  - .args:
      - .offset:         0
        .size:           8
        .value_kind:     by_value
      - .offset:         8
        .size:           8
        .value_kind:     by_value
      - .offset:         16
        .size:           8
        .value_kind:     by_value
      - .offset:         24
        .size:           4
        .value_kind:     by_value
      - .address_space:  global
        .offset:         32
        .size:           8
        .value_kind:     global_buffer
      - .offset:         40
        .size:           8
        .value_kind:     by_value
      - .offset:         48
        .size:           8
        .value_kind:     by_value
      - .address_space:  global
        .offset:         56
        .size:           8
        .value_kind:     global_buffer
      - .offset:         64
        .size:           8
        .value_kind:     by_value
      - .offset:         72
        .size:           8
        .value_kind:     by_value
      - .offset:         80
        .size:           4
        .value_kind:     by_value
      - .address_space:  global
        .offset:         88
        .size:           8
        .value_kind:     global_buffer
      - .offset:         96
        .size:           8
        .value_kind:     by_value
      - .offset:         104
        .size:           8
        .value_kind:     by_value
      - .address_space:  global
        .offset:         112
        .size:           8
        .value_kind:     global_buffer
      - .offset:         120
        .size:           8
        .value_kind:     by_value
      - .offset:         128
        .size:           8
        .value_kind:     by_value
      - .offset:         136
        .size:           4
        .value_kind:     by_value
    .group_segment_fixed_size: 2048
    .kernarg_segment_align: 8
    .kernarg_segment_size: 140
    .language:       OpenCL C
    .language_version:
      - 2
      - 0
    .max_flat_workgroup_size: 256
    .name:           _ZN12_GLOBAL__N_127rocblas_gemm_batched_kernelIfLi16ELi16ELi32ELi32ELi8ELi32ELi8ELi8ELi32ELc67ELc67EKPKfS3_KPfEEvlllT_PT11_llS8_llS6_PT12_llPT13_lli
    .private_segment_fixed_size: 0
    .sgpr_count:     38
    .sgpr_spill_count: 0
    .symbol:         _ZN12_GLOBAL__N_127rocblas_gemm_batched_kernelIfLi16ELi16ELi32ELi32ELi8ELi32ELi8ELi8ELi32ELc67ELc67EKPKfS3_KPfEEvlllT_PT11_llS8_llS6_PT12_llPT13_lli.kd
    .uniform_work_group_size: 1
    .uses_dynamic_stack: false
    .vgpr_count:     62
    .vgpr_spill_count: 0
    .wavefront_size: 32
  - .args:
      - .offset:         0
        .size:           8
        .value_kind:     by_value
      - .offset:         8
        .size:           8
        .value_kind:     by_value
      - .offset:         16
        .size:           8
        .value_kind:     by_value
      - .offset:         24
        .size:           4
        .value_kind:     by_value
      - .address_space:  global
        .offset:         32
        .size:           8
        .value_kind:     global_buffer
      - .offset:         40
        .size:           8
        .value_kind:     by_value
      - .offset:         48
        .size:           8
        .value_kind:     by_value
      - .address_space:  global
        .offset:         56
        .size:           8
        .value_kind:     global_buffer
      - .offset:         64
        .size:           8
        .value_kind:     by_value
      - .offset:         72
        .size:           8
        .value_kind:     by_value
      - .offset:         80
        .size:           4
        .value_kind:     by_value
      - .address_space:  global
        .offset:         88
        .size:           8
        .value_kind:     global_buffer
      - .offset:         96
        .size:           8
        .value_kind:     by_value
      - .offset:         104
        .size:           8
        .value_kind:     by_value
      - .address_space:  global
        .offset:         112
        .size:           8
        .value_kind:     global_buffer
      - .offset:         120
        .size:           8
        .value_kind:     by_value
      - .offset:         128
        .size:           8
        .value_kind:     by_value
      - .offset:         136
        .size:           4
        .value_kind:     by_value
    .group_segment_fixed_size: 2048
    .kernarg_segment_align: 8
    .kernarg_segment_size: 140
    .language:       OpenCL C
    .language_version:
      - 2
      - 0
    .max_flat_workgroup_size: 256
    .name:           _ZN12_GLOBAL__N_127rocblas_gemm_batched_kernelIfLi16ELi16ELi32ELi32ELi8ELi32ELi8ELi8ELi32ELc67ELc78EKPKfS3_KPfEEvlllT_PT11_llS8_llS6_PT12_llPT13_lli
    .private_segment_fixed_size: 0
    .sgpr_count:     38
    .sgpr_spill_count: 0
    .symbol:         _ZN12_GLOBAL__N_127rocblas_gemm_batched_kernelIfLi16ELi16ELi32ELi32ELi8ELi32ELi8ELi8ELi32ELc67ELc78EKPKfS3_KPfEEvlllT_PT11_llS8_llS6_PT12_llPT13_lli.kd
    .uniform_work_group_size: 1
    .uses_dynamic_stack: false
    .vgpr_count:     62
    .vgpr_spill_count: 0
    .wavefront_size: 32
  - .args:
      - .offset:         0
        .size:           8
        .value_kind:     by_value
      - .offset:         8
        .size:           8
        .value_kind:     by_value
      - .offset:         16
        .size:           8
        .value_kind:     by_value
      - .offset:         24
        .size:           4
        .value_kind:     by_value
      - .address_space:  global
        .offset:         32
        .size:           8
        .value_kind:     global_buffer
      - .offset:         40
        .size:           8
        .value_kind:     by_value
      - .offset:         48
        .size:           8
        .value_kind:     by_value
      - .address_space:  global
        .offset:         56
        .size:           8
        .value_kind:     global_buffer
      - .offset:         64
        .size:           8
        .value_kind:     by_value
      - .offset:         72
        .size:           8
        .value_kind:     by_value
      - .offset:         80
        .size:           4
        .value_kind:     by_value
      - .address_space:  global
        .offset:         88
        .size:           8
        .value_kind:     global_buffer
      - .offset:         96
        .size:           8
        .value_kind:     by_value
      - .offset:         104
        .size:           8
        .value_kind:     by_value
      - .address_space:  global
        .offset:         112
        .size:           8
        .value_kind:     global_buffer
      - .offset:         120
        .size:           8
        .value_kind:     by_value
      - .offset:         128
        .size:           8
        .value_kind:     by_value
      - .offset:         136
        .size:           4
        .value_kind:     by_value
    .group_segment_fixed_size: 2048
    .kernarg_segment_align: 8
    .kernarg_segment_size: 140
    .language:       OpenCL C
    .language_version:
      - 2
      - 0
    .max_flat_workgroup_size: 256
    .name:           _ZN12_GLOBAL__N_127rocblas_gemm_batched_kernelIfLi16ELi16ELi32ELi32ELi8ELi32ELi8ELi8ELi32ELc67ELc84EKPKfS3_KPfEEvlllT_PT11_llS8_llS6_PT12_llPT13_lli
    .private_segment_fixed_size: 0
    .sgpr_count:     38
    .sgpr_spill_count: 0
    .symbol:         _ZN12_GLOBAL__N_127rocblas_gemm_batched_kernelIfLi16ELi16ELi32ELi32ELi8ELi32ELi8ELi8ELi32ELc67ELc84EKPKfS3_KPfEEvlllT_PT11_llS8_llS6_PT12_llPT13_lli.kd
    .uniform_work_group_size: 1
    .uses_dynamic_stack: false
    .vgpr_count:     62
    .vgpr_spill_count: 0
    .wavefront_size: 32
  - .args:
      - .offset:         0
        .size:           8
        .value_kind:     by_value
      - .offset:         8
        .size:           8
        .value_kind:     by_value
      - .offset:         16
        .size:           8
        .value_kind:     by_value
      - .offset:         24
        .size:           4
        .value_kind:     by_value
      - .address_space:  global
        .offset:         32
        .size:           8
        .value_kind:     global_buffer
      - .offset:         40
        .size:           8
        .value_kind:     by_value
      - .offset:         48
        .size:           8
        .value_kind:     by_value
      - .address_space:  global
        .offset:         56
        .size:           8
        .value_kind:     global_buffer
      - .offset:         64
        .size:           8
        .value_kind:     by_value
      - .offset:         72
        .size:           8
        .value_kind:     by_value
      - .offset:         80
        .size:           4
        .value_kind:     by_value
      - .address_space:  global
        .offset:         88
        .size:           8
        .value_kind:     global_buffer
      - .offset:         96
        .size:           8
        .value_kind:     by_value
      - .offset:         104
        .size:           8
        .value_kind:     by_value
      - .address_space:  global
        .offset:         112
        .size:           8
        .value_kind:     global_buffer
      - .offset:         120
        .size:           8
        .value_kind:     by_value
      - .offset:         128
        .size:           8
        .value_kind:     by_value
      - .offset:         136
        .size:           4
        .value_kind:     by_value
    .group_segment_fixed_size: 2048
    .kernarg_segment_align: 8
    .kernarg_segment_size: 140
    .language:       OpenCL C
    .language_version:
      - 2
      - 0
    .max_flat_workgroup_size: 256
    .name:           _ZN12_GLOBAL__N_127rocblas_gemm_batched_kernelIfLi16ELi16ELi32ELi32ELi8ELi32ELi8ELi8ELi32ELc78ELc67EKPKfS3_KPfEEvlllT_PT11_llS8_llS6_PT12_llPT13_lli
    .private_segment_fixed_size: 0
    .sgpr_count:     40
    .sgpr_spill_count: 0
    .symbol:         _ZN12_GLOBAL__N_127rocblas_gemm_batched_kernelIfLi16ELi16ELi32ELi32ELi8ELi32ELi8ELi8ELi32ELc78ELc67EKPKfS3_KPfEEvlllT_PT11_llS8_llS6_PT12_llPT13_lli.kd
    .uniform_work_group_size: 1
    .uses_dynamic_stack: false
    .vgpr_count:     62
    .vgpr_spill_count: 0
    .wavefront_size: 32
  - .args:
      - .offset:         0
        .size:           8
        .value_kind:     by_value
      - .offset:         8
        .size:           8
        .value_kind:     by_value
      - .offset:         16
        .size:           8
        .value_kind:     by_value
      - .offset:         24
        .size:           4
        .value_kind:     by_value
      - .address_space:  global
        .offset:         32
        .size:           8
        .value_kind:     global_buffer
      - .offset:         40
        .size:           8
        .value_kind:     by_value
      - .offset:         48
        .size:           8
        .value_kind:     by_value
      - .address_space:  global
        .offset:         56
        .size:           8
        .value_kind:     global_buffer
      - .offset:         64
        .size:           8
        .value_kind:     by_value
      - .offset:         72
        .size:           8
        .value_kind:     by_value
      - .offset:         80
        .size:           4
        .value_kind:     by_value
      - .address_space:  global
        .offset:         88
        .size:           8
        .value_kind:     global_buffer
      - .offset:         96
        .size:           8
        .value_kind:     by_value
      - .offset:         104
        .size:           8
        .value_kind:     by_value
      - .address_space:  global
        .offset:         112
        .size:           8
        .value_kind:     global_buffer
      - .offset:         120
        .size:           8
        .value_kind:     by_value
      - .offset:         128
        .size:           8
        .value_kind:     by_value
      - .offset:         136
        .size:           4
        .value_kind:     by_value
    .group_segment_fixed_size: 2048
    .kernarg_segment_align: 8
    .kernarg_segment_size: 140
    .language:       OpenCL C
    .language_version:
      - 2
      - 0
    .max_flat_workgroup_size: 256
    .name:           _ZN12_GLOBAL__N_127rocblas_gemm_batched_kernelIfLi16ELi16ELi32ELi32ELi8ELi32ELi8ELi8ELi32ELc84ELc67EKPKfS3_KPfEEvlllT_PT11_llS8_llS6_PT12_llPT13_lli
    .private_segment_fixed_size: 0
    .sgpr_count:     38
    .sgpr_spill_count: 0
    .symbol:         _ZN12_GLOBAL__N_127rocblas_gemm_batched_kernelIfLi16ELi16ELi32ELi32ELi8ELi32ELi8ELi8ELi32ELc84ELc67EKPKfS3_KPfEEvlllT_PT11_llS8_llS6_PT12_llPT13_lli.kd
    .uniform_work_group_size: 1
    .uses_dynamic_stack: false
    .vgpr_count:     62
    .vgpr_spill_count: 0
    .wavefront_size: 32
  - .args:
      - .offset:         0
        .size:           8
        .value_kind:     by_value
      - .offset:         8
        .size:           8
        .value_kind:     by_value
      - .offset:         16
        .size:           8
        .value_kind:     by_value
      - .offset:         24
        .size:           4
        .value_kind:     by_value
      - .address_space:  global
        .offset:         32
        .size:           8
        .value_kind:     global_buffer
      - .offset:         40
        .size:           8
        .value_kind:     by_value
      - .offset:         48
        .size:           8
        .value_kind:     by_value
      - .address_space:  global
        .offset:         56
        .size:           8
        .value_kind:     global_buffer
      - .offset:         64
        .size:           8
        .value_kind:     by_value
      - .offset:         72
        .size:           8
        .value_kind:     by_value
      - .offset:         80
        .size:           4
        .value_kind:     by_value
      - .address_space:  global
        .offset:         88
        .size:           8
        .value_kind:     global_buffer
      - .offset:         96
        .size:           8
        .value_kind:     by_value
      - .offset:         104
        .size:           8
        .value_kind:     by_value
      - .address_space:  global
        .offset:         112
        .size:           8
        .value_kind:     global_buffer
      - .offset:         120
        .size:           8
        .value_kind:     by_value
      - .offset:         128
        .size:           8
        .value_kind:     by_value
      - .offset:         136
        .size:           4
        .value_kind:     by_value
    .group_segment_fixed_size: 2048
    .kernarg_segment_align: 8
    .kernarg_segment_size: 140
    .language:       OpenCL C
    .language_version:
      - 2
      - 0
    .max_flat_workgroup_size: 256
    .name:           _ZN12_GLOBAL__N_135rocblas_gemm_batched_general_kernelIfLi16ELi16ELi32ELi32ELi8ELi32ELi8ELi8ELi32ELc78ELc78EKPKfS3_KPfEEvlllT_PT11_llS8_llS6_PT12_llPT13_lli
    .private_segment_fixed_size: 0
    .sgpr_count:     46
    .sgpr_spill_count: 0
    .symbol:         _ZN12_GLOBAL__N_135rocblas_gemm_batched_general_kernelIfLi16ELi16ELi32ELi32ELi8ELi32ELi8ELi8ELi32ELc78ELc78EKPKfS3_KPfEEvlllT_PT11_llS8_llS6_PT12_llPT13_lli.kd
    .uniform_work_group_size: 1
    .uses_dynamic_stack: false
    .vgpr_count:     56
    .vgpr_spill_count: 0
    .wavefront_size: 32
  - .args:
      - .offset:         0
        .size:           8
        .value_kind:     by_value
      - .offset:         8
        .size:           8
        .value_kind:     by_value
      - .offset:         16
        .size:           8
        .value_kind:     by_value
      - .offset:         24
        .size:           4
        .value_kind:     by_value
      - .address_space:  global
        .offset:         32
        .size:           8
        .value_kind:     global_buffer
      - .offset:         40
        .size:           8
        .value_kind:     by_value
      - .offset:         48
        .size:           8
        .value_kind:     by_value
      - .address_space:  global
        .offset:         56
        .size:           8
        .value_kind:     global_buffer
      - .offset:         64
        .size:           8
        .value_kind:     by_value
      - .offset:         72
        .size:           8
        .value_kind:     by_value
      - .offset:         80
        .size:           4
        .value_kind:     by_value
      - .address_space:  global
        .offset:         88
        .size:           8
        .value_kind:     global_buffer
      - .offset:         96
        .size:           8
        .value_kind:     by_value
      - .offset:         104
        .size:           8
        .value_kind:     by_value
      - .address_space:  global
        .offset:         112
        .size:           8
        .value_kind:     global_buffer
      - .offset:         120
        .size:           8
        .value_kind:     by_value
      - .offset:         128
        .size:           8
        .value_kind:     by_value
      - .offset:         136
        .size:           4
        .value_kind:     by_value
    .group_segment_fixed_size: 2048
    .kernarg_segment_align: 8
    .kernarg_segment_size: 140
    .language:       OpenCL C
    .language_version:
      - 2
      - 0
    .max_flat_workgroup_size: 256
    .name:           _ZN12_GLOBAL__N_135rocblas_gemm_batched_general_kernelIfLi16ELi16ELi32ELi32ELi8ELi32ELi8ELi8ELi32ELc84ELc78EKPKfS3_KPfEEvlllT_PT11_llS8_llS6_PT12_llPT13_lli
    .private_segment_fixed_size: 0
    .sgpr_count:     46
    .sgpr_spill_count: 0
    .symbol:         _ZN12_GLOBAL__N_135rocblas_gemm_batched_general_kernelIfLi16ELi16ELi32ELi32ELi8ELi32ELi8ELi8ELi32ELc84ELc78EKPKfS3_KPfEEvlllT_PT11_llS8_llS6_PT12_llPT13_lli.kd
    .uniform_work_group_size: 1
    .uses_dynamic_stack: false
    .vgpr_count:     56
    .vgpr_spill_count: 0
    .wavefront_size: 32
  - .args:
      - .offset:         0
        .size:           8
        .value_kind:     by_value
      - .offset:         8
        .size:           8
        .value_kind:     by_value
      - .offset:         16
        .size:           8
        .value_kind:     by_value
      - .offset:         24
        .size:           4
        .value_kind:     by_value
      - .address_space:  global
        .offset:         32
        .size:           8
        .value_kind:     global_buffer
      - .offset:         40
        .size:           8
        .value_kind:     by_value
      - .offset:         48
        .size:           8
        .value_kind:     by_value
      - .address_space:  global
        .offset:         56
        .size:           8
        .value_kind:     global_buffer
      - .offset:         64
        .size:           8
        .value_kind:     by_value
      - .offset:         72
        .size:           8
        .value_kind:     by_value
      - .offset:         80
        .size:           4
        .value_kind:     by_value
      - .address_space:  global
        .offset:         88
        .size:           8
        .value_kind:     global_buffer
      - .offset:         96
        .size:           8
        .value_kind:     by_value
      - .offset:         104
        .size:           8
        .value_kind:     by_value
      - .address_space:  global
        .offset:         112
        .size:           8
        .value_kind:     global_buffer
      - .offset:         120
        .size:           8
        .value_kind:     by_value
      - .offset:         128
        .size:           8
        .value_kind:     by_value
      - .offset:         136
        .size:           4
        .value_kind:     by_value
    .group_segment_fixed_size: 2048
    .kernarg_segment_align: 8
    .kernarg_segment_size: 140
    .language:       OpenCL C
    .language_version:
      - 2
      - 0
    .max_flat_workgroup_size: 256
    .name:           _ZN12_GLOBAL__N_135rocblas_gemm_batched_general_kernelIfLi16ELi16ELi32ELi32ELi8ELi32ELi8ELi8ELi32ELc78ELc84EKPKfS3_KPfEEvlllT_PT11_llS8_llS6_PT12_llPT13_lli
    .private_segment_fixed_size: 0
    .sgpr_count:     48
    .sgpr_spill_count: 0
    .symbol:         _ZN12_GLOBAL__N_135rocblas_gemm_batched_general_kernelIfLi16ELi16ELi32ELi32ELi8ELi32ELi8ELi8ELi32ELc78ELc84EKPKfS3_KPfEEvlllT_PT11_llS8_llS6_PT12_llPT13_lli.kd
    .uniform_work_group_size: 1
    .uses_dynamic_stack: false
    .vgpr_count:     56
    .vgpr_spill_count: 0
    .wavefront_size: 32
  - .args:
      - .offset:         0
        .size:           8
        .value_kind:     by_value
      - .offset:         8
        .size:           8
        .value_kind:     by_value
      - .offset:         16
        .size:           8
        .value_kind:     by_value
      - .offset:         24
        .size:           4
        .value_kind:     by_value
      - .address_space:  global
        .offset:         32
        .size:           8
        .value_kind:     global_buffer
      - .offset:         40
        .size:           8
        .value_kind:     by_value
      - .offset:         48
        .size:           8
        .value_kind:     by_value
      - .address_space:  global
        .offset:         56
        .size:           8
        .value_kind:     global_buffer
      - .offset:         64
        .size:           8
        .value_kind:     by_value
      - .offset:         72
        .size:           8
        .value_kind:     by_value
      - .offset:         80
        .size:           4
        .value_kind:     by_value
      - .address_space:  global
        .offset:         88
        .size:           8
        .value_kind:     global_buffer
      - .offset:         96
        .size:           8
        .value_kind:     by_value
      - .offset:         104
        .size:           8
        .value_kind:     by_value
      - .address_space:  global
        .offset:         112
        .size:           8
        .value_kind:     global_buffer
      - .offset:         120
        .size:           8
        .value_kind:     by_value
      - .offset:         128
        .size:           8
        .value_kind:     by_value
      - .offset:         136
        .size:           4
        .value_kind:     by_value
    .group_segment_fixed_size: 2048
    .kernarg_segment_align: 8
    .kernarg_segment_size: 140
    .language:       OpenCL C
    .language_version:
      - 2
      - 0
    .max_flat_workgroup_size: 256
    .name:           _ZN12_GLOBAL__N_135rocblas_gemm_batched_general_kernelIfLi16ELi16ELi32ELi32ELi8ELi32ELi8ELi8ELi32ELc84ELc84EKPKfS3_KPfEEvlllT_PT11_llS8_llS6_PT12_llPT13_lli
    .private_segment_fixed_size: 0
    .sgpr_count:     44
    .sgpr_spill_count: 0
    .symbol:         _ZN12_GLOBAL__N_135rocblas_gemm_batched_general_kernelIfLi16ELi16ELi32ELi32ELi8ELi32ELi8ELi8ELi32ELc84ELc84EKPKfS3_KPfEEvlllT_PT11_llS8_llS6_PT12_llPT13_lli.kd
    .uniform_work_group_size: 1
    .uses_dynamic_stack: false
    .vgpr_count:     56
    .vgpr_spill_count: 0
    .wavefront_size: 32
  - .args:
      - .offset:         0
        .size:           8
        .value_kind:     by_value
      - .offset:         8
        .size:           8
        .value_kind:     by_value
      - .offset:         16
        .size:           8
        .value_kind:     by_value
      - .offset:         24
        .size:           4
        .value_kind:     by_value
      - .address_space:  global
        .offset:         32
        .size:           8
        .value_kind:     global_buffer
      - .offset:         40
        .size:           8
        .value_kind:     by_value
      - .offset:         48
        .size:           8
        .value_kind:     by_value
      - .address_space:  global
        .offset:         56
        .size:           8
        .value_kind:     global_buffer
      - .offset:         64
        .size:           8
        .value_kind:     by_value
      - .offset:         72
        .size:           8
        .value_kind:     by_value
      - .offset:         80
        .size:           4
        .value_kind:     by_value
      - .address_space:  global
        .offset:         88
        .size:           8
        .value_kind:     global_buffer
      - .offset:         96
        .size:           8
        .value_kind:     by_value
      - .offset:         104
        .size:           8
        .value_kind:     by_value
      - .address_space:  global
        .offset:         112
        .size:           8
        .value_kind:     global_buffer
      - .offset:         120
        .size:           8
        .value_kind:     by_value
      - .offset:         128
        .size:           8
        .value_kind:     by_value
      - .offset:         136
        .size:           4
        .value_kind:     by_value
    .group_segment_fixed_size: 2048
    .kernarg_segment_align: 8
    .kernarg_segment_size: 140
    .language:       OpenCL C
    .language_version:
      - 2
      - 0
    .max_flat_workgroup_size: 256
    .name:           _ZN12_GLOBAL__N_135rocblas_gemm_batched_general_kernelIfLi16ELi16ELi32ELi32ELi8ELi32ELi8ELi8ELi32ELc67ELc67EKPKfS3_KPfEEvlllT_PT11_llS8_llS6_PT12_llPT13_lli
    .private_segment_fixed_size: 0
    .sgpr_count:     44
    .sgpr_spill_count: 0
    .symbol:         _ZN12_GLOBAL__N_135rocblas_gemm_batched_general_kernelIfLi16ELi16ELi32ELi32ELi8ELi32ELi8ELi8ELi32ELc67ELc67EKPKfS3_KPfEEvlllT_PT11_llS8_llS6_PT12_llPT13_lli.kd
    .uniform_work_group_size: 1
    .uses_dynamic_stack: false
    .vgpr_count:     56
    .vgpr_spill_count: 0
    .wavefront_size: 32
  - .args:
      - .offset:         0
        .size:           8
        .value_kind:     by_value
      - .offset:         8
        .size:           8
        .value_kind:     by_value
      - .offset:         16
        .size:           8
        .value_kind:     by_value
      - .offset:         24
        .size:           4
        .value_kind:     by_value
      - .address_space:  global
        .offset:         32
        .size:           8
        .value_kind:     global_buffer
      - .offset:         40
        .size:           8
        .value_kind:     by_value
      - .offset:         48
        .size:           8
        .value_kind:     by_value
      - .address_space:  global
        .offset:         56
        .size:           8
        .value_kind:     global_buffer
      - .offset:         64
        .size:           8
        .value_kind:     by_value
      - .offset:         72
        .size:           8
        .value_kind:     by_value
      - .offset:         80
        .size:           4
        .value_kind:     by_value
      - .address_space:  global
        .offset:         88
        .size:           8
        .value_kind:     global_buffer
      - .offset:         96
        .size:           8
        .value_kind:     by_value
      - .offset:         104
        .size:           8
        .value_kind:     by_value
      - .address_space:  global
        .offset:         112
        .size:           8
        .value_kind:     global_buffer
      - .offset:         120
        .size:           8
        .value_kind:     by_value
      - .offset:         128
        .size:           8
        .value_kind:     by_value
      - .offset:         136
        .size:           4
        .value_kind:     by_value
    .group_segment_fixed_size: 2048
    .kernarg_segment_align: 8
    .kernarg_segment_size: 140
    .language:       OpenCL C
    .language_version:
      - 2
      - 0
    .max_flat_workgroup_size: 256
    .name:           _ZN12_GLOBAL__N_135rocblas_gemm_batched_general_kernelIfLi16ELi16ELi32ELi32ELi8ELi32ELi8ELi8ELi32ELc67ELc78EKPKfS3_KPfEEvlllT_PT11_llS8_llS6_PT12_llPT13_lli
    .private_segment_fixed_size: 0
    .sgpr_count:     46
    .sgpr_spill_count: 0
    .symbol:         _ZN12_GLOBAL__N_135rocblas_gemm_batched_general_kernelIfLi16ELi16ELi32ELi32ELi8ELi32ELi8ELi8ELi32ELc67ELc78EKPKfS3_KPfEEvlllT_PT11_llS8_llS6_PT12_llPT13_lli.kd
    .uniform_work_group_size: 1
    .uses_dynamic_stack: false
    .vgpr_count:     56
    .vgpr_spill_count: 0
    .wavefront_size: 32
  - .args:
      - .offset:         0
        .size:           8
        .value_kind:     by_value
      - .offset:         8
        .size:           8
        .value_kind:     by_value
      - .offset:         16
        .size:           8
        .value_kind:     by_value
      - .offset:         24
        .size:           4
        .value_kind:     by_value
      - .address_space:  global
        .offset:         32
        .size:           8
        .value_kind:     global_buffer
      - .offset:         40
        .size:           8
        .value_kind:     by_value
      - .offset:         48
        .size:           8
        .value_kind:     by_value
      - .address_space:  global
        .offset:         56
        .size:           8
        .value_kind:     global_buffer
      - .offset:         64
        .size:           8
        .value_kind:     by_value
      - .offset:         72
        .size:           8
        .value_kind:     by_value
      - .offset:         80
        .size:           4
        .value_kind:     by_value
      - .address_space:  global
        .offset:         88
        .size:           8
        .value_kind:     global_buffer
      - .offset:         96
        .size:           8
        .value_kind:     by_value
      - .offset:         104
        .size:           8
        .value_kind:     by_value
      - .address_space:  global
        .offset:         112
        .size:           8
        .value_kind:     global_buffer
      - .offset:         120
        .size:           8
        .value_kind:     by_value
      - .offset:         128
        .size:           8
        .value_kind:     by_value
      - .offset:         136
        .size:           4
        .value_kind:     by_value
    .group_segment_fixed_size: 2048
    .kernarg_segment_align: 8
    .kernarg_segment_size: 140
    .language:       OpenCL C
    .language_version:
      - 2
      - 0
    .max_flat_workgroup_size: 256
    .name:           _ZN12_GLOBAL__N_135rocblas_gemm_batched_general_kernelIfLi16ELi16ELi32ELi32ELi8ELi32ELi8ELi8ELi32ELc67ELc84EKPKfS3_KPfEEvlllT_PT11_llS8_llS6_PT12_llPT13_lli
    .private_segment_fixed_size: 0
    .sgpr_count:     44
    .sgpr_spill_count: 0
    .symbol:         _ZN12_GLOBAL__N_135rocblas_gemm_batched_general_kernelIfLi16ELi16ELi32ELi32ELi8ELi32ELi8ELi8ELi32ELc67ELc84EKPKfS3_KPfEEvlllT_PT11_llS8_llS6_PT12_llPT13_lli.kd
    .uniform_work_group_size: 1
    .uses_dynamic_stack: false
    .vgpr_count:     56
    .vgpr_spill_count: 0
    .wavefront_size: 32
  - .args:
      - .offset:         0
        .size:           8
        .value_kind:     by_value
      - .offset:         8
        .size:           8
        .value_kind:     by_value
      - .offset:         16
        .size:           8
        .value_kind:     by_value
      - .offset:         24
        .size:           4
        .value_kind:     by_value
      - .address_space:  global
        .offset:         32
        .size:           8
        .value_kind:     global_buffer
      - .offset:         40
        .size:           8
        .value_kind:     by_value
      - .offset:         48
        .size:           8
        .value_kind:     by_value
      - .address_space:  global
        .offset:         56
        .size:           8
        .value_kind:     global_buffer
      - .offset:         64
        .size:           8
        .value_kind:     by_value
      - .offset:         72
        .size:           8
        .value_kind:     by_value
      - .offset:         80
        .size:           4
        .value_kind:     by_value
      - .address_space:  global
        .offset:         88
        .size:           8
        .value_kind:     global_buffer
      - .offset:         96
        .size:           8
        .value_kind:     by_value
      - .offset:         104
        .size:           8
        .value_kind:     by_value
      - .address_space:  global
        .offset:         112
        .size:           8
        .value_kind:     global_buffer
      - .offset:         120
        .size:           8
        .value_kind:     by_value
      - .offset:         128
        .size:           8
        .value_kind:     by_value
      - .offset:         136
        .size:           4
        .value_kind:     by_value
    .group_segment_fixed_size: 2048
    .kernarg_segment_align: 8
    .kernarg_segment_size: 140
    .language:       OpenCL C
    .language_version:
      - 2
      - 0
    .max_flat_workgroup_size: 256
    .name:           _ZN12_GLOBAL__N_135rocblas_gemm_batched_general_kernelIfLi16ELi16ELi32ELi32ELi8ELi32ELi8ELi8ELi32ELc78ELc67EKPKfS3_KPfEEvlllT_PT11_llS8_llS6_PT12_llPT13_lli
    .private_segment_fixed_size: 0
    .sgpr_count:     48
    .sgpr_spill_count: 0
    .symbol:         _ZN12_GLOBAL__N_135rocblas_gemm_batched_general_kernelIfLi16ELi16ELi32ELi32ELi8ELi32ELi8ELi8ELi32ELc78ELc67EKPKfS3_KPfEEvlllT_PT11_llS8_llS6_PT12_llPT13_lli.kd
    .uniform_work_group_size: 1
    .uses_dynamic_stack: false
    .vgpr_count:     56
    .vgpr_spill_count: 0
    .wavefront_size: 32
  - .args:
      - .offset:         0
        .size:           8
        .value_kind:     by_value
      - .offset:         8
        .size:           8
        .value_kind:     by_value
      - .offset:         16
        .size:           8
        .value_kind:     by_value
      - .offset:         24
        .size:           4
        .value_kind:     by_value
      - .address_space:  global
        .offset:         32
        .size:           8
        .value_kind:     global_buffer
      - .offset:         40
        .size:           8
        .value_kind:     by_value
      - .offset:         48
        .size:           8
        .value_kind:     by_value
      - .address_space:  global
        .offset:         56
        .size:           8
        .value_kind:     global_buffer
      - .offset:         64
        .size:           8
        .value_kind:     by_value
      - .offset:         72
        .size:           8
        .value_kind:     by_value
      - .offset:         80
        .size:           4
        .value_kind:     by_value
      - .address_space:  global
        .offset:         88
        .size:           8
        .value_kind:     global_buffer
      - .offset:         96
        .size:           8
        .value_kind:     by_value
      - .offset:         104
        .size:           8
        .value_kind:     by_value
      - .address_space:  global
        .offset:         112
        .size:           8
        .value_kind:     global_buffer
      - .offset:         120
        .size:           8
        .value_kind:     by_value
      - .offset:         128
        .size:           8
        .value_kind:     by_value
      - .offset:         136
        .size:           4
        .value_kind:     by_value
    .group_segment_fixed_size: 2048
    .kernarg_segment_align: 8
    .kernarg_segment_size: 140
    .language:       OpenCL C
    .language_version:
      - 2
      - 0
    .max_flat_workgroup_size: 256
    .name:           _ZN12_GLOBAL__N_135rocblas_gemm_batched_general_kernelIfLi16ELi16ELi32ELi32ELi8ELi32ELi8ELi8ELi32ELc84ELc67EKPKfS3_KPfEEvlllT_PT11_llS8_llS6_PT12_llPT13_lli
    .private_segment_fixed_size: 0
    .sgpr_count:     44
    .sgpr_spill_count: 0
    .symbol:         _ZN12_GLOBAL__N_135rocblas_gemm_batched_general_kernelIfLi16ELi16ELi32ELi32ELi8ELi32ELi8ELi8ELi32ELc84ELc67EKPKfS3_KPfEEvlllT_PT11_llS8_llS6_PT12_llPT13_lli.kd
    .uniform_work_group_size: 1
    .uses_dynamic_stack: false
    .vgpr_count:     56
    .vgpr_spill_count: 0
    .wavefront_size: 32
  - .args:
      - .offset:         0
        .size:           4
        .value_kind:     by_value
      - .offset:         4
        .size:           4
        .value_kind:     by_value
      - .offset:         8
        .size:           2
        .value_kind:     by_value
      - .address_space:  global
        .offset:         16
        .size:           8
        .value_kind:     global_buffer
      - .offset:         24
        .size:           8
        .value_kind:     by_value
      - .offset:         32
        .size:           8
        .value_kind:     by_value
      - .offset:         40
        .size:           8
        .value_kind:     by_value
      - .address_space:  global
        .offset:         48
        .size:           8
        .value_kind:     global_buffer
      - .offset:         56
        .size:           8
        .value_kind:     by_value
      - .offset:         64
        .size:           8
        .value_kind:     by_value
      - .offset:         72
        .size:           8
        .value_kind:     by_value
      - .offset:         80
        .size:           4
        .value_kind:     by_value
    .group_segment_fixed_size: 0
    .kernarg_segment_align: 8
    .kernarg_segment_size: 84
    .language:       OpenCL C
    .language_version:
      - 2
      - 0
    .max_flat_workgroup_size: 1024
    .name:           _ZN12_GLOBAL__N_120gemm_ex_scale_kernelILi32ELi32EDF16_PKPKDF16_PKPDF16_EEviiT1_T2_lllT3_llli
    .private_segment_fixed_size: 0
    .sgpr_count:     25
    .sgpr_spill_count: 0
    .symbol:         _ZN12_GLOBAL__N_120gemm_ex_scale_kernelILi32ELi32EDF16_PKPKDF16_PKPDF16_EEviiT1_T2_lllT3_llli.kd
    .uniform_work_group_size: 1
    .uses_dynamic_stack: false
    .vgpr_count:     10
    .vgpr_spill_count: 0
    .wavefront_size: 32
  - .args:
      - .offset:         0
        .size:           8
        .value_kind:     by_value
      - .offset:         8
        .size:           8
        .value_kind:     by_value
      - .offset:         16
        .size:           8
        .value_kind:     by_value
      - .offset:         24
        .size:           2
        .value_kind:     by_value
      - .address_space:  global
        .offset:         32
        .size:           8
        .value_kind:     global_buffer
      - .offset:         40
        .size:           8
        .value_kind:     by_value
      - .offset:         48
        .size:           8
        .value_kind:     by_value
      - .address_space:  global
        .offset:         56
        .size:           8
        .value_kind:     global_buffer
      - .offset:         64
        .size:           8
        .value_kind:     by_value
      - .offset:         72
        .size:           8
        .value_kind:     by_value
      - .offset:         80
        .size:           2
        .value_kind:     by_value
      - .address_space:  global
        .offset:         88
        .size:           8
        .value_kind:     global_buffer
      - .offset:         96
        .size:           8
        .value_kind:     by_value
      - .offset:         104
        .size:           8
        .value_kind:     by_value
      - .address_space:  global
        .offset:         112
        .size:           8
        .value_kind:     global_buffer
      - .offset:         120
        .size:           8
        .value_kind:     by_value
      - .offset:         128
        .size:           8
        .value_kind:     by_value
      - .offset:         136
        .size:           4
        .value_kind:     by_value
    .group_segment_fixed_size: 1024
    .kernarg_segment_align: 8
    .kernarg_segment_size: 140
    .language:       OpenCL C
    .language_version:
      - 2
      - 0
    .max_flat_workgroup_size: 256
    .name:           _ZN12_GLOBAL__N_127rocblas_gemm_batched_kernelIDF16_Li16ELi16ELi64ELi64ELi4ELi64ELi4ELi4ELi64ELc78ELc78EKPKDF16_S3_KPDF16_EEvlllT_PT11_llS8_llS6_PT12_llPT13_lli
    .private_segment_fixed_size: 0
    .sgpr_count:     38
    .sgpr_spill_count: 0
    .symbol:         _ZN12_GLOBAL__N_127rocblas_gemm_batched_kernelIDF16_Li16ELi16ELi64ELi64ELi4ELi64ELi4ELi4ELi64ELc78ELc78EKPKDF16_S3_KPDF16_EEvlllT_PT11_llS8_llS6_PT12_llPT13_lli.kd
    .uniform_work_group_size: 1
    .uses_dynamic_stack: false
    .vgpr_count:     55
    .vgpr_spill_count: 0
    .wavefront_size: 32
  - .args:
      - .offset:         0
        .size:           8
        .value_kind:     by_value
      - .offset:         8
        .size:           8
        .value_kind:     by_value
      - .offset:         16
        .size:           8
        .value_kind:     by_value
      - .offset:         24
        .size:           2
        .value_kind:     by_value
      - .address_space:  global
        .offset:         32
        .size:           8
        .value_kind:     global_buffer
      - .offset:         40
        .size:           8
        .value_kind:     by_value
      - .offset:         48
        .size:           8
        .value_kind:     by_value
      - .address_space:  global
        .offset:         56
        .size:           8
        .value_kind:     global_buffer
      - .offset:         64
        .size:           8
        .value_kind:     by_value
      - .offset:         72
        .size:           8
        .value_kind:     by_value
      - .offset:         80
        .size:           2
        .value_kind:     by_value
      - .address_space:  global
        .offset:         88
        .size:           8
        .value_kind:     global_buffer
      - .offset:         96
        .size:           8
        .value_kind:     by_value
      - .offset:         104
        .size:           8
        .value_kind:     by_value
      - .address_space:  global
        .offset:         112
        .size:           8
        .value_kind:     global_buffer
      - .offset:         120
        .size:           8
        .value_kind:     by_value
      - .offset:         128
        .size:           8
        .value_kind:     by_value
      - .offset:         136
        .size:           4
        .value_kind:     by_value
    .group_segment_fixed_size: 1024
    .kernarg_segment_align: 8
    .kernarg_segment_size: 140
    .language:       OpenCL C
    .language_version:
      - 2
      - 0
    .max_flat_workgroup_size: 256
    .name:           _ZN12_GLOBAL__N_127rocblas_gemm_batched_kernelIDF16_Li16ELi16ELi64ELi64ELi4ELi64ELi4ELi4ELi64ELc84ELc78EKPKDF16_S3_KPDF16_EEvlllT_PT11_llS8_llS6_PT12_llPT13_lli
    .private_segment_fixed_size: 0
    .sgpr_count:     38
    .sgpr_spill_count: 0
    .symbol:         _ZN12_GLOBAL__N_127rocblas_gemm_batched_kernelIDF16_Li16ELi16ELi64ELi64ELi4ELi64ELi4ELi4ELi64ELc84ELc78EKPKDF16_S3_KPDF16_EEvlllT_PT11_llS8_llS6_PT12_llPT13_lli.kd
    .uniform_work_group_size: 1
    .uses_dynamic_stack: false
    .vgpr_count:     55
    .vgpr_spill_count: 0
    .wavefront_size: 32
  - .args:
      - .offset:         0
        .size:           8
        .value_kind:     by_value
      - .offset:         8
        .size:           8
        .value_kind:     by_value
      - .offset:         16
        .size:           8
        .value_kind:     by_value
      - .offset:         24
        .size:           2
        .value_kind:     by_value
      - .address_space:  global
        .offset:         32
        .size:           8
        .value_kind:     global_buffer
      - .offset:         40
        .size:           8
        .value_kind:     by_value
      - .offset:         48
        .size:           8
        .value_kind:     by_value
      - .address_space:  global
        .offset:         56
        .size:           8
        .value_kind:     global_buffer
      - .offset:         64
        .size:           8
        .value_kind:     by_value
      - .offset:         72
        .size:           8
        .value_kind:     by_value
      - .offset:         80
        .size:           2
        .value_kind:     by_value
      - .address_space:  global
        .offset:         88
        .size:           8
        .value_kind:     global_buffer
      - .offset:         96
        .size:           8
        .value_kind:     by_value
      - .offset:         104
        .size:           8
        .value_kind:     by_value
      - .address_space:  global
        .offset:         112
        .size:           8
        .value_kind:     global_buffer
      - .offset:         120
        .size:           8
        .value_kind:     by_value
      - .offset:         128
        .size:           8
        .value_kind:     by_value
      - .offset:         136
        .size:           4
        .value_kind:     by_value
    .group_segment_fixed_size: 1024
    .kernarg_segment_align: 8
    .kernarg_segment_size: 140
    .language:       OpenCL C
    .language_version:
      - 2
      - 0
    .max_flat_workgroup_size: 256
    .name:           _ZN12_GLOBAL__N_127rocblas_gemm_batched_kernelIDF16_Li16ELi16ELi64ELi64ELi4ELi64ELi4ELi4ELi64ELc78ELc84EKPKDF16_S3_KPDF16_EEvlllT_PT11_llS8_llS6_PT12_llPT13_lli
    .private_segment_fixed_size: 0
    .sgpr_count:     40
    .sgpr_spill_count: 0
    .symbol:         _ZN12_GLOBAL__N_127rocblas_gemm_batched_kernelIDF16_Li16ELi16ELi64ELi64ELi4ELi64ELi4ELi4ELi64ELc78ELc84EKPKDF16_S3_KPDF16_EEvlllT_PT11_llS8_llS6_PT12_llPT13_lli.kd
    .uniform_work_group_size: 1
    .uses_dynamic_stack: false
    .vgpr_count:     55
    .vgpr_spill_count: 0
    .wavefront_size: 32
  - .args:
      - .offset:         0
        .size:           8
        .value_kind:     by_value
      - .offset:         8
        .size:           8
        .value_kind:     by_value
      - .offset:         16
        .size:           8
        .value_kind:     by_value
      - .offset:         24
        .size:           2
        .value_kind:     by_value
      - .address_space:  global
        .offset:         32
        .size:           8
        .value_kind:     global_buffer
      - .offset:         40
        .size:           8
        .value_kind:     by_value
      - .offset:         48
        .size:           8
        .value_kind:     by_value
      - .address_space:  global
        .offset:         56
        .size:           8
        .value_kind:     global_buffer
      - .offset:         64
        .size:           8
        .value_kind:     by_value
      - .offset:         72
        .size:           8
        .value_kind:     by_value
      - .offset:         80
        .size:           2
        .value_kind:     by_value
      - .address_space:  global
        .offset:         88
        .size:           8
        .value_kind:     global_buffer
      - .offset:         96
        .size:           8
        .value_kind:     by_value
      - .offset:         104
        .size:           8
        .value_kind:     by_value
      - .address_space:  global
        .offset:         112
        .size:           8
        .value_kind:     global_buffer
      - .offset:         120
        .size:           8
        .value_kind:     by_value
      - .offset:         128
        .size:           8
        .value_kind:     by_value
      - .offset:         136
        .size:           4
        .value_kind:     by_value
    .group_segment_fixed_size: 1024
    .kernarg_segment_align: 8
    .kernarg_segment_size: 140
    .language:       OpenCL C
    .language_version:
      - 2
      - 0
    .max_flat_workgroup_size: 256
    .name:           _ZN12_GLOBAL__N_127rocblas_gemm_batched_kernelIDF16_Li16ELi16ELi64ELi64ELi4ELi64ELi4ELi4ELi64ELc84ELc84EKPKDF16_S3_KPDF16_EEvlllT_PT11_llS8_llS6_PT12_llPT13_lli
    .private_segment_fixed_size: 0
    .sgpr_count:     38
    .sgpr_spill_count: 0
    .symbol:         _ZN12_GLOBAL__N_127rocblas_gemm_batched_kernelIDF16_Li16ELi16ELi64ELi64ELi4ELi64ELi4ELi4ELi64ELc84ELc84EKPKDF16_S3_KPDF16_EEvlllT_PT11_llS8_llS6_PT12_llPT13_lli.kd
    .uniform_work_group_size: 1
    .uses_dynamic_stack: false
    .vgpr_count:     55
    .vgpr_spill_count: 0
    .wavefront_size: 32
  - .args:
      - .offset:         0
        .size:           8
        .value_kind:     by_value
      - .offset:         8
        .size:           8
        .value_kind:     by_value
      - .offset:         16
        .size:           8
        .value_kind:     by_value
      - .offset:         24
        .size:           2
        .value_kind:     by_value
      - .address_space:  global
        .offset:         32
        .size:           8
        .value_kind:     global_buffer
      - .offset:         40
        .size:           8
        .value_kind:     by_value
      - .offset:         48
        .size:           8
        .value_kind:     by_value
      - .address_space:  global
        .offset:         56
        .size:           8
        .value_kind:     global_buffer
      - .offset:         64
        .size:           8
        .value_kind:     by_value
      - .offset:         72
        .size:           8
        .value_kind:     by_value
      - .offset:         80
        .size:           2
        .value_kind:     by_value
      - .address_space:  global
        .offset:         88
        .size:           8
        .value_kind:     global_buffer
      - .offset:         96
        .size:           8
        .value_kind:     by_value
      - .offset:         104
        .size:           8
        .value_kind:     by_value
      - .address_space:  global
        .offset:         112
        .size:           8
        .value_kind:     global_buffer
      - .offset:         120
        .size:           8
        .value_kind:     by_value
      - .offset:         128
        .size:           8
        .value_kind:     by_value
      - .offset:         136
        .size:           4
        .value_kind:     by_value
    .group_segment_fixed_size: 1024
    .kernarg_segment_align: 8
    .kernarg_segment_size: 140
    .language:       OpenCL C
    .language_version:
      - 2
      - 0
    .max_flat_workgroup_size: 256
    .name:           _ZN12_GLOBAL__N_127rocblas_gemm_batched_kernelIDF16_Li16ELi16ELi64ELi64ELi4ELi64ELi4ELi4ELi64ELc67ELc67EKPKDF16_S3_KPDF16_EEvlllT_PT11_llS8_llS6_PT12_llPT13_lli
    .private_segment_fixed_size: 0
    .sgpr_count:     38
    .sgpr_spill_count: 0
    .symbol:         _ZN12_GLOBAL__N_127rocblas_gemm_batched_kernelIDF16_Li16ELi16ELi64ELi64ELi4ELi64ELi4ELi4ELi64ELc67ELc67EKPKDF16_S3_KPDF16_EEvlllT_PT11_llS8_llS6_PT12_llPT13_lli.kd
    .uniform_work_group_size: 1
    .uses_dynamic_stack: false
    .vgpr_count:     55
    .vgpr_spill_count: 0
    .wavefront_size: 32
  - .args:
      - .offset:         0
        .size:           8
        .value_kind:     by_value
      - .offset:         8
        .size:           8
        .value_kind:     by_value
      - .offset:         16
        .size:           8
        .value_kind:     by_value
      - .offset:         24
        .size:           2
        .value_kind:     by_value
      - .address_space:  global
        .offset:         32
        .size:           8
        .value_kind:     global_buffer
      - .offset:         40
        .size:           8
        .value_kind:     by_value
      - .offset:         48
        .size:           8
        .value_kind:     by_value
      - .address_space:  global
        .offset:         56
        .size:           8
        .value_kind:     global_buffer
      - .offset:         64
        .size:           8
        .value_kind:     by_value
      - .offset:         72
        .size:           8
        .value_kind:     by_value
      - .offset:         80
        .size:           2
        .value_kind:     by_value
      - .address_space:  global
        .offset:         88
        .size:           8
        .value_kind:     global_buffer
      - .offset:         96
        .size:           8
        .value_kind:     by_value
      - .offset:         104
        .size:           8
        .value_kind:     by_value
      - .address_space:  global
        .offset:         112
        .size:           8
        .value_kind:     global_buffer
      - .offset:         120
        .size:           8
        .value_kind:     by_value
      - .offset:         128
        .size:           8
        .value_kind:     by_value
      - .offset:         136
        .size:           4
        .value_kind:     by_value
    .group_segment_fixed_size: 1024
    .kernarg_segment_align: 8
    .kernarg_segment_size: 140
    .language:       OpenCL C
    .language_version:
      - 2
      - 0
    .max_flat_workgroup_size: 256
    .name:           _ZN12_GLOBAL__N_127rocblas_gemm_batched_kernelIDF16_Li16ELi16ELi64ELi64ELi4ELi64ELi4ELi4ELi64ELc67ELc78EKPKDF16_S3_KPDF16_EEvlllT_PT11_llS8_llS6_PT12_llPT13_lli
    .private_segment_fixed_size: 0
    .sgpr_count:     38
    .sgpr_spill_count: 0
    .symbol:         _ZN12_GLOBAL__N_127rocblas_gemm_batched_kernelIDF16_Li16ELi16ELi64ELi64ELi4ELi64ELi4ELi4ELi64ELc67ELc78EKPKDF16_S3_KPDF16_EEvlllT_PT11_llS8_llS6_PT12_llPT13_lli.kd
    .uniform_work_group_size: 1
    .uses_dynamic_stack: false
    .vgpr_count:     55
    .vgpr_spill_count: 0
    .wavefront_size: 32
  - .args:
      - .offset:         0
        .size:           8
        .value_kind:     by_value
      - .offset:         8
        .size:           8
        .value_kind:     by_value
      - .offset:         16
        .size:           8
        .value_kind:     by_value
      - .offset:         24
        .size:           2
        .value_kind:     by_value
      - .address_space:  global
        .offset:         32
        .size:           8
        .value_kind:     global_buffer
      - .offset:         40
        .size:           8
        .value_kind:     by_value
      - .offset:         48
        .size:           8
        .value_kind:     by_value
      - .address_space:  global
        .offset:         56
        .size:           8
        .value_kind:     global_buffer
      - .offset:         64
        .size:           8
        .value_kind:     by_value
      - .offset:         72
        .size:           8
        .value_kind:     by_value
      - .offset:         80
        .size:           2
        .value_kind:     by_value
      - .address_space:  global
        .offset:         88
        .size:           8
        .value_kind:     global_buffer
      - .offset:         96
        .size:           8
        .value_kind:     by_value
      - .offset:         104
        .size:           8
        .value_kind:     by_value
      - .address_space:  global
        .offset:         112
        .size:           8
        .value_kind:     global_buffer
      - .offset:         120
        .size:           8
        .value_kind:     by_value
      - .offset:         128
        .size:           8
        .value_kind:     by_value
      - .offset:         136
        .size:           4
        .value_kind:     by_value
    .group_segment_fixed_size: 1024
    .kernarg_segment_align: 8
    .kernarg_segment_size: 140
    .language:       OpenCL C
    .language_version:
      - 2
      - 0
    .max_flat_workgroup_size: 256
    .name:           _ZN12_GLOBAL__N_127rocblas_gemm_batched_kernelIDF16_Li16ELi16ELi64ELi64ELi4ELi64ELi4ELi4ELi64ELc67ELc84EKPKDF16_S3_KPDF16_EEvlllT_PT11_llS8_llS6_PT12_llPT13_lli
    .private_segment_fixed_size: 0
    .sgpr_count:     38
    .sgpr_spill_count: 0
    .symbol:         _ZN12_GLOBAL__N_127rocblas_gemm_batched_kernelIDF16_Li16ELi16ELi64ELi64ELi4ELi64ELi4ELi4ELi64ELc67ELc84EKPKDF16_S3_KPDF16_EEvlllT_PT11_llS8_llS6_PT12_llPT13_lli.kd
    .uniform_work_group_size: 1
    .uses_dynamic_stack: false
    .vgpr_count:     55
    .vgpr_spill_count: 0
    .wavefront_size: 32
  - .args:
      - .offset:         0
        .size:           8
        .value_kind:     by_value
      - .offset:         8
        .size:           8
        .value_kind:     by_value
      - .offset:         16
        .size:           8
        .value_kind:     by_value
      - .offset:         24
        .size:           2
        .value_kind:     by_value
      - .address_space:  global
        .offset:         32
        .size:           8
        .value_kind:     global_buffer
      - .offset:         40
        .size:           8
        .value_kind:     by_value
      - .offset:         48
        .size:           8
        .value_kind:     by_value
      - .address_space:  global
        .offset:         56
        .size:           8
        .value_kind:     global_buffer
      - .offset:         64
        .size:           8
        .value_kind:     by_value
      - .offset:         72
        .size:           8
        .value_kind:     by_value
      - .offset:         80
        .size:           2
        .value_kind:     by_value
      - .address_space:  global
        .offset:         88
        .size:           8
        .value_kind:     global_buffer
      - .offset:         96
        .size:           8
        .value_kind:     by_value
      - .offset:         104
        .size:           8
        .value_kind:     by_value
      - .address_space:  global
        .offset:         112
        .size:           8
        .value_kind:     global_buffer
      - .offset:         120
        .size:           8
        .value_kind:     by_value
      - .offset:         128
        .size:           8
        .value_kind:     by_value
      - .offset:         136
        .size:           4
        .value_kind:     by_value
    .group_segment_fixed_size: 1024
    .kernarg_segment_align: 8
    .kernarg_segment_size: 140
    .language:       OpenCL C
    .language_version:
      - 2
      - 0
    .max_flat_workgroup_size: 256
    .name:           _ZN12_GLOBAL__N_127rocblas_gemm_batched_kernelIDF16_Li16ELi16ELi64ELi64ELi4ELi64ELi4ELi4ELi64ELc78ELc67EKPKDF16_S3_KPDF16_EEvlllT_PT11_llS8_llS6_PT12_llPT13_lli
    .private_segment_fixed_size: 0
    .sgpr_count:     40
    .sgpr_spill_count: 0
    .symbol:         _ZN12_GLOBAL__N_127rocblas_gemm_batched_kernelIDF16_Li16ELi16ELi64ELi64ELi4ELi64ELi4ELi4ELi64ELc78ELc67EKPKDF16_S3_KPDF16_EEvlllT_PT11_llS8_llS6_PT12_llPT13_lli.kd
    .uniform_work_group_size: 1
    .uses_dynamic_stack: false
    .vgpr_count:     55
    .vgpr_spill_count: 0
    .wavefront_size: 32
  - .args:
      - .offset:         0
        .size:           8
        .value_kind:     by_value
      - .offset:         8
        .size:           8
        .value_kind:     by_value
      - .offset:         16
        .size:           8
        .value_kind:     by_value
      - .offset:         24
        .size:           2
        .value_kind:     by_value
      - .address_space:  global
        .offset:         32
        .size:           8
        .value_kind:     global_buffer
      - .offset:         40
        .size:           8
        .value_kind:     by_value
      - .offset:         48
        .size:           8
        .value_kind:     by_value
      - .address_space:  global
        .offset:         56
        .size:           8
        .value_kind:     global_buffer
      - .offset:         64
        .size:           8
        .value_kind:     by_value
      - .offset:         72
        .size:           8
        .value_kind:     by_value
      - .offset:         80
        .size:           2
        .value_kind:     by_value
      - .address_space:  global
        .offset:         88
        .size:           8
        .value_kind:     global_buffer
      - .offset:         96
        .size:           8
        .value_kind:     by_value
      - .offset:         104
        .size:           8
        .value_kind:     by_value
      - .address_space:  global
        .offset:         112
        .size:           8
        .value_kind:     global_buffer
      - .offset:         120
        .size:           8
        .value_kind:     by_value
      - .offset:         128
        .size:           8
        .value_kind:     by_value
      - .offset:         136
        .size:           4
        .value_kind:     by_value
    .group_segment_fixed_size: 1024
    .kernarg_segment_align: 8
    .kernarg_segment_size: 140
    .language:       OpenCL C
    .language_version:
      - 2
      - 0
    .max_flat_workgroup_size: 256
    .name:           _ZN12_GLOBAL__N_127rocblas_gemm_batched_kernelIDF16_Li16ELi16ELi64ELi64ELi4ELi64ELi4ELi4ELi64ELc84ELc67EKPKDF16_S3_KPDF16_EEvlllT_PT11_llS8_llS6_PT12_llPT13_lli
    .private_segment_fixed_size: 0
    .sgpr_count:     38
    .sgpr_spill_count: 0
    .symbol:         _ZN12_GLOBAL__N_127rocblas_gemm_batched_kernelIDF16_Li16ELi16ELi64ELi64ELi4ELi64ELi4ELi4ELi64ELc84ELc67EKPKDF16_S3_KPDF16_EEvlllT_PT11_llS8_llS6_PT12_llPT13_lli.kd
    .uniform_work_group_size: 1
    .uses_dynamic_stack: false
    .vgpr_count:     55
    .vgpr_spill_count: 0
    .wavefront_size: 32
  - .args:
      - .offset:         0
        .size:           8
        .value_kind:     by_value
      - .offset:         8
        .size:           8
        .value_kind:     by_value
      - .offset:         16
        .size:           8
        .value_kind:     by_value
      - .offset:         24
        .size:           2
        .value_kind:     by_value
      - .address_space:  global
        .offset:         32
        .size:           8
        .value_kind:     global_buffer
      - .offset:         40
        .size:           8
        .value_kind:     by_value
      - .offset:         48
        .size:           8
        .value_kind:     by_value
      - .address_space:  global
        .offset:         56
        .size:           8
        .value_kind:     global_buffer
      - .offset:         64
        .size:           8
        .value_kind:     by_value
      - .offset:         72
        .size:           8
        .value_kind:     by_value
      - .offset:         80
        .size:           2
        .value_kind:     by_value
      - .address_space:  global
        .offset:         88
        .size:           8
        .value_kind:     global_buffer
      - .offset:         96
        .size:           8
        .value_kind:     by_value
      - .offset:         104
        .size:           8
        .value_kind:     by_value
      - .address_space:  global
        .offset:         112
        .size:           8
        .value_kind:     global_buffer
      - .offset:         120
        .size:           8
        .value_kind:     by_value
      - .offset:         128
        .size:           8
        .value_kind:     by_value
      - .offset:         136
        .size:           4
        .value_kind:     by_value
    .group_segment_fixed_size: 1024
    .kernarg_segment_align: 8
    .kernarg_segment_size: 140
    .language:       OpenCL C
    .language_version:
      - 2
      - 0
    .max_flat_workgroup_size: 256
    .name:           _ZN12_GLOBAL__N_127rocblas_gemm_batched_kernelIDF16_Li16ELi16ELi32ELi32ELi8ELi32ELi8ELi8ELi32ELc78ELc78EKPKDF16_S3_KPDF16_EEvlllT_PT11_llS8_llS6_PT12_llPT13_lli
    .private_segment_fixed_size: 0
    .sgpr_count:     40
    .sgpr_spill_count: 0
    .symbol:         _ZN12_GLOBAL__N_127rocblas_gemm_batched_kernelIDF16_Li16ELi16ELi32ELi32ELi8ELi32ELi8ELi8ELi32ELc78ELc78EKPKDF16_S3_KPDF16_EEvlllT_PT11_llS8_llS6_PT12_llPT13_lli.kd
    .uniform_work_group_size: 1
    .uses_dynamic_stack: false
    .vgpr_count:     49
    .vgpr_spill_count: 0
    .wavefront_size: 32
  - .args:
      - .offset:         0
        .size:           8
        .value_kind:     by_value
      - .offset:         8
        .size:           8
        .value_kind:     by_value
      - .offset:         16
        .size:           8
        .value_kind:     by_value
      - .offset:         24
        .size:           2
        .value_kind:     by_value
      - .address_space:  global
        .offset:         32
        .size:           8
        .value_kind:     global_buffer
      - .offset:         40
        .size:           8
        .value_kind:     by_value
      - .offset:         48
        .size:           8
        .value_kind:     by_value
      - .address_space:  global
        .offset:         56
        .size:           8
        .value_kind:     global_buffer
      - .offset:         64
        .size:           8
        .value_kind:     by_value
      - .offset:         72
        .size:           8
        .value_kind:     by_value
      - .offset:         80
        .size:           2
        .value_kind:     by_value
      - .address_space:  global
        .offset:         88
        .size:           8
        .value_kind:     global_buffer
      - .offset:         96
        .size:           8
        .value_kind:     by_value
      - .offset:         104
        .size:           8
        .value_kind:     by_value
      - .address_space:  global
        .offset:         112
        .size:           8
        .value_kind:     global_buffer
      - .offset:         120
        .size:           8
        .value_kind:     by_value
      - .offset:         128
        .size:           8
        .value_kind:     by_value
      - .offset:         136
        .size:           4
        .value_kind:     by_value
    .group_segment_fixed_size: 1024
    .kernarg_segment_align: 8
    .kernarg_segment_size: 140
    .language:       OpenCL C
    .language_version:
      - 2
      - 0
    .max_flat_workgroup_size: 256
    .name:           _ZN12_GLOBAL__N_127rocblas_gemm_batched_kernelIDF16_Li16ELi16ELi32ELi32ELi8ELi32ELi8ELi8ELi32ELc84ELc78EKPKDF16_S3_KPDF16_EEvlllT_PT11_llS8_llS6_PT12_llPT13_lli
    .private_segment_fixed_size: 0
    .sgpr_count:     40
    .sgpr_spill_count: 0
    .symbol:         _ZN12_GLOBAL__N_127rocblas_gemm_batched_kernelIDF16_Li16ELi16ELi32ELi32ELi8ELi32ELi8ELi8ELi32ELc84ELc78EKPKDF16_S3_KPDF16_EEvlllT_PT11_llS8_llS6_PT12_llPT13_lli.kd
    .uniform_work_group_size: 1
    .uses_dynamic_stack: false
    .vgpr_count:     49
    .vgpr_spill_count: 0
    .wavefront_size: 32
  - .args:
      - .offset:         0
        .size:           8
        .value_kind:     by_value
      - .offset:         8
        .size:           8
        .value_kind:     by_value
      - .offset:         16
        .size:           8
        .value_kind:     by_value
      - .offset:         24
        .size:           2
        .value_kind:     by_value
      - .address_space:  global
        .offset:         32
        .size:           8
        .value_kind:     global_buffer
      - .offset:         40
        .size:           8
        .value_kind:     by_value
      - .offset:         48
        .size:           8
        .value_kind:     by_value
      - .address_space:  global
        .offset:         56
        .size:           8
        .value_kind:     global_buffer
      - .offset:         64
        .size:           8
        .value_kind:     by_value
      - .offset:         72
        .size:           8
        .value_kind:     by_value
      - .offset:         80
        .size:           2
        .value_kind:     by_value
      - .address_space:  global
        .offset:         88
        .size:           8
        .value_kind:     global_buffer
      - .offset:         96
        .size:           8
        .value_kind:     by_value
      - .offset:         104
        .size:           8
        .value_kind:     by_value
      - .address_space:  global
        .offset:         112
        .size:           8
        .value_kind:     global_buffer
      - .offset:         120
        .size:           8
        .value_kind:     by_value
      - .offset:         128
        .size:           8
        .value_kind:     by_value
      - .offset:         136
        .size:           4
        .value_kind:     by_value
    .group_segment_fixed_size: 1024
    .kernarg_segment_align: 8
    .kernarg_segment_size: 140
    .language:       OpenCL C
    .language_version:
      - 2
      - 0
    .max_flat_workgroup_size: 256
    .name:           _ZN12_GLOBAL__N_127rocblas_gemm_batched_kernelIDF16_Li16ELi16ELi32ELi32ELi8ELi32ELi8ELi8ELi32ELc78ELc84EKPKDF16_S3_KPDF16_EEvlllT_PT11_llS8_llS6_PT12_llPT13_lli
    .private_segment_fixed_size: 0
    .sgpr_count:     40
    .sgpr_spill_count: 0
    .symbol:         _ZN12_GLOBAL__N_127rocblas_gemm_batched_kernelIDF16_Li16ELi16ELi32ELi32ELi8ELi32ELi8ELi8ELi32ELc78ELc84EKPKDF16_S3_KPDF16_EEvlllT_PT11_llS8_llS6_PT12_llPT13_lli.kd
    .uniform_work_group_size: 1
    .uses_dynamic_stack: false
    .vgpr_count:     49
    .vgpr_spill_count: 0
    .wavefront_size: 32
  - .args:
      - .offset:         0
        .size:           8
        .value_kind:     by_value
      - .offset:         8
        .size:           8
        .value_kind:     by_value
      - .offset:         16
        .size:           8
        .value_kind:     by_value
      - .offset:         24
        .size:           2
        .value_kind:     by_value
      - .address_space:  global
        .offset:         32
        .size:           8
        .value_kind:     global_buffer
      - .offset:         40
        .size:           8
        .value_kind:     by_value
      - .offset:         48
        .size:           8
        .value_kind:     by_value
      - .address_space:  global
        .offset:         56
        .size:           8
        .value_kind:     global_buffer
      - .offset:         64
        .size:           8
        .value_kind:     by_value
      - .offset:         72
        .size:           8
        .value_kind:     by_value
      - .offset:         80
        .size:           2
        .value_kind:     by_value
      - .address_space:  global
        .offset:         88
        .size:           8
        .value_kind:     global_buffer
      - .offset:         96
        .size:           8
        .value_kind:     by_value
      - .offset:         104
        .size:           8
        .value_kind:     by_value
      - .address_space:  global
        .offset:         112
        .size:           8
        .value_kind:     global_buffer
      - .offset:         120
        .size:           8
        .value_kind:     by_value
      - .offset:         128
        .size:           8
        .value_kind:     by_value
      - .offset:         136
        .size:           4
        .value_kind:     by_value
    .group_segment_fixed_size: 1024
    .kernarg_segment_align: 8
    .kernarg_segment_size: 140
    .language:       OpenCL C
    .language_version:
      - 2
      - 0
    .max_flat_workgroup_size: 256
    .name:           _ZN12_GLOBAL__N_127rocblas_gemm_batched_kernelIDF16_Li16ELi16ELi32ELi32ELi8ELi32ELi8ELi8ELi32ELc84ELc84EKPKDF16_S3_KPDF16_EEvlllT_PT11_llS8_llS6_PT12_llPT13_lli
    .private_segment_fixed_size: 0
    .sgpr_count:     39
    .sgpr_spill_count: 0
    .symbol:         _ZN12_GLOBAL__N_127rocblas_gemm_batched_kernelIDF16_Li16ELi16ELi32ELi32ELi8ELi32ELi8ELi8ELi32ELc84ELc84EKPKDF16_S3_KPDF16_EEvlllT_PT11_llS8_llS6_PT12_llPT13_lli.kd
    .uniform_work_group_size: 1
    .uses_dynamic_stack: false
    .vgpr_count:     49
    .vgpr_spill_count: 0
    .wavefront_size: 32
  - .args:
      - .offset:         0
        .size:           8
        .value_kind:     by_value
      - .offset:         8
        .size:           8
        .value_kind:     by_value
      - .offset:         16
        .size:           8
        .value_kind:     by_value
      - .offset:         24
        .size:           2
        .value_kind:     by_value
      - .address_space:  global
        .offset:         32
        .size:           8
        .value_kind:     global_buffer
      - .offset:         40
        .size:           8
        .value_kind:     by_value
      - .offset:         48
        .size:           8
        .value_kind:     by_value
      - .address_space:  global
        .offset:         56
        .size:           8
        .value_kind:     global_buffer
      - .offset:         64
        .size:           8
        .value_kind:     by_value
      - .offset:         72
        .size:           8
        .value_kind:     by_value
      - .offset:         80
        .size:           2
        .value_kind:     by_value
      - .address_space:  global
        .offset:         88
        .size:           8
        .value_kind:     global_buffer
      - .offset:         96
        .size:           8
        .value_kind:     by_value
      - .offset:         104
        .size:           8
        .value_kind:     by_value
      - .address_space:  global
        .offset:         112
        .size:           8
        .value_kind:     global_buffer
      - .offset:         120
        .size:           8
        .value_kind:     by_value
      - .offset:         128
        .size:           8
        .value_kind:     by_value
      - .offset:         136
        .size:           4
        .value_kind:     by_value
    .group_segment_fixed_size: 1024
    .kernarg_segment_align: 8
    .kernarg_segment_size: 140
    .language:       OpenCL C
    .language_version:
      - 2
      - 0
    .max_flat_workgroup_size: 256
    .name:           _ZN12_GLOBAL__N_127rocblas_gemm_batched_kernelIDF16_Li16ELi16ELi32ELi32ELi8ELi32ELi8ELi8ELi32ELc67ELc67EKPKDF16_S3_KPDF16_EEvlllT_PT11_llS8_llS6_PT12_llPT13_lli
    .private_segment_fixed_size: 0
    .sgpr_count:     39
    .sgpr_spill_count: 0
    .symbol:         _ZN12_GLOBAL__N_127rocblas_gemm_batched_kernelIDF16_Li16ELi16ELi32ELi32ELi8ELi32ELi8ELi8ELi32ELc67ELc67EKPKDF16_S3_KPDF16_EEvlllT_PT11_llS8_llS6_PT12_llPT13_lli.kd
    .uniform_work_group_size: 1
    .uses_dynamic_stack: false
    .vgpr_count:     49
    .vgpr_spill_count: 0
    .wavefront_size: 32
  - .args:
      - .offset:         0
        .size:           8
        .value_kind:     by_value
      - .offset:         8
        .size:           8
        .value_kind:     by_value
      - .offset:         16
        .size:           8
        .value_kind:     by_value
      - .offset:         24
        .size:           2
        .value_kind:     by_value
      - .address_space:  global
        .offset:         32
        .size:           8
        .value_kind:     global_buffer
      - .offset:         40
        .size:           8
        .value_kind:     by_value
      - .offset:         48
        .size:           8
        .value_kind:     by_value
      - .address_space:  global
        .offset:         56
        .size:           8
        .value_kind:     global_buffer
      - .offset:         64
        .size:           8
        .value_kind:     by_value
      - .offset:         72
        .size:           8
        .value_kind:     by_value
      - .offset:         80
        .size:           2
        .value_kind:     by_value
      - .address_space:  global
        .offset:         88
        .size:           8
        .value_kind:     global_buffer
      - .offset:         96
        .size:           8
        .value_kind:     by_value
      - .offset:         104
        .size:           8
        .value_kind:     by_value
      - .address_space:  global
        .offset:         112
        .size:           8
        .value_kind:     global_buffer
      - .offset:         120
        .size:           8
        .value_kind:     by_value
      - .offset:         128
        .size:           8
        .value_kind:     by_value
      - .offset:         136
        .size:           4
        .value_kind:     by_value
    .group_segment_fixed_size: 1024
    .kernarg_segment_align: 8
    .kernarg_segment_size: 140
    .language:       OpenCL C
    .language_version:
      - 2
      - 0
    .max_flat_workgroup_size: 256
    .name:           _ZN12_GLOBAL__N_127rocblas_gemm_batched_kernelIDF16_Li16ELi16ELi32ELi32ELi8ELi32ELi8ELi8ELi32ELc67ELc78EKPKDF16_S3_KPDF16_EEvlllT_PT11_llS8_llS6_PT12_llPT13_lli
    .private_segment_fixed_size: 0
    .sgpr_count:     40
    .sgpr_spill_count: 0
    .symbol:         _ZN12_GLOBAL__N_127rocblas_gemm_batched_kernelIDF16_Li16ELi16ELi32ELi32ELi8ELi32ELi8ELi8ELi32ELc67ELc78EKPKDF16_S3_KPDF16_EEvlllT_PT11_llS8_llS6_PT12_llPT13_lli.kd
    .uniform_work_group_size: 1
    .uses_dynamic_stack: false
    .vgpr_count:     49
    .vgpr_spill_count: 0
    .wavefront_size: 32
  - .args:
      - .offset:         0
        .size:           8
        .value_kind:     by_value
      - .offset:         8
        .size:           8
        .value_kind:     by_value
      - .offset:         16
        .size:           8
        .value_kind:     by_value
      - .offset:         24
        .size:           2
        .value_kind:     by_value
      - .address_space:  global
        .offset:         32
        .size:           8
        .value_kind:     global_buffer
      - .offset:         40
        .size:           8
        .value_kind:     by_value
      - .offset:         48
        .size:           8
        .value_kind:     by_value
      - .address_space:  global
        .offset:         56
        .size:           8
        .value_kind:     global_buffer
      - .offset:         64
        .size:           8
        .value_kind:     by_value
      - .offset:         72
        .size:           8
        .value_kind:     by_value
      - .offset:         80
        .size:           2
        .value_kind:     by_value
      - .address_space:  global
        .offset:         88
        .size:           8
        .value_kind:     global_buffer
      - .offset:         96
        .size:           8
        .value_kind:     by_value
      - .offset:         104
        .size:           8
        .value_kind:     by_value
      - .address_space:  global
        .offset:         112
        .size:           8
        .value_kind:     global_buffer
      - .offset:         120
        .size:           8
        .value_kind:     by_value
      - .offset:         128
        .size:           8
        .value_kind:     by_value
      - .offset:         136
        .size:           4
        .value_kind:     by_value
    .group_segment_fixed_size: 1024
    .kernarg_segment_align: 8
    .kernarg_segment_size: 140
    .language:       OpenCL C
    .language_version:
      - 2
      - 0
    .max_flat_workgroup_size: 256
    .name:           _ZN12_GLOBAL__N_127rocblas_gemm_batched_kernelIDF16_Li16ELi16ELi32ELi32ELi8ELi32ELi8ELi8ELi32ELc67ELc84EKPKDF16_S3_KPDF16_EEvlllT_PT11_llS8_llS6_PT12_llPT13_lli
    .private_segment_fixed_size: 0
    .sgpr_count:     39
    .sgpr_spill_count: 0
    .symbol:         _ZN12_GLOBAL__N_127rocblas_gemm_batched_kernelIDF16_Li16ELi16ELi32ELi32ELi8ELi32ELi8ELi8ELi32ELc67ELc84EKPKDF16_S3_KPDF16_EEvlllT_PT11_llS8_llS6_PT12_llPT13_lli.kd
    .uniform_work_group_size: 1
    .uses_dynamic_stack: false
    .vgpr_count:     49
    .vgpr_spill_count: 0
    .wavefront_size: 32
  - .args:
      - .offset:         0
        .size:           8
        .value_kind:     by_value
      - .offset:         8
        .size:           8
        .value_kind:     by_value
      - .offset:         16
        .size:           8
        .value_kind:     by_value
      - .offset:         24
        .size:           2
        .value_kind:     by_value
      - .address_space:  global
        .offset:         32
        .size:           8
        .value_kind:     global_buffer
      - .offset:         40
        .size:           8
        .value_kind:     by_value
      - .offset:         48
        .size:           8
        .value_kind:     by_value
      - .address_space:  global
        .offset:         56
        .size:           8
        .value_kind:     global_buffer
      - .offset:         64
        .size:           8
        .value_kind:     by_value
      - .offset:         72
        .size:           8
        .value_kind:     by_value
      - .offset:         80
        .size:           2
        .value_kind:     by_value
      - .address_space:  global
        .offset:         88
        .size:           8
        .value_kind:     global_buffer
      - .offset:         96
        .size:           8
        .value_kind:     by_value
      - .offset:         104
        .size:           8
        .value_kind:     by_value
      - .address_space:  global
        .offset:         112
        .size:           8
        .value_kind:     global_buffer
      - .offset:         120
        .size:           8
        .value_kind:     by_value
      - .offset:         128
        .size:           8
        .value_kind:     by_value
      - .offset:         136
        .size:           4
        .value_kind:     by_value
    .group_segment_fixed_size: 1024
    .kernarg_segment_align: 8
    .kernarg_segment_size: 140
    .language:       OpenCL C
    .language_version:
      - 2
      - 0
    .max_flat_workgroup_size: 256
    .name:           _ZN12_GLOBAL__N_127rocblas_gemm_batched_kernelIDF16_Li16ELi16ELi32ELi32ELi8ELi32ELi8ELi8ELi32ELc78ELc67EKPKDF16_S3_KPDF16_EEvlllT_PT11_llS8_llS6_PT12_llPT13_lli
    .private_segment_fixed_size: 0
    .sgpr_count:     40
    .sgpr_spill_count: 0
    .symbol:         _ZN12_GLOBAL__N_127rocblas_gemm_batched_kernelIDF16_Li16ELi16ELi32ELi32ELi8ELi32ELi8ELi8ELi32ELc78ELc67EKPKDF16_S3_KPDF16_EEvlllT_PT11_llS8_llS6_PT12_llPT13_lli.kd
    .uniform_work_group_size: 1
    .uses_dynamic_stack: false
    .vgpr_count:     49
    .vgpr_spill_count: 0
    .wavefront_size: 32
  - .args:
      - .offset:         0
        .size:           8
        .value_kind:     by_value
      - .offset:         8
        .size:           8
        .value_kind:     by_value
      - .offset:         16
        .size:           8
        .value_kind:     by_value
      - .offset:         24
        .size:           2
        .value_kind:     by_value
      - .address_space:  global
        .offset:         32
        .size:           8
        .value_kind:     global_buffer
      - .offset:         40
        .size:           8
        .value_kind:     by_value
      - .offset:         48
        .size:           8
        .value_kind:     by_value
      - .address_space:  global
        .offset:         56
        .size:           8
        .value_kind:     global_buffer
      - .offset:         64
        .size:           8
        .value_kind:     by_value
      - .offset:         72
        .size:           8
        .value_kind:     by_value
      - .offset:         80
        .size:           2
        .value_kind:     by_value
      - .address_space:  global
        .offset:         88
        .size:           8
        .value_kind:     global_buffer
      - .offset:         96
        .size:           8
        .value_kind:     by_value
      - .offset:         104
        .size:           8
        .value_kind:     by_value
      - .address_space:  global
        .offset:         112
        .size:           8
        .value_kind:     global_buffer
      - .offset:         120
        .size:           8
        .value_kind:     by_value
      - .offset:         128
        .size:           8
        .value_kind:     by_value
      - .offset:         136
        .size:           4
        .value_kind:     by_value
    .group_segment_fixed_size: 1024
    .kernarg_segment_align: 8
    .kernarg_segment_size: 140
    .language:       OpenCL C
    .language_version:
      - 2
      - 0
    .max_flat_workgroup_size: 256
    .name:           _ZN12_GLOBAL__N_127rocblas_gemm_batched_kernelIDF16_Li16ELi16ELi32ELi32ELi8ELi32ELi8ELi8ELi32ELc84ELc67EKPKDF16_S3_KPDF16_EEvlllT_PT11_llS8_llS6_PT12_llPT13_lli
    .private_segment_fixed_size: 0
    .sgpr_count:     39
    .sgpr_spill_count: 0
    .symbol:         _ZN12_GLOBAL__N_127rocblas_gemm_batched_kernelIDF16_Li16ELi16ELi32ELi32ELi8ELi32ELi8ELi8ELi32ELc84ELc67EKPKDF16_S3_KPDF16_EEvlllT_PT11_llS8_llS6_PT12_llPT13_lli.kd
    .uniform_work_group_size: 1
    .uses_dynamic_stack: false
    .vgpr_count:     49
    .vgpr_spill_count: 0
    .wavefront_size: 32
  - .args:
      - .offset:         0
        .size:           8
        .value_kind:     by_value
      - .offset:         8
        .size:           8
        .value_kind:     by_value
      - .offset:         16
        .size:           8
        .value_kind:     by_value
      - .offset:         24
        .size:           2
        .value_kind:     by_value
      - .address_space:  global
        .offset:         32
        .size:           8
        .value_kind:     global_buffer
      - .offset:         40
        .size:           8
        .value_kind:     by_value
      - .offset:         48
        .size:           8
        .value_kind:     by_value
      - .address_space:  global
        .offset:         56
        .size:           8
        .value_kind:     global_buffer
      - .offset:         64
        .size:           8
        .value_kind:     by_value
      - .offset:         72
        .size:           8
        .value_kind:     by_value
      - .offset:         80
        .size:           2
        .value_kind:     by_value
      - .address_space:  global
        .offset:         88
        .size:           8
        .value_kind:     global_buffer
      - .offset:         96
        .size:           8
        .value_kind:     by_value
      - .offset:         104
        .size:           8
        .value_kind:     by_value
      - .address_space:  global
        .offset:         112
        .size:           8
        .value_kind:     global_buffer
      - .offset:         120
        .size:           8
        .value_kind:     by_value
      - .offset:         128
        .size:           8
        .value_kind:     by_value
      - .offset:         136
        .size:           4
        .value_kind:     by_value
    .group_segment_fixed_size: 1024
    .kernarg_segment_align: 8
    .kernarg_segment_size: 140
    .language:       OpenCL C
    .language_version:
      - 2
      - 0
    .max_flat_workgroup_size: 256
    .name:           _ZN12_GLOBAL__N_135rocblas_gemm_batched_general_kernelIDF16_Li16ELi16ELi32ELi32ELi8ELi32ELi8ELi8ELi32ELc78ELc78EKPKDF16_S3_KPDF16_EEvlllT_PT11_llS8_llS6_PT12_llPT13_lli
    .private_segment_fixed_size: 0
    .sgpr_count:     46
    .sgpr_spill_count: 0
    .symbol:         _ZN12_GLOBAL__N_135rocblas_gemm_batched_general_kernelIDF16_Li16ELi16ELi32ELi32ELi8ELi32ELi8ELi8ELi32ELc78ELc78EKPKDF16_S3_KPDF16_EEvlllT_PT11_llS8_llS6_PT12_llPT13_lli.kd
    .uniform_work_group_size: 1
    .uses_dynamic_stack: false
    .vgpr_count:     47
    .vgpr_spill_count: 0
    .wavefront_size: 32
  - .args:
      - .offset:         0
        .size:           8
        .value_kind:     by_value
      - .offset:         8
        .size:           8
        .value_kind:     by_value
      - .offset:         16
        .size:           8
        .value_kind:     by_value
      - .offset:         24
        .size:           2
        .value_kind:     by_value
      - .address_space:  global
        .offset:         32
        .size:           8
        .value_kind:     global_buffer
      - .offset:         40
        .size:           8
        .value_kind:     by_value
      - .offset:         48
        .size:           8
        .value_kind:     by_value
      - .address_space:  global
        .offset:         56
        .size:           8
        .value_kind:     global_buffer
      - .offset:         64
        .size:           8
        .value_kind:     by_value
      - .offset:         72
        .size:           8
        .value_kind:     by_value
      - .offset:         80
        .size:           2
        .value_kind:     by_value
      - .address_space:  global
        .offset:         88
        .size:           8
        .value_kind:     global_buffer
      - .offset:         96
        .size:           8
        .value_kind:     by_value
      - .offset:         104
        .size:           8
        .value_kind:     by_value
      - .address_space:  global
        .offset:         112
        .size:           8
        .value_kind:     global_buffer
      - .offset:         120
        .size:           8
        .value_kind:     by_value
      - .offset:         128
        .size:           8
        .value_kind:     by_value
      - .offset:         136
        .size:           4
        .value_kind:     by_value
    .group_segment_fixed_size: 1024
    .kernarg_segment_align: 8
    .kernarg_segment_size: 140
    .language:       OpenCL C
    .language_version:
      - 2
      - 0
    .max_flat_workgroup_size: 256
    .name:           _ZN12_GLOBAL__N_135rocblas_gemm_batched_general_kernelIDF16_Li16ELi16ELi32ELi32ELi8ELi32ELi8ELi8ELi32ELc84ELc78EKPKDF16_S3_KPDF16_EEvlllT_PT11_llS8_llS6_PT12_llPT13_lli
    .private_segment_fixed_size: 0
    .sgpr_count:     44
    .sgpr_spill_count: 0
    .symbol:         _ZN12_GLOBAL__N_135rocblas_gemm_batched_general_kernelIDF16_Li16ELi16ELi32ELi32ELi8ELi32ELi8ELi8ELi32ELc84ELc78EKPKDF16_S3_KPDF16_EEvlllT_PT11_llS8_llS6_PT12_llPT13_lli.kd
    .uniform_work_group_size: 1
    .uses_dynamic_stack: false
    .vgpr_count:     47
    .vgpr_spill_count: 0
    .wavefront_size: 32
  - .args:
      - .offset:         0
        .size:           8
        .value_kind:     by_value
      - .offset:         8
        .size:           8
        .value_kind:     by_value
      - .offset:         16
        .size:           8
        .value_kind:     by_value
      - .offset:         24
        .size:           2
        .value_kind:     by_value
      - .address_space:  global
        .offset:         32
        .size:           8
        .value_kind:     global_buffer
      - .offset:         40
        .size:           8
        .value_kind:     by_value
      - .offset:         48
        .size:           8
        .value_kind:     by_value
      - .address_space:  global
        .offset:         56
        .size:           8
        .value_kind:     global_buffer
      - .offset:         64
        .size:           8
        .value_kind:     by_value
      - .offset:         72
        .size:           8
        .value_kind:     by_value
      - .offset:         80
        .size:           2
        .value_kind:     by_value
      - .address_space:  global
        .offset:         88
        .size:           8
        .value_kind:     global_buffer
      - .offset:         96
        .size:           8
        .value_kind:     by_value
      - .offset:         104
        .size:           8
        .value_kind:     by_value
      - .address_space:  global
        .offset:         112
        .size:           8
        .value_kind:     global_buffer
      - .offset:         120
        .size:           8
        .value_kind:     by_value
      - .offset:         128
        .size:           8
        .value_kind:     by_value
      - .offset:         136
        .size:           4
        .value_kind:     by_value
    .group_segment_fixed_size: 1024
    .kernarg_segment_align: 8
    .kernarg_segment_size: 140
    .language:       OpenCL C
    .language_version:
      - 2
      - 0
    .max_flat_workgroup_size: 256
    .name:           _ZN12_GLOBAL__N_135rocblas_gemm_batched_general_kernelIDF16_Li16ELi16ELi32ELi32ELi8ELi32ELi8ELi8ELi32ELc78ELc84EKPKDF16_S3_KPDF16_EEvlllT_PT11_llS8_llS6_PT12_llPT13_lli
    .private_segment_fixed_size: 0
    .sgpr_count:     48
    .sgpr_spill_count: 0
    .symbol:         _ZN12_GLOBAL__N_135rocblas_gemm_batched_general_kernelIDF16_Li16ELi16ELi32ELi32ELi8ELi32ELi8ELi8ELi32ELc78ELc84EKPKDF16_S3_KPDF16_EEvlllT_PT11_llS8_llS6_PT12_llPT13_lli.kd
    .uniform_work_group_size: 1
    .uses_dynamic_stack: false
    .vgpr_count:     47
    .vgpr_spill_count: 0
    .wavefront_size: 32
  - .args:
      - .offset:         0
        .size:           8
        .value_kind:     by_value
      - .offset:         8
        .size:           8
        .value_kind:     by_value
      - .offset:         16
        .size:           8
        .value_kind:     by_value
      - .offset:         24
        .size:           2
        .value_kind:     by_value
      - .address_space:  global
        .offset:         32
        .size:           8
        .value_kind:     global_buffer
      - .offset:         40
        .size:           8
        .value_kind:     by_value
      - .offset:         48
        .size:           8
        .value_kind:     by_value
      - .address_space:  global
        .offset:         56
        .size:           8
        .value_kind:     global_buffer
      - .offset:         64
        .size:           8
        .value_kind:     by_value
      - .offset:         72
        .size:           8
        .value_kind:     by_value
      - .offset:         80
        .size:           2
        .value_kind:     by_value
      - .address_space:  global
        .offset:         88
        .size:           8
        .value_kind:     global_buffer
      - .offset:         96
        .size:           8
        .value_kind:     by_value
      - .offset:         104
        .size:           8
        .value_kind:     by_value
      - .address_space:  global
        .offset:         112
        .size:           8
        .value_kind:     global_buffer
      - .offset:         120
        .size:           8
        .value_kind:     by_value
      - .offset:         128
        .size:           8
        .value_kind:     by_value
      - .offset:         136
        .size:           4
        .value_kind:     by_value
    .group_segment_fixed_size: 1024
    .kernarg_segment_align: 8
    .kernarg_segment_size: 140
    .language:       OpenCL C
    .language_version:
      - 2
      - 0
    .max_flat_workgroup_size: 256
    .name:           _ZN12_GLOBAL__N_135rocblas_gemm_batched_general_kernelIDF16_Li16ELi16ELi32ELi32ELi8ELi32ELi8ELi8ELi32ELc84ELc84EKPKDF16_S3_KPDF16_EEvlllT_PT11_llS8_llS6_PT12_llPT13_lli
    .private_segment_fixed_size: 0
    .sgpr_count:     44
    .sgpr_spill_count: 0
    .symbol:         _ZN12_GLOBAL__N_135rocblas_gemm_batched_general_kernelIDF16_Li16ELi16ELi32ELi32ELi8ELi32ELi8ELi8ELi32ELc84ELc84EKPKDF16_S3_KPDF16_EEvlllT_PT11_llS8_llS6_PT12_llPT13_lli.kd
    .uniform_work_group_size: 1
    .uses_dynamic_stack: false
    .vgpr_count:     47
    .vgpr_spill_count: 0
    .wavefront_size: 32
  - .args:
      - .offset:         0
        .size:           8
        .value_kind:     by_value
      - .offset:         8
        .size:           8
        .value_kind:     by_value
      - .offset:         16
        .size:           8
        .value_kind:     by_value
      - .offset:         24
        .size:           2
        .value_kind:     by_value
      - .address_space:  global
        .offset:         32
        .size:           8
        .value_kind:     global_buffer
      - .offset:         40
        .size:           8
        .value_kind:     by_value
      - .offset:         48
        .size:           8
        .value_kind:     by_value
      - .address_space:  global
        .offset:         56
        .size:           8
        .value_kind:     global_buffer
      - .offset:         64
        .size:           8
        .value_kind:     by_value
      - .offset:         72
        .size:           8
        .value_kind:     by_value
      - .offset:         80
        .size:           2
        .value_kind:     by_value
      - .address_space:  global
        .offset:         88
        .size:           8
        .value_kind:     global_buffer
      - .offset:         96
        .size:           8
        .value_kind:     by_value
      - .offset:         104
        .size:           8
        .value_kind:     by_value
      - .address_space:  global
        .offset:         112
        .size:           8
        .value_kind:     global_buffer
      - .offset:         120
        .size:           8
        .value_kind:     by_value
      - .offset:         128
        .size:           8
        .value_kind:     by_value
      - .offset:         136
        .size:           4
        .value_kind:     by_value
    .group_segment_fixed_size: 1024
    .kernarg_segment_align: 8
    .kernarg_segment_size: 140
    .language:       OpenCL C
    .language_version:
      - 2
      - 0
    .max_flat_workgroup_size: 256
    .name:           _ZN12_GLOBAL__N_135rocblas_gemm_batched_general_kernelIDF16_Li16ELi16ELi32ELi32ELi8ELi32ELi8ELi8ELi32ELc67ELc67EKPKDF16_S3_KPDF16_EEvlllT_PT11_llS8_llS6_PT12_llPT13_lli
    .private_segment_fixed_size: 0
    .sgpr_count:     44
    .sgpr_spill_count: 0
    .symbol:         _ZN12_GLOBAL__N_135rocblas_gemm_batched_general_kernelIDF16_Li16ELi16ELi32ELi32ELi8ELi32ELi8ELi8ELi32ELc67ELc67EKPKDF16_S3_KPDF16_EEvlllT_PT11_llS8_llS6_PT12_llPT13_lli.kd
    .uniform_work_group_size: 1
    .uses_dynamic_stack: false
    .vgpr_count:     47
    .vgpr_spill_count: 0
    .wavefront_size: 32
  - .args:
      - .offset:         0
        .size:           8
        .value_kind:     by_value
      - .offset:         8
        .size:           8
        .value_kind:     by_value
      - .offset:         16
        .size:           8
        .value_kind:     by_value
      - .offset:         24
        .size:           2
        .value_kind:     by_value
      - .address_space:  global
        .offset:         32
        .size:           8
        .value_kind:     global_buffer
      - .offset:         40
        .size:           8
        .value_kind:     by_value
      - .offset:         48
        .size:           8
        .value_kind:     by_value
      - .address_space:  global
        .offset:         56
        .size:           8
        .value_kind:     global_buffer
      - .offset:         64
        .size:           8
        .value_kind:     by_value
      - .offset:         72
        .size:           8
        .value_kind:     by_value
      - .offset:         80
        .size:           2
        .value_kind:     by_value
      - .address_space:  global
        .offset:         88
        .size:           8
        .value_kind:     global_buffer
      - .offset:         96
        .size:           8
        .value_kind:     by_value
      - .offset:         104
        .size:           8
        .value_kind:     by_value
      - .address_space:  global
        .offset:         112
        .size:           8
        .value_kind:     global_buffer
      - .offset:         120
        .size:           8
        .value_kind:     by_value
      - .offset:         128
        .size:           8
        .value_kind:     by_value
      - .offset:         136
        .size:           4
        .value_kind:     by_value
    .group_segment_fixed_size: 1024
    .kernarg_segment_align: 8
    .kernarg_segment_size: 140
    .language:       OpenCL C
    .language_version:
      - 2
      - 0
    .max_flat_workgroup_size: 256
    .name:           _ZN12_GLOBAL__N_135rocblas_gemm_batched_general_kernelIDF16_Li16ELi16ELi32ELi32ELi8ELi32ELi8ELi8ELi32ELc67ELc78EKPKDF16_S3_KPDF16_EEvlllT_PT11_llS8_llS6_PT12_llPT13_lli
    .private_segment_fixed_size: 0
    .sgpr_count:     44
    .sgpr_spill_count: 0
    .symbol:         _ZN12_GLOBAL__N_135rocblas_gemm_batched_general_kernelIDF16_Li16ELi16ELi32ELi32ELi8ELi32ELi8ELi8ELi32ELc67ELc78EKPKDF16_S3_KPDF16_EEvlllT_PT11_llS8_llS6_PT12_llPT13_lli.kd
    .uniform_work_group_size: 1
    .uses_dynamic_stack: false
    .vgpr_count:     47
    .vgpr_spill_count: 0
    .wavefront_size: 32
  - .args:
      - .offset:         0
        .size:           8
        .value_kind:     by_value
      - .offset:         8
        .size:           8
        .value_kind:     by_value
      - .offset:         16
        .size:           8
        .value_kind:     by_value
      - .offset:         24
        .size:           2
        .value_kind:     by_value
      - .address_space:  global
        .offset:         32
        .size:           8
        .value_kind:     global_buffer
      - .offset:         40
        .size:           8
        .value_kind:     by_value
      - .offset:         48
        .size:           8
        .value_kind:     by_value
      - .address_space:  global
        .offset:         56
        .size:           8
        .value_kind:     global_buffer
      - .offset:         64
        .size:           8
        .value_kind:     by_value
      - .offset:         72
        .size:           8
        .value_kind:     by_value
      - .offset:         80
        .size:           2
        .value_kind:     by_value
      - .address_space:  global
        .offset:         88
        .size:           8
        .value_kind:     global_buffer
      - .offset:         96
        .size:           8
        .value_kind:     by_value
      - .offset:         104
        .size:           8
        .value_kind:     by_value
      - .address_space:  global
        .offset:         112
        .size:           8
        .value_kind:     global_buffer
      - .offset:         120
        .size:           8
        .value_kind:     by_value
      - .offset:         128
        .size:           8
        .value_kind:     by_value
      - .offset:         136
        .size:           4
        .value_kind:     by_value
    .group_segment_fixed_size: 1024
    .kernarg_segment_align: 8
    .kernarg_segment_size: 140
    .language:       OpenCL C
    .language_version:
      - 2
      - 0
    .max_flat_workgroup_size: 256
    .name:           _ZN12_GLOBAL__N_135rocblas_gemm_batched_general_kernelIDF16_Li16ELi16ELi32ELi32ELi8ELi32ELi8ELi8ELi32ELc67ELc84EKPKDF16_S3_KPDF16_EEvlllT_PT11_llS8_llS6_PT12_llPT13_lli
    .private_segment_fixed_size: 0
    .sgpr_count:     44
    .sgpr_spill_count: 0
    .symbol:         _ZN12_GLOBAL__N_135rocblas_gemm_batched_general_kernelIDF16_Li16ELi16ELi32ELi32ELi8ELi32ELi8ELi8ELi32ELc67ELc84EKPKDF16_S3_KPDF16_EEvlllT_PT11_llS8_llS6_PT12_llPT13_lli.kd
    .uniform_work_group_size: 1
    .uses_dynamic_stack: false
    .vgpr_count:     47
    .vgpr_spill_count: 0
    .wavefront_size: 32
  - .args:
      - .offset:         0
        .size:           8
        .value_kind:     by_value
      - .offset:         8
        .size:           8
        .value_kind:     by_value
      - .offset:         16
        .size:           8
        .value_kind:     by_value
      - .offset:         24
        .size:           2
        .value_kind:     by_value
      - .address_space:  global
        .offset:         32
        .size:           8
        .value_kind:     global_buffer
      - .offset:         40
        .size:           8
        .value_kind:     by_value
      - .offset:         48
        .size:           8
        .value_kind:     by_value
      - .address_space:  global
        .offset:         56
        .size:           8
        .value_kind:     global_buffer
      - .offset:         64
        .size:           8
        .value_kind:     by_value
      - .offset:         72
        .size:           8
        .value_kind:     by_value
      - .offset:         80
        .size:           2
        .value_kind:     by_value
      - .address_space:  global
        .offset:         88
        .size:           8
        .value_kind:     global_buffer
      - .offset:         96
        .size:           8
        .value_kind:     by_value
      - .offset:         104
        .size:           8
        .value_kind:     by_value
      - .address_space:  global
        .offset:         112
        .size:           8
        .value_kind:     global_buffer
      - .offset:         120
        .size:           8
        .value_kind:     by_value
      - .offset:         128
        .size:           8
        .value_kind:     by_value
      - .offset:         136
        .size:           4
        .value_kind:     by_value
    .group_segment_fixed_size: 1024
    .kernarg_segment_align: 8
    .kernarg_segment_size: 140
    .language:       OpenCL C
    .language_version:
      - 2
      - 0
    .max_flat_workgroup_size: 256
    .name:           _ZN12_GLOBAL__N_135rocblas_gemm_batched_general_kernelIDF16_Li16ELi16ELi32ELi32ELi8ELi32ELi8ELi8ELi32ELc78ELc67EKPKDF16_S3_KPDF16_EEvlllT_PT11_llS8_llS6_PT12_llPT13_lli
    .private_segment_fixed_size: 0
    .sgpr_count:     48
    .sgpr_spill_count: 0
    .symbol:         _ZN12_GLOBAL__N_135rocblas_gemm_batched_general_kernelIDF16_Li16ELi16ELi32ELi32ELi8ELi32ELi8ELi8ELi32ELc78ELc67EKPKDF16_S3_KPDF16_EEvlllT_PT11_llS8_llS6_PT12_llPT13_lli.kd
    .uniform_work_group_size: 1
    .uses_dynamic_stack: false
    .vgpr_count:     47
    .vgpr_spill_count: 0
    .wavefront_size: 32
  - .args:
      - .offset:         0
        .size:           8
        .value_kind:     by_value
      - .offset:         8
        .size:           8
        .value_kind:     by_value
      - .offset:         16
        .size:           8
        .value_kind:     by_value
      - .offset:         24
        .size:           2
        .value_kind:     by_value
      - .address_space:  global
        .offset:         32
        .size:           8
        .value_kind:     global_buffer
      - .offset:         40
        .size:           8
        .value_kind:     by_value
      - .offset:         48
        .size:           8
        .value_kind:     by_value
      - .address_space:  global
        .offset:         56
        .size:           8
        .value_kind:     global_buffer
      - .offset:         64
        .size:           8
        .value_kind:     by_value
      - .offset:         72
        .size:           8
        .value_kind:     by_value
      - .offset:         80
        .size:           2
        .value_kind:     by_value
      - .address_space:  global
        .offset:         88
        .size:           8
        .value_kind:     global_buffer
      - .offset:         96
        .size:           8
        .value_kind:     by_value
      - .offset:         104
        .size:           8
        .value_kind:     by_value
      - .address_space:  global
        .offset:         112
        .size:           8
        .value_kind:     global_buffer
      - .offset:         120
        .size:           8
        .value_kind:     by_value
      - .offset:         128
        .size:           8
        .value_kind:     by_value
      - .offset:         136
        .size:           4
        .value_kind:     by_value
    .group_segment_fixed_size: 1024
    .kernarg_segment_align: 8
    .kernarg_segment_size: 140
    .language:       OpenCL C
    .language_version:
      - 2
      - 0
    .max_flat_workgroup_size: 256
    .name:           _ZN12_GLOBAL__N_135rocblas_gemm_batched_general_kernelIDF16_Li16ELi16ELi32ELi32ELi8ELi32ELi8ELi8ELi32ELc84ELc67EKPKDF16_S3_KPDF16_EEvlllT_PT11_llS8_llS6_PT12_llPT13_lli
    .private_segment_fixed_size: 0
    .sgpr_count:     44
    .sgpr_spill_count: 0
    .symbol:         _ZN12_GLOBAL__N_135rocblas_gemm_batched_general_kernelIDF16_Li16ELi16ELi32ELi32ELi8ELi32ELi8ELi8ELi32ELc84ELc67EKPKDF16_S3_KPDF16_EEvlllT_PT11_llS8_llS6_PT12_llPT13_lli.kd
    .uniform_work_group_size: 1
    .uses_dynamic_stack: false
    .vgpr_count:     47
    .vgpr_spill_count: 0
    .wavefront_size: 32
  - .args:
      - .offset:         0
        .size:           4
        .value_kind:     by_value
      - .offset:         4
        .size:           4
        .value_kind:     by_value
      - .offset:         8
        .size:           4
        .value_kind:     by_value
      - .address_space:  global
        .offset:         16
        .size:           8
        .value_kind:     global_buffer
      - .offset:         24
        .size:           8
        .value_kind:     by_value
      - .offset:         32
        .size:           8
        .value_kind:     by_value
      - .offset:         40
        .size:           8
        .value_kind:     by_value
      - .address_space:  global
        .offset:         48
        .size:           8
        .value_kind:     global_buffer
      - .offset:         56
        .size:           8
        .value_kind:     by_value
      - .offset:         64
        .size:           8
        .value_kind:     by_value
      - .offset:         72
        .size:           8
        .value_kind:     by_value
      - .offset:         80
        .size:           4
        .value_kind:     by_value
    .group_segment_fixed_size: 0
    .kernarg_segment_align: 8
    .kernarg_segment_size: 84
    .language:       OpenCL C
    .language_version:
      - 2
      - 0
    .max_flat_workgroup_size: 1024
    .name:           _ZN12_GLOBAL__N_120gemm_ex_scale_kernelILi32ELi32EfPKPKDF16_PKPDF16_EEviiT1_T2_lllT3_llli
    .private_segment_fixed_size: 0
    .sgpr_count:     25
    .sgpr_spill_count: 0
    .symbol:         _ZN12_GLOBAL__N_120gemm_ex_scale_kernelILi32ELi32EfPKPKDF16_PKPDF16_EEviiT1_T2_lllT3_llli.kd
    .uniform_work_group_size: 1
    .uses_dynamic_stack: false
    .vgpr_count:     10
    .vgpr_spill_count: 0
    .wavefront_size: 32
  - .args:
      - .offset:         0
        .size:           8
        .value_kind:     by_value
      - .offset:         8
        .size:           8
        .value_kind:     by_value
      - .offset:         16
        .size:           8
        .value_kind:     by_value
      - .offset:         24
        .size:           4
        .value_kind:     by_value
      - .address_space:  global
        .offset:         32
        .size:           8
        .value_kind:     global_buffer
      - .offset:         40
        .size:           8
        .value_kind:     by_value
      - .offset:         48
        .size:           8
        .value_kind:     by_value
      - .address_space:  global
        .offset:         56
        .size:           8
        .value_kind:     global_buffer
      - .offset:         64
        .size:           8
        .value_kind:     by_value
      - .offset:         72
        .size:           8
        .value_kind:     by_value
      - .offset:         80
        .size:           4
        .value_kind:     by_value
      - .address_space:  global
        .offset:         88
        .size:           8
        .value_kind:     global_buffer
      - .offset:         96
        .size:           8
        .value_kind:     by_value
      - .offset:         104
        .size:           8
        .value_kind:     by_value
      - .address_space:  global
        .offset:         112
        .size:           8
        .value_kind:     global_buffer
      - .offset:         120
        .size:           8
        .value_kind:     by_value
      - .offset:         128
        .size:           8
        .value_kind:     by_value
      - .offset:         136
        .size:           4
        .value_kind:     by_value
    .group_segment_fixed_size: 2048
    .kernarg_segment_align: 8
    .kernarg_segment_size: 140
    .language:       OpenCL C
    .language_version:
      - 2
      - 0
    .max_flat_workgroup_size: 256
    .name:           _ZN12_GLOBAL__N_127rocblas_gemm_batched_kernelIfLi16ELi16ELi64ELi64ELi4ELi64ELi4ELi4ELi64ELc78ELc78EKPKDF16_S3_KPDF16_EEvlllT_PT11_llS8_llS6_PT12_llPT13_lli
    .private_segment_fixed_size: 0
    .sgpr_count:     40
    .sgpr_spill_count: 0
    .symbol:         _ZN12_GLOBAL__N_127rocblas_gemm_batched_kernelIfLi16ELi16ELi64ELi64ELi4ELi64ELi4ELi4ELi64ELc78ELc78EKPKDF16_S3_KPDF16_EEvlllT_PT11_llS8_llS6_PT12_llPT13_lli.kd
    .uniform_work_group_size: 1
    .uses_dynamic_stack: false
    .vgpr_count:     78
    .vgpr_spill_count: 0
    .wavefront_size: 32
  - .args:
      - .offset:         0
        .size:           8
        .value_kind:     by_value
      - .offset:         8
        .size:           8
        .value_kind:     by_value
      - .offset:         16
        .size:           8
        .value_kind:     by_value
      - .offset:         24
        .size:           4
        .value_kind:     by_value
      - .address_space:  global
        .offset:         32
        .size:           8
        .value_kind:     global_buffer
      - .offset:         40
        .size:           8
        .value_kind:     by_value
      - .offset:         48
        .size:           8
        .value_kind:     by_value
      - .address_space:  global
        .offset:         56
        .size:           8
        .value_kind:     global_buffer
      - .offset:         64
        .size:           8
        .value_kind:     by_value
      - .offset:         72
        .size:           8
        .value_kind:     by_value
      - .offset:         80
        .size:           4
        .value_kind:     by_value
      - .address_space:  global
        .offset:         88
        .size:           8
        .value_kind:     global_buffer
      - .offset:         96
        .size:           8
        .value_kind:     by_value
      - .offset:         104
        .size:           8
        .value_kind:     by_value
      - .address_space:  global
        .offset:         112
        .size:           8
        .value_kind:     global_buffer
      - .offset:         120
        .size:           8
        .value_kind:     by_value
      - .offset:         128
        .size:           8
        .value_kind:     by_value
      - .offset:         136
        .size:           4
        .value_kind:     by_value
    .group_segment_fixed_size: 2048
    .kernarg_segment_align: 8
    .kernarg_segment_size: 140
    .language:       OpenCL C
    .language_version:
      - 2
      - 0
    .max_flat_workgroup_size: 256
    .name:           _ZN12_GLOBAL__N_127rocblas_gemm_batched_kernelIfLi16ELi16ELi64ELi64ELi4ELi64ELi4ELi4ELi64ELc84ELc78EKPKDF16_S3_KPDF16_EEvlllT_PT11_llS8_llS6_PT12_llPT13_lli
    .private_segment_fixed_size: 0
    .sgpr_count:     38
    .sgpr_spill_count: 0
    .symbol:         _ZN12_GLOBAL__N_127rocblas_gemm_batched_kernelIfLi16ELi16ELi64ELi64ELi4ELi64ELi4ELi4ELi64ELc84ELc78EKPKDF16_S3_KPDF16_EEvlllT_PT11_llS8_llS6_PT12_llPT13_lli.kd
    .uniform_work_group_size: 1
    .uses_dynamic_stack: false
    .vgpr_count:     78
    .vgpr_spill_count: 0
    .wavefront_size: 32
  - .args:
      - .offset:         0
        .size:           8
        .value_kind:     by_value
      - .offset:         8
        .size:           8
        .value_kind:     by_value
      - .offset:         16
        .size:           8
        .value_kind:     by_value
      - .offset:         24
        .size:           4
        .value_kind:     by_value
      - .address_space:  global
        .offset:         32
        .size:           8
        .value_kind:     global_buffer
      - .offset:         40
        .size:           8
        .value_kind:     by_value
      - .offset:         48
        .size:           8
        .value_kind:     by_value
      - .address_space:  global
        .offset:         56
        .size:           8
        .value_kind:     global_buffer
      - .offset:         64
        .size:           8
        .value_kind:     by_value
      - .offset:         72
        .size:           8
        .value_kind:     by_value
      - .offset:         80
        .size:           4
        .value_kind:     by_value
      - .address_space:  global
        .offset:         88
        .size:           8
        .value_kind:     global_buffer
      - .offset:         96
        .size:           8
        .value_kind:     by_value
      - .offset:         104
        .size:           8
        .value_kind:     by_value
      - .address_space:  global
        .offset:         112
        .size:           8
        .value_kind:     global_buffer
      - .offset:         120
        .size:           8
        .value_kind:     by_value
      - .offset:         128
        .size:           8
        .value_kind:     by_value
      - .offset:         136
        .size:           4
        .value_kind:     by_value
    .group_segment_fixed_size: 2048
    .kernarg_segment_align: 8
    .kernarg_segment_size: 140
    .language:       OpenCL C
    .language_version:
      - 2
      - 0
    .max_flat_workgroup_size: 256
    .name:           _ZN12_GLOBAL__N_127rocblas_gemm_batched_kernelIfLi16ELi16ELi64ELi64ELi4ELi64ELi4ELi4ELi64ELc78ELc84EKPKDF16_S3_KPDF16_EEvlllT_PT11_llS8_llS6_PT12_llPT13_lli
    .private_segment_fixed_size: 0
    .sgpr_count:     40
    .sgpr_spill_count: 0
    .symbol:         _ZN12_GLOBAL__N_127rocblas_gemm_batched_kernelIfLi16ELi16ELi64ELi64ELi4ELi64ELi4ELi4ELi64ELc78ELc84EKPKDF16_S3_KPDF16_EEvlllT_PT11_llS8_llS6_PT12_llPT13_lli.kd
    .uniform_work_group_size: 1
    .uses_dynamic_stack: false
    .vgpr_count:     80
    .vgpr_spill_count: 0
    .wavefront_size: 32
  - .args:
      - .offset:         0
        .size:           8
        .value_kind:     by_value
      - .offset:         8
        .size:           8
        .value_kind:     by_value
      - .offset:         16
        .size:           8
        .value_kind:     by_value
      - .offset:         24
        .size:           4
        .value_kind:     by_value
      - .address_space:  global
        .offset:         32
        .size:           8
        .value_kind:     global_buffer
      - .offset:         40
        .size:           8
        .value_kind:     by_value
      - .offset:         48
        .size:           8
        .value_kind:     by_value
      - .address_space:  global
        .offset:         56
        .size:           8
        .value_kind:     global_buffer
      - .offset:         64
        .size:           8
        .value_kind:     by_value
      - .offset:         72
        .size:           8
        .value_kind:     by_value
      - .offset:         80
        .size:           4
        .value_kind:     by_value
      - .address_space:  global
        .offset:         88
        .size:           8
        .value_kind:     global_buffer
      - .offset:         96
        .size:           8
        .value_kind:     by_value
      - .offset:         104
        .size:           8
        .value_kind:     by_value
      - .address_space:  global
        .offset:         112
        .size:           8
        .value_kind:     global_buffer
      - .offset:         120
        .size:           8
        .value_kind:     by_value
      - .offset:         128
        .size:           8
        .value_kind:     by_value
      - .offset:         136
        .size:           4
        .value_kind:     by_value
    .group_segment_fixed_size: 2048
    .kernarg_segment_align: 8
    .kernarg_segment_size: 140
    .language:       OpenCL C
    .language_version:
      - 2
      - 0
    .max_flat_workgroup_size: 256
    .name:           _ZN12_GLOBAL__N_127rocblas_gemm_batched_kernelIfLi16ELi16ELi64ELi64ELi4ELi64ELi4ELi4ELi64ELc84ELc84EKPKDF16_S3_KPDF16_EEvlllT_PT11_llS8_llS6_PT12_llPT13_lli
    .private_segment_fixed_size: 0
    .sgpr_count:     38
    .sgpr_spill_count: 0
    .symbol:         _ZN12_GLOBAL__N_127rocblas_gemm_batched_kernelIfLi16ELi16ELi64ELi64ELi4ELi64ELi4ELi4ELi64ELc84ELc84EKPKDF16_S3_KPDF16_EEvlllT_PT11_llS8_llS6_PT12_llPT13_lli.kd
    .uniform_work_group_size: 1
    .uses_dynamic_stack: false
    .vgpr_count:     78
    .vgpr_spill_count: 0
    .wavefront_size: 32
  - .args:
      - .offset:         0
        .size:           8
        .value_kind:     by_value
      - .offset:         8
        .size:           8
        .value_kind:     by_value
      - .offset:         16
        .size:           8
        .value_kind:     by_value
      - .offset:         24
        .size:           4
        .value_kind:     by_value
      - .address_space:  global
        .offset:         32
        .size:           8
        .value_kind:     global_buffer
      - .offset:         40
        .size:           8
        .value_kind:     by_value
      - .offset:         48
        .size:           8
        .value_kind:     by_value
      - .address_space:  global
        .offset:         56
        .size:           8
        .value_kind:     global_buffer
      - .offset:         64
        .size:           8
        .value_kind:     by_value
      - .offset:         72
        .size:           8
        .value_kind:     by_value
      - .offset:         80
        .size:           4
        .value_kind:     by_value
      - .address_space:  global
        .offset:         88
        .size:           8
        .value_kind:     global_buffer
      - .offset:         96
        .size:           8
        .value_kind:     by_value
      - .offset:         104
        .size:           8
        .value_kind:     by_value
      - .address_space:  global
        .offset:         112
        .size:           8
        .value_kind:     global_buffer
      - .offset:         120
        .size:           8
        .value_kind:     by_value
      - .offset:         128
        .size:           8
        .value_kind:     by_value
      - .offset:         136
        .size:           4
        .value_kind:     by_value
    .group_segment_fixed_size: 2048
    .kernarg_segment_align: 8
    .kernarg_segment_size: 140
    .language:       OpenCL C
    .language_version:
      - 2
      - 0
    .max_flat_workgroup_size: 256
    .name:           _ZN12_GLOBAL__N_127rocblas_gemm_batched_kernelIfLi16ELi16ELi64ELi64ELi4ELi64ELi4ELi4ELi64ELc67ELc67EKPKDF16_S3_KPDF16_EEvlllT_PT11_llS8_llS6_PT12_llPT13_lli
    .private_segment_fixed_size: 0
    .sgpr_count:     38
    .sgpr_spill_count: 0
    .symbol:         _ZN12_GLOBAL__N_127rocblas_gemm_batched_kernelIfLi16ELi16ELi64ELi64ELi4ELi64ELi4ELi4ELi64ELc67ELc67EKPKDF16_S3_KPDF16_EEvlllT_PT11_llS8_llS6_PT12_llPT13_lli.kd
    .uniform_work_group_size: 1
    .uses_dynamic_stack: false
    .vgpr_count:     78
    .vgpr_spill_count: 0
    .wavefront_size: 32
  - .args:
      - .offset:         0
        .size:           8
        .value_kind:     by_value
      - .offset:         8
        .size:           8
        .value_kind:     by_value
      - .offset:         16
        .size:           8
        .value_kind:     by_value
      - .offset:         24
        .size:           4
        .value_kind:     by_value
      - .address_space:  global
        .offset:         32
        .size:           8
        .value_kind:     global_buffer
      - .offset:         40
        .size:           8
        .value_kind:     by_value
      - .offset:         48
        .size:           8
        .value_kind:     by_value
      - .address_space:  global
        .offset:         56
        .size:           8
        .value_kind:     global_buffer
      - .offset:         64
        .size:           8
        .value_kind:     by_value
      - .offset:         72
        .size:           8
        .value_kind:     by_value
      - .offset:         80
        .size:           4
        .value_kind:     by_value
      - .address_space:  global
        .offset:         88
        .size:           8
        .value_kind:     global_buffer
      - .offset:         96
        .size:           8
        .value_kind:     by_value
      - .offset:         104
        .size:           8
        .value_kind:     by_value
      - .address_space:  global
        .offset:         112
        .size:           8
        .value_kind:     global_buffer
      - .offset:         120
        .size:           8
        .value_kind:     by_value
      - .offset:         128
        .size:           8
        .value_kind:     by_value
      - .offset:         136
        .size:           4
        .value_kind:     by_value
    .group_segment_fixed_size: 2048
    .kernarg_segment_align: 8
    .kernarg_segment_size: 140
    .language:       OpenCL C
    .language_version:
      - 2
      - 0
    .max_flat_workgroup_size: 256
    .name:           _ZN12_GLOBAL__N_127rocblas_gemm_batched_kernelIfLi16ELi16ELi64ELi64ELi4ELi64ELi4ELi4ELi64ELc67ELc78EKPKDF16_S3_KPDF16_EEvlllT_PT11_llS8_llS6_PT12_llPT13_lli
    .private_segment_fixed_size: 0
    .sgpr_count:     38
    .sgpr_spill_count: 0
    .symbol:         _ZN12_GLOBAL__N_127rocblas_gemm_batched_kernelIfLi16ELi16ELi64ELi64ELi4ELi64ELi4ELi4ELi64ELc67ELc78EKPKDF16_S3_KPDF16_EEvlllT_PT11_llS8_llS6_PT12_llPT13_lli.kd
    .uniform_work_group_size: 1
    .uses_dynamic_stack: false
    .vgpr_count:     78
    .vgpr_spill_count: 0
    .wavefront_size: 32
  - .args:
      - .offset:         0
        .size:           8
        .value_kind:     by_value
      - .offset:         8
        .size:           8
        .value_kind:     by_value
      - .offset:         16
        .size:           8
        .value_kind:     by_value
      - .offset:         24
        .size:           4
        .value_kind:     by_value
      - .address_space:  global
        .offset:         32
        .size:           8
        .value_kind:     global_buffer
      - .offset:         40
        .size:           8
        .value_kind:     by_value
      - .offset:         48
        .size:           8
        .value_kind:     by_value
      - .address_space:  global
        .offset:         56
        .size:           8
        .value_kind:     global_buffer
      - .offset:         64
        .size:           8
        .value_kind:     by_value
      - .offset:         72
        .size:           8
        .value_kind:     by_value
      - .offset:         80
        .size:           4
        .value_kind:     by_value
      - .address_space:  global
        .offset:         88
        .size:           8
        .value_kind:     global_buffer
      - .offset:         96
        .size:           8
        .value_kind:     by_value
      - .offset:         104
        .size:           8
        .value_kind:     by_value
      - .address_space:  global
        .offset:         112
        .size:           8
        .value_kind:     global_buffer
      - .offset:         120
        .size:           8
        .value_kind:     by_value
      - .offset:         128
        .size:           8
        .value_kind:     by_value
      - .offset:         136
        .size:           4
        .value_kind:     by_value
    .group_segment_fixed_size: 2048
    .kernarg_segment_align: 8
    .kernarg_segment_size: 140
    .language:       OpenCL C
    .language_version:
      - 2
      - 0
    .max_flat_workgroup_size: 256
    .name:           _ZN12_GLOBAL__N_127rocblas_gemm_batched_kernelIfLi16ELi16ELi64ELi64ELi4ELi64ELi4ELi4ELi64ELc67ELc84EKPKDF16_S3_KPDF16_EEvlllT_PT11_llS8_llS6_PT12_llPT13_lli
    .private_segment_fixed_size: 0
    .sgpr_count:     38
    .sgpr_spill_count: 0
    .symbol:         _ZN12_GLOBAL__N_127rocblas_gemm_batched_kernelIfLi16ELi16ELi64ELi64ELi4ELi64ELi4ELi4ELi64ELc67ELc84EKPKDF16_S3_KPDF16_EEvlllT_PT11_llS8_llS6_PT12_llPT13_lli.kd
    .uniform_work_group_size: 1
    .uses_dynamic_stack: false
    .vgpr_count:     78
    .vgpr_spill_count: 0
    .wavefront_size: 32
  - .args:
      - .offset:         0
        .size:           8
        .value_kind:     by_value
      - .offset:         8
        .size:           8
        .value_kind:     by_value
      - .offset:         16
        .size:           8
        .value_kind:     by_value
      - .offset:         24
        .size:           4
        .value_kind:     by_value
      - .address_space:  global
        .offset:         32
        .size:           8
        .value_kind:     global_buffer
      - .offset:         40
        .size:           8
        .value_kind:     by_value
      - .offset:         48
        .size:           8
        .value_kind:     by_value
      - .address_space:  global
        .offset:         56
        .size:           8
        .value_kind:     global_buffer
      - .offset:         64
        .size:           8
        .value_kind:     by_value
      - .offset:         72
        .size:           8
        .value_kind:     by_value
      - .offset:         80
        .size:           4
        .value_kind:     by_value
      - .address_space:  global
        .offset:         88
        .size:           8
        .value_kind:     global_buffer
      - .offset:         96
        .size:           8
        .value_kind:     by_value
      - .offset:         104
        .size:           8
        .value_kind:     by_value
      - .address_space:  global
        .offset:         112
        .size:           8
        .value_kind:     global_buffer
      - .offset:         120
        .size:           8
        .value_kind:     by_value
      - .offset:         128
        .size:           8
        .value_kind:     by_value
      - .offset:         136
        .size:           4
        .value_kind:     by_value
    .group_segment_fixed_size: 2048
    .kernarg_segment_align: 8
    .kernarg_segment_size: 140
    .language:       OpenCL C
    .language_version:
      - 2
      - 0
    .max_flat_workgroup_size: 256
    .name:           _ZN12_GLOBAL__N_127rocblas_gemm_batched_kernelIfLi16ELi16ELi64ELi64ELi4ELi64ELi4ELi4ELi64ELc78ELc67EKPKDF16_S3_KPDF16_EEvlllT_PT11_llS8_llS6_PT12_llPT13_lli
    .private_segment_fixed_size: 0
    .sgpr_count:     40
    .sgpr_spill_count: 0
    .symbol:         _ZN12_GLOBAL__N_127rocblas_gemm_batched_kernelIfLi16ELi16ELi64ELi64ELi4ELi64ELi4ELi4ELi64ELc78ELc67EKPKDF16_S3_KPDF16_EEvlllT_PT11_llS8_llS6_PT12_llPT13_lli.kd
    .uniform_work_group_size: 1
    .uses_dynamic_stack: false
    .vgpr_count:     80
    .vgpr_spill_count: 0
    .wavefront_size: 32
  - .args:
      - .offset:         0
        .size:           8
        .value_kind:     by_value
      - .offset:         8
        .size:           8
        .value_kind:     by_value
      - .offset:         16
        .size:           8
        .value_kind:     by_value
      - .offset:         24
        .size:           4
        .value_kind:     by_value
      - .address_space:  global
        .offset:         32
        .size:           8
        .value_kind:     global_buffer
      - .offset:         40
        .size:           8
        .value_kind:     by_value
      - .offset:         48
        .size:           8
        .value_kind:     by_value
      - .address_space:  global
        .offset:         56
        .size:           8
        .value_kind:     global_buffer
      - .offset:         64
        .size:           8
        .value_kind:     by_value
      - .offset:         72
        .size:           8
        .value_kind:     by_value
      - .offset:         80
        .size:           4
        .value_kind:     by_value
      - .address_space:  global
        .offset:         88
        .size:           8
        .value_kind:     global_buffer
      - .offset:         96
        .size:           8
        .value_kind:     by_value
      - .offset:         104
        .size:           8
        .value_kind:     by_value
      - .address_space:  global
        .offset:         112
        .size:           8
        .value_kind:     global_buffer
      - .offset:         120
        .size:           8
        .value_kind:     by_value
      - .offset:         128
        .size:           8
        .value_kind:     by_value
      - .offset:         136
        .size:           4
        .value_kind:     by_value
    .group_segment_fixed_size: 2048
    .kernarg_segment_align: 8
    .kernarg_segment_size: 140
    .language:       OpenCL C
    .language_version:
      - 2
      - 0
    .max_flat_workgroup_size: 256
    .name:           _ZN12_GLOBAL__N_127rocblas_gemm_batched_kernelIfLi16ELi16ELi64ELi64ELi4ELi64ELi4ELi4ELi64ELc84ELc67EKPKDF16_S3_KPDF16_EEvlllT_PT11_llS8_llS6_PT12_llPT13_lli
    .private_segment_fixed_size: 0
    .sgpr_count:     38
    .sgpr_spill_count: 0
    .symbol:         _ZN12_GLOBAL__N_127rocblas_gemm_batched_kernelIfLi16ELi16ELi64ELi64ELi4ELi64ELi4ELi4ELi64ELc84ELc67EKPKDF16_S3_KPDF16_EEvlllT_PT11_llS8_llS6_PT12_llPT13_lli.kd
    .uniform_work_group_size: 1
    .uses_dynamic_stack: false
    .vgpr_count:     78
    .vgpr_spill_count: 0
    .wavefront_size: 32
  - .args:
      - .offset:         0
        .size:           8
        .value_kind:     by_value
      - .offset:         8
        .size:           8
        .value_kind:     by_value
      - .offset:         16
        .size:           8
        .value_kind:     by_value
      - .offset:         24
        .size:           4
        .value_kind:     by_value
      - .address_space:  global
        .offset:         32
        .size:           8
        .value_kind:     global_buffer
      - .offset:         40
        .size:           8
        .value_kind:     by_value
      - .offset:         48
        .size:           8
        .value_kind:     by_value
      - .address_space:  global
        .offset:         56
        .size:           8
        .value_kind:     global_buffer
      - .offset:         64
        .size:           8
        .value_kind:     by_value
      - .offset:         72
        .size:           8
        .value_kind:     by_value
      - .offset:         80
        .size:           4
        .value_kind:     by_value
      - .address_space:  global
        .offset:         88
        .size:           8
        .value_kind:     global_buffer
      - .offset:         96
        .size:           8
        .value_kind:     by_value
      - .offset:         104
        .size:           8
        .value_kind:     by_value
      - .address_space:  global
        .offset:         112
        .size:           8
        .value_kind:     global_buffer
      - .offset:         120
        .size:           8
        .value_kind:     by_value
      - .offset:         128
        .size:           8
        .value_kind:     by_value
      - .offset:         136
        .size:           4
        .value_kind:     by_value
    .group_segment_fixed_size: 2048
    .kernarg_segment_align: 8
    .kernarg_segment_size: 140
    .language:       OpenCL C
    .language_version:
      - 2
      - 0
    .max_flat_workgroup_size: 256
    .name:           _ZN12_GLOBAL__N_127rocblas_gemm_batched_kernelIfLi16ELi16ELi32ELi32ELi8ELi32ELi8ELi8ELi32ELc78ELc78EKPKDF16_S3_KPDF16_EEvlllT_PT11_llS8_llS6_PT12_llPT13_lli
    .private_segment_fixed_size: 0
    .sgpr_count:     38
    .sgpr_spill_count: 0
    .symbol:         _ZN12_GLOBAL__N_127rocblas_gemm_batched_kernelIfLi16ELi16ELi32ELi32ELi8ELi32ELi8ELi8ELi32ELc78ELc78EKPKDF16_S3_KPDF16_EEvlllT_PT11_llS8_llS6_PT12_llPT13_lli.kd
    .uniform_work_group_size: 1
    .uses_dynamic_stack: false
    .vgpr_count:     62
    .vgpr_spill_count: 0
    .wavefront_size: 32
  - .args:
      - .offset:         0
        .size:           8
        .value_kind:     by_value
      - .offset:         8
        .size:           8
        .value_kind:     by_value
      - .offset:         16
        .size:           8
        .value_kind:     by_value
      - .offset:         24
        .size:           4
        .value_kind:     by_value
      - .address_space:  global
        .offset:         32
        .size:           8
        .value_kind:     global_buffer
      - .offset:         40
        .size:           8
        .value_kind:     by_value
      - .offset:         48
        .size:           8
        .value_kind:     by_value
      - .address_space:  global
        .offset:         56
        .size:           8
        .value_kind:     global_buffer
      - .offset:         64
        .size:           8
        .value_kind:     by_value
      - .offset:         72
        .size:           8
        .value_kind:     by_value
      - .offset:         80
        .size:           4
        .value_kind:     by_value
      - .address_space:  global
        .offset:         88
        .size:           8
        .value_kind:     global_buffer
      - .offset:         96
        .size:           8
        .value_kind:     by_value
      - .offset:         104
        .size:           8
        .value_kind:     by_value
      - .address_space:  global
        .offset:         112
        .size:           8
        .value_kind:     global_buffer
      - .offset:         120
        .size:           8
        .value_kind:     by_value
      - .offset:         128
        .size:           8
        .value_kind:     by_value
      - .offset:         136
        .size:           4
        .value_kind:     by_value
    .group_segment_fixed_size: 2048
    .kernarg_segment_align: 8
    .kernarg_segment_size: 140
    .language:       OpenCL C
    .language_version:
      - 2
      - 0
    .max_flat_workgroup_size: 256
    .name:           _ZN12_GLOBAL__N_127rocblas_gemm_batched_kernelIfLi16ELi16ELi32ELi32ELi8ELi32ELi8ELi8ELi32ELc84ELc78EKPKDF16_S3_KPDF16_EEvlllT_PT11_llS8_llS6_PT12_llPT13_lli
    .private_segment_fixed_size: 0
    .sgpr_count:     38
    .sgpr_spill_count: 0
    .symbol:         _ZN12_GLOBAL__N_127rocblas_gemm_batched_kernelIfLi16ELi16ELi32ELi32ELi8ELi32ELi8ELi8ELi32ELc84ELc78EKPKDF16_S3_KPDF16_EEvlllT_PT11_llS8_llS6_PT12_llPT13_lli.kd
    .uniform_work_group_size: 1
    .uses_dynamic_stack: false
    .vgpr_count:     62
    .vgpr_spill_count: 0
    .wavefront_size: 32
  - .args:
      - .offset:         0
        .size:           8
        .value_kind:     by_value
      - .offset:         8
        .size:           8
        .value_kind:     by_value
      - .offset:         16
        .size:           8
        .value_kind:     by_value
      - .offset:         24
        .size:           4
        .value_kind:     by_value
      - .address_space:  global
        .offset:         32
        .size:           8
        .value_kind:     global_buffer
      - .offset:         40
        .size:           8
        .value_kind:     by_value
      - .offset:         48
        .size:           8
        .value_kind:     by_value
      - .address_space:  global
        .offset:         56
        .size:           8
        .value_kind:     global_buffer
      - .offset:         64
        .size:           8
        .value_kind:     by_value
      - .offset:         72
        .size:           8
        .value_kind:     by_value
      - .offset:         80
        .size:           4
        .value_kind:     by_value
      - .address_space:  global
        .offset:         88
        .size:           8
        .value_kind:     global_buffer
      - .offset:         96
        .size:           8
        .value_kind:     by_value
      - .offset:         104
        .size:           8
        .value_kind:     by_value
      - .address_space:  global
        .offset:         112
        .size:           8
        .value_kind:     global_buffer
      - .offset:         120
        .size:           8
        .value_kind:     by_value
      - .offset:         128
        .size:           8
        .value_kind:     by_value
      - .offset:         136
        .size:           4
        .value_kind:     by_value
    .group_segment_fixed_size: 2048
    .kernarg_segment_align: 8
    .kernarg_segment_size: 140
    .language:       OpenCL C
    .language_version:
      - 2
      - 0
    .max_flat_workgroup_size: 256
    .name:           _ZN12_GLOBAL__N_127rocblas_gemm_batched_kernelIfLi16ELi16ELi32ELi32ELi8ELi32ELi8ELi8ELi32ELc78ELc84EKPKDF16_S3_KPDF16_EEvlllT_PT11_llS8_llS6_PT12_llPT13_lli
    .private_segment_fixed_size: 0
    .sgpr_count:     40
    .sgpr_spill_count: 0
    .symbol:         _ZN12_GLOBAL__N_127rocblas_gemm_batched_kernelIfLi16ELi16ELi32ELi32ELi8ELi32ELi8ELi8ELi32ELc78ELc84EKPKDF16_S3_KPDF16_EEvlllT_PT11_llS8_llS6_PT12_llPT13_lli.kd
    .uniform_work_group_size: 1
    .uses_dynamic_stack: false
    .vgpr_count:     62
    .vgpr_spill_count: 0
    .wavefront_size: 32
  - .args:
      - .offset:         0
        .size:           8
        .value_kind:     by_value
      - .offset:         8
        .size:           8
        .value_kind:     by_value
      - .offset:         16
        .size:           8
        .value_kind:     by_value
      - .offset:         24
        .size:           4
        .value_kind:     by_value
      - .address_space:  global
        .offset:         32
        .size:           8
        .value_kind:     global_buffer
      - .offset:         40
        .size:           8
        .value_kind:     by_value
      - .offset:         48
        .size:           8
        .value_kind:     by_value
      - .address_space:  global
        .offset:         56
        .size:           8
        .value_kind:     global_buffer
      - .offset:         64
        .size:           8
        .value_kind:     by_value
      - .offset:         72
        .size:           8
        .value_kind:     by_value
      - .offset:         80
        .size:           4
        .value_kind:     by_value
      - .address_space:  global
        .offset:         88
        .size:           8
        .value_kind:     global_buffer
      - .offset:         96
        .size:           8
        .value_kind:     by_value
      - .offset:         104
        .size:           8
        .value_kind:     by_value
      - .address_space:  global
        .offset:         112
        .size:           8
        .value_kind:     global_buffer
      - .offset:         120
        .size:           8
        .value_kind:     by_value
      - .offset:         128
        .size:           8
        .value_kind:     by_value
      - .offset:         136
        .size:           4
        .value_kind:     by_value
    .group_segment_fixed_size: 2048
    .kernarg_segment_align: 8
    .kernarg_segment_size: 140
    .language:       OpenCL C
    .language_version:
      - 2
      - 0
    .max_flat_workgroup_size: 256
    .name:           _ZN12_GLOBAL__N_127rocblas_gemm_batched_kernelIfLi16ELi16ELi32ELi32ELi8ELi32ELi8ELi8ELi32ELc84ELc84EKPKDF16_S3_KPDF16_EEvlllT_PT11_llS8_llS6_PT12_llPT13_lli
    .private_segment_fixed_size: 0
    .sgpr_count:     38
    .sgpr_spill_count: 0
    .symbol:         _ZN12_GLOBAL__N_127rocblas_gemm_batched_kernelIfLi16ELi16ELi32ELi32ELi8ELi32ELi8ELi8ELi32ELc84ELc84EKPKDF16_S3_KPDF16_EEvlllT_PT11_llS8_llS6_PT12_llPT13_lli.kd
    .uniform_work_group_size: 1
    .uses_dynamic_stack: false
    .vgpr_count:     62
    .vgpr_spill_count: 0
    .wavefront_size: 32
  - .args:
      - .offset:         0
        .size:           8
        .value_kind:     by_value
      - .offset:         8
        .size:           8
        .value_kind:     by_value
      - .offset:         16
        .size:           8
        .value_kind:     by_value
      - .offset:         24
        .size:           4
        .value_kind:     by_value
      - .address_space:  global
        .offset:         32
        .size:           8
        .value_kind:     global_buffer
      - .offset:         40
        .size:           8
        .value_kind:     by_value
      - .offset:         48
        .size:           8
        .value_kind:     by_value
      - .address_space:  global
        .offset:         56
        .size:           8
        .value_kind:     global_buffer
      - .offset:         64
        .size:           8
        .value_kind:     by_value
      - .offset:         72
        .size:           8
        .value_kind:     by_value
      - .offset:         80
        .size:           4
        .value_kind:     by_value
      - .address_space:  global
        .offset:         88
        .size:           8
        .value_kind:     global_buffer
      - .offset:         96
        .size:           8
        .value_kind:     by_value
      - .offset:         104
        .size:           8
        .value_kind:     by_value
      - .address_space:  global
        .offset:         112
        .size:           8
        .value_kind:     global_buffer
      - .offset:         120
        .size:           8
        .value_kind:     by_value
      - .offset:         128
        .size:           8
        .value_kind:     by_value
      - .offset:         136
        .size:           4
        .value_kind:     by_value
    .group_segment_fixed_size: 2048
    .kernarg_segment_align: 8
    .kernarg_segment_size: 140
    .language:       OpenCL C
    .language_version:
      - 2
      - 0
    .max_flat_workgroup_size: 256
    .name:           _ZN12_GLOBAL__N_127rocblas_gemm_batched_kernelIfLi16ELi16ELi32ELi32ELi8ELi32ELi8ELi8ELi32ELc67ELc67EKPKDF16_S3_KPDF16_EEvlllT_PT11_llS8_llS6_PT12_llPT13_lli
    .private_segment_fixed_size: 0
    .sgpr_count:     38
    .sgpr_spill_count: 0
    .symbol:         _ZN12_GLOBAL__N_127rocblas_gemm_batched_kernelIfLi16ELi16ELi32ELi32ELi8ELi32ELi8ELi8ELi32ELc67ELc67EKPKDF16_S3_KPDF16_EEvlllT_PT11_llS8_llS6_PT12_llPT13_lli.kd
    .uniform_work_group_size: 1
    .uses_dynamic_stack: false
    .vgpr_count:     62
    .vgpr_spill_count: 0
    .wavefront_size: 32
  - .args:
      - .offset:         0
        .size:           8
        .value_kind:     by_value
      - .offset:         8
        .size:           8
        .value_kind:     by_value
      - .offset:         16
        .size:           8
        .value_kind:     by_value
      - .offset:         24
        .size:           4
        .value_kind:     by_value
      - .address_space:  global
        .offset:         32
        .size:           8
        .value_kind:     global_buffer
      - .offset:         40
        .size:           8
        .value_kind:     by_value
      - .offset:         48
        .size:           8
        .value_kind:     by_value
      - .address_space:  global
        .offset:         56
        .size:           8
        .value_kind:     global_buffer
      - .offset:         64
        .size:           8
        .value_kind:     by_value
      - .offset:         72
        .size:           8
        .value_kind:     by_value
      - .offset:         80
        .size:           4
        .value_kind:     by_value
      - .address_space:  global
        .offset:         88
        .size:           8
        .value_kind:     global_buffer
      - .offset:         96
        .size:           8
        .value_kind:     by_value
      - .offset:         104
        .size:           8
        .value_kind:     by_value
      - .address_space:  global
        .offset:         112
        .size:           8
        .value_kind:     global_buffer
      - .offset:         120
        .size:           8
        .value_kind:     by_value
      - .offset:         128
        .size:           8
        .value_kind:     by_value
      - .offset:         136
        .size:           4
        .value_kind:     by_value
    .group_segment_fixed_size: 2048
    .kernarg_segment_align: 8
    .kernarg_segment_size: 140
    .language:       OpenCL C
    .language_version:
      - 2
      - 0
    .max_flat_workgroup_size: 256
    .name:           _ZN12_GLOBAL__N_127rocblas_gemm_batched_kernelIfLi16ELi16ELi32ELi32ELi8ELi32ELi8ELi8ELi32ELc67ELc78EKPKDF16_S3_KPDF16_EEvlllT_PT11_llS8_llS6_PT12_llPT13_lli
    .private_segment_fixed_size: 0
    .sgpr_count:     38
    .sgpr_spill_count: 0
    .symbol:         _ZN12_GLOBAL__N_127rocblas_gemm_batched_kernelIfLi16ELi16ELi32ELi32ELi8ELi32ELi8ELi8ELi32ELc67ELc78EKPKDF16_S3_KPDF16_EEvlllT_PT11_llS8_llS6_PT12_llPT13_lli.kd
    .uniform_work_group_size: 1
    .uses_dynamic_stack: false
    .vgpr_count:     62
    .vgpr_spill_count: 0
    .wavefront_size: 32
  - .args:
      - .offset:         0
        .size:           8
        .value_kind:     by_value
      - .offset:         8
        .size:           8
        .value_kind:     by_value
      - .offset:         16
        .size:           8
        .value_kind:     by_value
      - .offset:         24
        .size:           4
        .value_kind:     by_value
      - .address_space:  global
        .offset:         32
        .size:           8
        .value_kind:     global_buffer
      - .offset:         40
        .size:           8
        .value_kind:     by_value
      - .offset:         48
        .size:           8
        .value_kind:     by_value
      - .address_space:  global
        .offset:         56
        .size:           8
        .value_kind:     global_buffer
      - .offset:         64
        .size:           8
        .value_kind:     by_value
      - .offset:         72
        .size:           8
        .value_kind:     by_value
      - .offset:         80
        .size:           4
        .value_kind:     by_value
      - .address_space:  global
        .offset:         88
        .size:           8
        .value_kind:     global_buffer
      - .offset:         96
        .size:           8
        .value_kind:     by_value
      - .offset:         104
        .size:           8
        .value_kind:     by_value
      - .address_space:  global
        .offset:         112
        .size:           8
        .value_kind:     global_buffer
      - .offset:         120
        .size:           8
        .value_kind:     by_value
      - .offset:         128
        .size:           8
        .value_kind:     by_value
      - .offset:         136
        .size:           4
        .value_kind:     by_value
    .group_segment_fixed_size: 2048
    .kernarg_segment_align: 8
    .kernarg_segment_size: 140
    .language:       OpenCL C
    .language_version:
      - 2
      - 0
    .max_flat_workgroup_size: 256
    .name:           _ZN12_GLOBAL__N_127rocblas_gemm_batched_kernelIfLi16ELi16ELi32ELi32ELi8ELi32ELi8ELi8ELi32ELc67ELc84EKPKDF16_S3_KPDF16_EEvlllT_PT11_llS8_llS6_PT12_llPT13_lli
    .private_segment_fixed_size: 0
    .sgpr_count:     38
    .sgpr_spill_count: 0
    .symbol:         _ZN12_GLOBAL__N_127rocblas_gemm_batched_kernelIfLi16ELi16ELi32ELi32ELi8ELi32ELi8ELi8ELi32ELc67ELc84EKPKDF16_S3_KPDF16_EEvlllT_PT11_llS8_llS6_PT12_llPT13_lli.kd
    .uniform_work_group_size: 1
    .uses_dynamic_stack: false
    .vgpr_count:     62
    .vgpr_spill_count: 0
    .wavefront_size: 32
  - .args:
      - .offset:         0
        .size:           8
        .value_kind:     by_value
      - .offset:         8
        .size:           8
        .value_kind:     by_value
      - .offset:         16
        .size:           8
        .value_kind:     by_value
      - .offset:         24
        .size:           4
        .value_kind:     by_value
      - .address_space:  global
        .offset:         32
        .size:           8
        .value_kind:     global_buffer
      - .offset:         40
        .size:           8
        .value_kind:     by_value
      - .offset:         48
        .size:           8
        .value_kind:     by_value
      - .address_space:  global
        .offset:         56
        .size:           8
        .value_kind:     global_buffer
      - .offset:         64
        .size:           8
        .value_kind:     by_value
      - .offset:         72
        .size:           8
        .value_kind:     by_value
      - .offset:         80
        .size:           4
        .value_kind:     by_value
      - .address_space:  global
        .offset:         88
        .size:           8
        .value_kind:     global_buffer
      - .offset:         96
        .size:           8
        .value_kind:     by_value
      - .offset:         104
        .size:           8
        .value_kind:     by_value
      - .address_space:  global
        .offset:         112
        .size:           8
        .value_kind:     global_buffer
      - .offset:         120
        .size:           8
        .value_kind:     by_value
      - .offset:         128
        .size:           8
        .value_kind:     by_value
      - .offset:         136
        .size:           4
        .value_kind:     by_value
    .group_segment_fixed_size: 2048
    .kernarg_segment_align: 8
    .kernarg_segment_size: 140
    .language:       OpenCL C
    .language_version:
      - 2
      - 0
    .max_flat_workgroup_size: 256
    .name:           _ZN12_GLOBAL__N_127rocblas_gemm_batched_kernelIfLi16ELi16ELi32ELi32ELi8ELi32ELi8ELi8ELi32ELc78ELc67EKPKDF16_S3_KPDF16_EEvlllT_PT11_llS8_llS6_PT12_llPT13_lli
    .private_segment_fixed_size: 0
    .sgpr_count:     40
    .sgpr_spill_count: 0
    .symbol:         _ZN12_GLOBAL__N_127rocblas_gemm_batched_kernelIfLi16ELi16ELi32ELi32ELi8ELi32ELi8ELi8ELi32ELc78ELc67EKPKDF16_S3_KPDF16_EEvlllT_PT11_llS8_llS6_PT12_llPT13_lli.kd
    .uniform_work_group_size: 1
    .uses_dynamic_stack: false
    .vgpr_count:     62
    .vgpr_spill_count: 0
    .wavefront_size: 32
  - .args:
      - .offset:         0
        .size:           8
        .value_kind:     by_value
      - .offset:         8
        .size:           8
        .value_kind:     by_value
      - .offset:         16
        .size:           8
        .value_kind:     by_value
      - .offset:         24
        .size:           4
        .value_kind:     by_value
      - .address_space:  global
        .offset:         32
        .size:           8
        .value_kind:     global_buffer
      - .offset:         40
        .size:           8
        .value_kind:     by_value
      - .offset:         48
        .size:           8
        .value_kind:     by_value
      - .address_space:  global
        .offset:         56
        .size:           8
        .value_kind:     global_buffer
      - .offset:         64
        .size:           8
        .value_kind:     by_value
      - .offset:         72
        .size:           8
        .value_kind:     by_value
      - .offset:         80
        .size:           4
        .value_kind:     by_value
      - .address_space:  global
        .offset:         88
        .size:           8
        .value_kind:     global_buffer
      - .offset:         96
        .size:           8
        .value_kind:     by_value
      - .offset:         104
        .size:           8
        .value_kind:     by_value
      - .address_space:  global
        .offset:         112
        .size:           8
        .value_kind:     global_buffer
      - .offset:         120
        .size:           8
        .value_kind:     by_value
      - .offset:         128
        .size:           8
        .value_kind:     by_value
      - .offset:         136
        .size:           4
        .value_kind:     by_value
    .group_segment_fixed_size: 2048
    .kernarg_segment_align: 8
    .kernarg_segment_size: 140
    .language:       OpenCL C
    .language_version:
      - 2
      - 0
    .max_flat_workgroup_size: 256
    .name:           _ZN12_GLOBAL__N_127rocblas_gemm_batched_kernelIfLi16ELi16ELi32ELi32ELi8ELi32ELi8ELi8ELi32ELc84ELc67EKPKDF16_S3_KPDF16_EEvlllT_PT11_llS8_llS6_PT12_llPT13_lli
    .private_segment_fixed_size: 0
    .sgpr_count:     38
    .sgpr_spill_count: 0
    .symbol:         _ZN12_GLOBAL__N_127rocblas_gemm_batched_kernelIfLi16ELi16ELi32ELi32ELi8ELi32ELi8ELi8ELi32ELc84ELc67EKPKDF16_S3_KPDF16_EEvlllT_PT11_llS8_llS6_PT12_llPT13_lli.kd
    .uniform_work_group_size: 1
    .uses_dynamic_stack: false
    .vgpr_count:     62
    .vgpr_spill_count: 0
    .wavefront_size: 32
  - .args:
      - .offset:         0
        .size:           8
        .value_kind:     by_value
      - .offset:         8
        .size:           8
        .value_kind:     by_value
      - .offset:         16
        .size:           8
        .value_kind:     by_value
      - .offset:         24
        .size:           4
        .value_kind:     by_value
      - .address_space:  global
        .offset:         32
        .size:           8
        .value_kind:     global_buffer
      - .offset:         40
        .size:           8
        .value_kind:     by_value
      - .offset:         48
        .size:           8
        .value_kind:     by_value
      - .address_space:  global
        .offset:         56
        .size:           8
        .value_kind:     global_buffer
      - .offset:         64
        .size:           8
        .value_kind:     by_value
      - .offset:         72
        .size:           8
        .value_kind:     by_value
      - .offset:         80
        .size:           4
        .value_kind:     by_value
      - .address_space:  global
        .offset:         88
        .size:           8
        .value_kind:     global_buffer
      - .offset:         96
        .size:           8
        .value_kind:     by_value
      - .offset:         104
        .size:           8
        .value_kind:     by_value
      - .address_space:  global
        .offset:         112
        .size:           8
        .value_kind:     global_buffer
      - .offset:         120
        .size:           8
        .value_kind:     by_value
      - .offset:         128
        .size:           8
        .value_kind:     by_value
      - .offset:         136
        .size:           4
        .value_kind:     by_value
    .group_segment_fixed_size: 2048
    .kernarg_segment_align: 8
    .kernarg_segment_size: 140
    .language:       OpenCL C
    .language_version:
      - 2
      - 0
    .max_flat_workgroup_size: 256
    .name:           _ZN12_GLOBAL__N_135rocblas_gemm_batched_general_kernelIfLi16ELi16ELi32ELi32ELi8ELi32ELi8ELi8ELi32ELc78ELc78EKPKDF16_S3_KPDF16_EEvlllT_PT11_llS8_llS6_PT12_llPT13_lli
    .private_segment_fixed_size: 0
    .sgpr_count:     46
    .sgpr_spill_count: 0
    .symbol:         _ZN12_GLOBAL__N_135rocblas_gemm_batched_general_kernelIfLi16ELi16ELi32ELi32ELi8ELi32ELi8ELi8ELi32ELc78ELc78EKPKDF16_S3_KPDF16_EEvlllT_PT11_llS8_llS6_PT12_llPT13_lli.kd
    .uniform_work_group_size: 1
    .uses_dynamic_stack: false
    .vgpr_count:     56
    .vgpr_spill_count: 0
    .wavefront_size: 32
  - .args:
      - .offset:         0
        .size:           8
        .value_kind:     by_value
      - .offset:         8
        .size:           8
        .value_kind:     by_value
      - .offset:         16
        .size:           8
        .value_kind:     by_value
      - .offset:         24
        .size:           4
        .value_kind:     by_value
      - .address_space:  global
        .offset:         32
        .size:           8
        .value_kind:     global_buffer
      - .offset:         40
        .size:           8
        .value_kind:     by_value
      - .offset:         48
        .size:           8
        .value_kind:     by_value
      - .address_space:  global
        .offset:         56
        .size:           8
        .value_kind:     global_buffer
      - .offset:         64
        .size:           8
        .value_kind:     by_value
      - .offset:         72
        .size:           8
        .value_kind:     by_value
      - .offset:         80
        .size:           4
        .value_kind:     by_value
      - .address_space:  global
        .offset:         88
        .size:           8
        .value_kind:     global_buffer
      - .offset:         96
        .size:           8
        .value_kind:     by_value
      - .offset:         104
        .size:           8
        .value_kind:     by_value
      - .address_space:  global
        .offset:         112
        .size:           8
        .value_kind:     global_buffer
      - .offset:         120
        .size:           8
        .value_kind:     by_value
      - .offset:         128
        .size:           8
        .value_kind:     by_value
      - .offset:         136
        .size:           4
        .value_kind:     by_value
    .group_segment_fixed_size: 2048
    .kernarg_segment_align: 8
    .kernarg_segment_size: 140
    .language:       OpenCL C
    .language_version:
      - 2
      - 0
    .max_flat_workgroup_size: 256
    .name:           _ZN12_GLOBAL__N_135rocblas_gemm_batched_general_kernelIfLi16ELi16ELi32ELi32ELi8ELi32ELi8ELi8ELi32ELc84ELc78EKPKDF16_S3_KPDF16_EEvlllT_PT11_llS8_llS6_PT12_llPT13_lli
    .private_segment_fixed_size: 0
    .sgpr_count:     46
    .sgpr_spill_count: 0
    .symbol:         _ZN12_GLOBAL__N_135rocblas_gemm_batched_general_kernelIfLi16ELi16ELi32ELi32ELi8ELi32ELi8ELi8ELi32ELc84ELc78EKPKDF16_S3_KPDF16_EEvlllT_PT11_llS8_llS6_PT12_llPT13_lli.kd
    .uniform_work_group_size: 1
    .uses_dynamic_stack: false
    .vgpr_count:     56
    .vgpr_spill_count: 0
    .wavefront_size: 32
  - .args:
      - .offset:         0
        .size:           8
        .value_kind:     by_value
      - .offset:         8
        .size:           8
        .value_kind:     by_value
      - .offset:         16
        .size:           8
        .value_kind:     by_value
      - .offset:         24
        .size:           4
        .value_kind:     by_value
      - .address_space:  global
        .offset:         32
        .size:           8
        .value_kind:     global_buffer
      - .offset:         40
        .size:           8
        .value_kind:     by_value
      - .offset:         48
        .size:           8
        .value_kind:     by_value
      - .address_space:  global
        .offset:         56
        .size:           8
        .value_kind:     global_buffer
      - .offset:         64
        .size:           8
        .value_kind:     by_value
      - .offset:         72
        .size:           8
        .value_kind:     by_value
      - .offset:         80
        .size:           4
        .value_kind:     by_value
      - .address_space:  global
        .offset:         88
        .size:           8
        .value_kind:     global_buffer
      - .offset:         96
        .size:           8
        .value_kind:     by_value
      - .offset:         104
        .size:           8
        .value_kind:     by_value
      - .address_space:  global
        .offset:         112
        .size:           8
        .value_kind:     global_buffer
      - .offset:         120
        .size:           8
        .value_kind:     by_value
      - .offset:         128
        .size:           8
        .value_kind:     by_value
      - .offset:         136
        .size:           4
        .value_kind:     by_value
    .group_segment_fixed_size: 2048
    .kernarg_segment_align: 8
    .kernarg_segment_size: 140
    .language:       OpenCL C
    .language_version:
      - 2
      - 0
    .max_flat_workgroup_size: 256
    .name:           _ZN12_GLOBAL__N_135rocblas_gemm_batched_general_kernelIfLi16ELi16ELi32ELi32ELi8ELi32ELi8ELi8ELi32ELc78ELc84EKPKDF16_S3_KPDF16_EEvlllT_PT11_llS8_llS6_PT12_llPT13_lli
    .private_segment_fixed_size: 0
    .sgpr_count:     48
    .sgpr_spill_count: 0
    .symbol:         _ZN12_GLOBAL__N_135rocblas_gemm_batched_general_kernelIfLi16ELi16ELi32ELi32ELi8ELi32ELi8ELi8ELi32ELc78ELc84EKPKDF16_S3_KPDF16_EEvlllT_PT11_llS8_llS6_PT12_llPT13_lli.kd
    .uniform_work_group_size: 1
    .uses_dynamic_stack: false
    .vgpr_count:     56
    .vgpr_spill_count: 0
    .wavefront_size: 32
  - .args:
      - .offset:         0
        .size:           8
        .value_kind:     by_value
      - .offset:         8
        .size:           8
        .value_kind:     by_value
      - .offset:         16
        .size:           8
        .value_kind:     by_value
      - .offset:         24
        .size:           4
        .value_kind:     by_value
      - .address_space:  global
        .offset:         32
        .size:           8
        .value_kind:     global_buffer
      - .offset:         40
        .size:           8
        .value_kind:     by_value
      - .offset:         48
        .size:           8
        .value_kind:     by_value
      - .address_space:  global
        .offset:         56
        .size:           8
        .value_kind:     global_buffer
      - .offset:         64
        .size:           8
        .value_kind:     by_value
      - .offset:         72
        .size:           8
        .value_kind:     by_value
      - .offset:         80
        .size:           4
        .value_kind:     by_value
      - .address_space:  global
        .offset:         88
        .size:           8
        .value_kind:     global_buffer
      - .offset:         96
        .size:           8
        .value_kind:     by_value
      - .offset:         104
        .size:           8
        .value_kind:     by_value
      - .address_space:  global
        .offset:         112
        .size:           8
        .value_kind:     global_buffer
      - .offset:         120
        .size:           8
        .value_kind:     by_value
      - .offset:         128
        .size:           8
        .value_kind:     by_value
      - .offset:         136
        .size:           4
        .value_kind:     by_value
    .group_segment_fixed_size: 2048
    .kernarg_segment_align: 8
    .kernarg_segment_size: 140
    .language:       OpenCL C
    .language_version:
      - 2
      - 0
    .max_flat_workgroup_size: 256
    .name:           _ZN12_GLOBAL__N_135rocblas_gemm_batched_general_kernelIfLi16ELi16ELi32ELi32ELi8ELi32ELi8ELi8ELi32ELc84ELc84EKPKDF16_S3_KPDF16_EEvlllT_PT11_llS8_llS6_PT12_llPT13_lli
    .private_segment_fixed_size: 0
    .sgpr_count:     44
    .sgpr_spill_count: 0
    .symbol:         _ZN12_GLOBAL__N_135rocblas_gemm_batched_general_kernelIfLi16ELi16ELi32ELi32ELi8ELi32ELi8ELi8ELi32ELc84ELc84EKPKDF16_S3_KPDF16_EEvlllT_PT11_llS8_llS6_PT12_llPT13_lli.kd
    .uniform_work_group_size: 1
    .uses_dynamic_stack: false
    .vgpr_count:     56
    .vgpr_spill_count: 0
    .wavefront_size: 32
  - .args:
      - .offset:         0
        .size:           8
        .value_kind:     by_value
      - .offset:         8
        .size:           8
        .value_kind:     by_value
      - .offset:         16
        .size:           8
        .value_kind:     by_value
      - .offset:         24
        .size:           4
        .value_kind:     by_value
      - .address_space:  global
        .offset:         32
        .size:           8
        .value_kind:     global_buffer
      - .offset:         40
        .size:           8
        .value_kind:     by_value
      - .offset:         48
        .size:           8
        .value_kind:     by_value
      - .address_space:  global
        .offset:         56
        .size:           8
        .value_kind:     global_buffer
      - .offset:         64
        .size:           8
        .value_kind:     by_value
      - .offset:         72
        .size:           8
        .value_kind:     by_value
      - .offset:         80
        .size:           4
        .value_kind:     by_value
      - .address_space:  global
        .offset:         88
        .size:           8
        .value_kind:     global_buffer
      - .offset:         96
        .size:           8
        .value_kind:     by_value
      - .offset:         104
        .size:           8
        .value_kind:     by_value
      - .address_space:  global
        .offset:         112
        .size:           8
        .value_kind:     global_buffer
      - .offset:         120
        .size:           8
        .value_kind:     by_value
      - .offset:         128
        .size:           8
        .value_kind:     by_value
      - .offset:         136
        .size:           4
        .value_kind:     by_value
    .group_segment_fixed_size: 2048
    .kernarg_segment_align: 8
    .kernarg_segment_size: 140
    .language:       OpenCL C
    .language_version:
      - 2
      - 0
    .max_flat_workgroup_size: 256
    .name:           _ZN12_GLOBAL__N_135rocblas_gemm_batched_general_kernelIfLi16ELi16ELi32ELi32ELi8ELi32ELi8ELi8ELi32ELc67ELc67EKPKDF16_S3_KPDF16_EEvlllT_PT11_llS8_llS6_PT12_llPT13_lli
    .private_segment_fixed_size: 0
    .sgpr_count:     44
    .sgpr_spill_count: 0
    .symbol:         _ZN12_GLOBAL__N_135rocblas_gemm_batched_general_kernelIfLi16ELi16ELi32ELi32ELi8ELi32ELi8ELi8ELi32ELc67ELc67EKPKDF16_S3_KPDF16_EEvlllT_PT11_llS8_llS6_PT12_llPT13_lli.kd
    .uniform_work_group_size: 1
    .uses_dynamic_stack: false
    .vgpr_count:     56
    .vgpr_spill_count: 0
    .wavefront_size: 32
  - .args:
      - .offset:         0
        .size:           8
        .value_kind:     by_value
      - .offset:         8
        .size:           8
        .value_kind:     by_value
      - .offset:         16
        .size:           8
        .value_kind:     by_value
      - .offset:         24
        .size:           4
        .value_kind:     by_value
      - .address_space:  global
        .offset:         32
        .size:           8
        .value_kind:     global_buffer
      - .offset:         40
        .size:           8
        .value_kind:     by_value
      - .offset:         48
        .size:           8
        .value_kind:     by_value
      - .address_space:  global
        .offset:         56
        .size:           8
        .value_kind:     global_buffer
      - .offset:         64
        .size:           8
        .value_kind:     by_value
      - .offset:         72
        .size:           8
        .value_kind:     by_value
      - .offset:         80
        .size:           4
        .value_kind:     by_value
      - .address_space:  global
        .offset:         88
        .size:           8
        .value_kind:     global_buffer
      - .offset:         96
        .size:           8
        .value_kind:     by_value
      - .offset:         104
        .size:           8
        .value_kind:     by_value
      - .address_space:  global
        .offset:         112
        .size:           8
        .value_kind:     global_buffer
      - .offset:         120
        .size:           8
        .value_kind:     by_value
      - .offset:         128
        .size:           8
        .value_kind:     by_value
      - .offset:         136
        .size:           4
        .value_kind:     by_value
    .group_segment_fixed_size: 2048
    .kernarg_segment_align: 8
    .kernarg_segment_size: 140
    .language:       OpenCL C
    .language_version:
      - 2
      - 0
    .max_flat_workgroup_size: 256
    .name:           _ZN12_GLOBAL__N_135rocblas_gemm_batched_general_kernelIfLi16ELi16ELi32ELi32ELi8ELi32ELi8ELi8ELi32ELc67ELc78EKPKDF16_S3_KPDF16_EEvlllT_PT11_llS8_llS6_PT12_llPT13_lli
    .private_segment_fixed_size: 0
    .sgpr_count:     46
    .sgpr_spill_count: 0
    .symbol:         _ZN12_GLOBAL__N_135rocblas_gemm_batched_general_kernelIfLi16ELi16ELi32ELi32ELi8ELi32ELi8ELi8ELi32ELc67ELc78EKPKDF16_S3_KPDF16_EEvlllT_PT11_llS8_llS6_PT12_llPT13_lli.kd
    .uniform_work_group_size: 1
    .uses_dynamic_stack: false
    .vgpr_count:     56
    .vgpr_spill_count: 0
    .wavefront_size: 32
  - .args:
      - .offset:         0
        .size:           8
        .value_kind:     by_value
      - .offset:         8
        .size:           8
        .value_kind:     by_value
      - .offset:         16
        .size:           8
        .value_kind:     by_value
      - .offset:         24
        .size:           4
        .value_kind:     by_value
      - .address_space:  global
        .offset:         32
        .size:           8
        .value_kind:     global_buffer
      - .offset:         40
        .size:           8
        .value_kind:     by_value
      - .offset:         48
        .size:           8
        .value_kind:     by_value
      - .address_space:  global
        .offset:         56
        .size:           8
        .value_kind:     global_buffer
      - .offset:         64
        .size:           8
        .value_kind:     by_value
      - .offset:         72
        .size:           8
        .value_kind:     by_value
      - .offset:         80
        .size:           4
        .value_kind:     by_value
      - .address_space:  global
        .offset:         88
        .size:           8
        .value_kind:     global_buffer
      - .offset:         96
        .size:           8
        .value_kind:     by_value
      - .offset:         104
        .size:           8
        .value_kind:     by_value
      - .address_space:  global
        .offset:         112
        .size:           8
        .value_kind:     global_buffer
      - .offset:         120
        .size:           8
        .value_kind:     by_value
      - .offset:         128
        .size:           8
        .value_kind:     by_value
      - .offset:         136
        .size:           4
        .value_kind:     by_value
    .group_segment_fixed_size: 2048
    .kernarg_segment_align: 8
    .kernarg_segment_size: 140
    .language:       OpenCL C
    .language_version:
      - 2
      - 0
    .max_flat_workgroup_size: 256
    .name:           _ZN12_GLOBAL__N_135rocblas_gemm_batched_general_kernelIfLi16ELi16ELi32ELi32ELi8ELi32ELi8ELi8ELi32ELc67ELc84EKPKDF16_S3_KPDF16_EEvlllT_PT11_llS8_llS6_PT12_llPT13_lli
    .private_segment_fixed_size: 0
    .sgpr_count:     44
    .sgpr_spill_count: 0
    .symbol:         _ZN12_GLOBAL__N_135rocblas_gemm_batched_general_kernelIfLi16ELi16ELi32ELi32ELi8ELi32ELi8ELi8ELi32ELc67ELc84EKPKDF16_S3_KPDF16_EEvlllT_PT11_llS8_llS6_PT12_llPT13_lli.kd
    .uniform_work_group_size: 1
    .uses_dynamic_stack: false
    .vgpr_count:     56
    .vgpr_spill_count: 0
    .wavefront_size: 32
  - .args:
      - .offset:         0
        .size:           8
        .value_kind:     by_value
      - .offset:         8
        .size:           8
        .value_kind:     by_value
      - .offset:         16
        .size:           8
        .value_kind:     by_value
      - .offset:         24
        .size:           4
        .value_kind:     by_value
      - .address_space:  global
        .offset:         32
        .size:           8
        .value_kind:     global_buffer
      - .offset:         40
        .size:           8
        .value_kind:     by_value
      - .offset:         48
        .size:           8
        .value_kind:     by_value
      - .address_space:  global
        .offset:         56
        .size:           8
        .value_kind:     global_buffer
      - .offset:         64
        .size:           8
        .value_kind:     by_value
      - .offset:         72
        .size:           8
        .value_kind:     by_value
      - .offset:         80
        .size:           4
        .value_kind:     by_value
      - .address_space:  global
        .offset:         88
        .size:           8
        .value_kind:     global_buffer
      - .offset:         96
        .size:           8
        .value_kind:     by_value
      - .offset:         104
        .size:           8
        .value_kind:     by_value
      - .address_space:  global
        .offset:         112
        .size:           8
        .value_kind:     global_buffer
      - .offset:         120
        .size:           8
        .value_kind:     by_value
      - .offset:         128
        .size:           8
        .value_kind:     by_value
      - .offset:         136
        .size:           4
        .value_kind:     by_value
    .group_segment_fixed_size: 2048
    .kernarg_segment_align: 8
    .kernarg_segment_size: 140
    .language:       OpenCL C
    .language_version:
      - 2
      - 0
    .max_flat_workgroup_size: 256
    .name:           _ZN12_GLOBAL__N_135rocblas_gemm_batched_general_kernelIfLi16ELi16ELi32ELi32ELi8ELi32ELi8ELi8ELi32ELc78ELc67EKPKDF16_S3_KPDF16_EEvlllT_PT11_llS8_llS6_PT12_llPT13_lli
    .private_segment_fixed_size: 0
    .sgpr_count:     48
    .sgpr_spill_count: 0
    .symbol:         _ZN12_GLOBAL__N_135rocblas_gemm_batched_general_kernelIfLi16ELi16ELi32ELi32ELi8ELi32ELi8ELi8ELi32ELc78ELc67EKPKDF16_S3_KPDF16_EEvlllT_PT11_llS8_llS6_PT12_llPT13_lli.kd
    .uniform_work_group_size: 1
    .uses_dynamic_stack: false
    .vgpr_count:     56
    .vgpr_spill_count: 0
    .wavefront_size: 32
  - .args:
      - .offset:         0
        .size:           8
        .value_kind:     by_value
      - .offset:         8
        .size:           8
        .value_kind:     by_value
      - .offset:         16
        .size:           8
        .value_kind:     by_value
      - .offset:         24
        .size:           4
        .value_kind:     by_value
      - .address_space:  global
        .offset:         32
        .size:           8
        .value_kind:     global_buffer
      - .offset:         40
        .size:           8
        .value_kind:     by_value
      - .offset:         48
        .size:           8
        .value_kind:     by_value
      - .address_space:  global
        .offset:         56
        .size:           8
        .value_kind:     global_buffer
      - .offset:         64
        .size:           8
        .value_kind:     by_value
      - .offset:         72
        .size:           8
        .value_kind:     by_value
      - .offset:         80
        .size:           4
        .value_kind:     by_value
      - .address_space:  global
        .offset:         88
        .size:           8
        .value_kind:     global_buffer
      - .offset:         96
        .size:           8
        .value_kind:     by_value
      - .offset:         104
        .size:           8
        .value_kind:     by_value
      - .address_space:  global
        .offset:         112
        .size:           8
        .value_kind:     global_buffer
      - .offset:         120
        .size:           8
        .value_kind:     by_value
      - .offset:         128
        .size:           8
        .value_kind:     by_value
      - .offset:         136
        .size:           4
        .value_kind:     by_value
    .group_segment_fixed_size: 2048
    .kernarg_segment_align: 8
    .kernarg_segment_size: 140
    .language:       OpenCL C
    .language_version:
      - 2
      - 0
    .max_flat_workgroup_size: 256
    .name:           _ZN12_GLOBAL__N_135rocblas_gemm_batched_general_kernelIfLi16ELi16ELi32ELi32ELi8ELi32ELi8ELi8ELi32ELc84ELc67EKPKDF16_S3_KPDF16_EEvlllT_PT11_llS8_llS6_PT12_llPT13_lli
    .private_segment_fixed_size: 0
    .sgpr_count:     44
    .sgpr_spill_count: 0
    .symbol:         _ZN12_GLOBAL__N_135rocblas_gemm_batched_general_kernelIfLi16ELi16ELi32ELi32ELi8ELi32ELi8ELi8ELi32ELc84ELc67EKPKDF16_S3_KPDF16_EEvlllT_PT11_llS8_llS6_PT12_llPT13_lli.kd
    .uniform_work_group_size: 1
    .uses_dynamic_stack: false
    .vgpr_count:     56
    .vgpr_spill_count: 0
    .wavefront_size: 32
  - .args:
      - .offset:         0
        .size:           8
        .value_kind:     by_value
      - .offset:         8
        .size:           8
        .value_kind:     by_value
      - .offset:         16
        .size:           8
        .value_kind:     by_value
      - .offset:         24
        .size:           4
        .value_kind:     by_value
      - .address_space:  global
        .offset:         32
        .size:           8
        .value_kind:     global_buffer
      - .offset:         40
        .size:           8
        .value_kind:     by_value
      - .offset:         48
        .size:           8
        .value_kind:     by_value
      - .address_space:  global
        .offset:         56
        .size:           8
        .value_kind:     global_buffer
      - .offset:         64
        .size:           8
        .value_kind:     by_value
      - .offset:         72
        .size:           8
        .value_kind:     by_value
      - .offset:         80
        .size:           4
        .value_kind:     by_value
      - .address_space:  global
        .offset:         88
        .size:           8
        .value_kind:     global_buffer
      - .offset:         96
        .size:           8
        .value_kind:     by_value
      - .offset:         104
        .size:           8
        .value_kind:     by_value
      - .address_space:  global
        .offset:         112
        .size:           8
        .value_kind:     global_buffer
      - .offset:         120
        .size:           8
        .value_kind:     by_value
      - .offset:         128
        .size:           8
        .value_kind:     by_value
      - .offset:         136
        .size:           4
        .value_kind:     by_value
    .group_segment_fixed_size: 2048
    .kernarg_segment_align: 8
    .kernarg_segment_size: 140
    .language:       OpenCL C
    .language_version:
      - 2
      - 0
    .max_flat_workgroup_size: 256
    .name:           _ZN12_GLOBAL__N_127rocblas_gemm_batched_kernelIfLi16ELi16ELi64ELi64ELi4ELi64ELi4ELi4ELi64ELc78ELc78EKPKDF16_KPKfKPfEEvlllT_PT11_llSB_llS9_PT12_llPT13_lli
    .private_segment_fixed_size: 0
    .sgpr_count:     40
    .sgpr_spill_count: 0
    .symbol:         _ZN12_GLOBAL__N_127rocblas_gemm_batched_kernelIfLi16ELi16ELi64ELi64ELi4ELi64ELi4ELi4ELi64ELc78ELc78EKPKDF16_KPKfKPfEEvlllT_PT11_llSB_llS9_PT12_llPT13_lli.kd
    .uniform_work_group_size: 1
    .uses_dynamic_stack: false
    .vgpr_count:     78
    .vgpr_spill_count: 0
    .wavefront_size: 32
  - .args:
      - .offset:         0
        .size:           8
        .value_kind:     by_value
      - .offset:         8
        .size:           8
        .value_kind:     by_value
      - .offset:         16
        .size:           8
        .value_kind:     by_value
      - .offset:         24
        .size:           4
        .value_kind:     by_value
      - .address_space:  global
        .offset:         32
        .size:           8
        .value_kind:     global_buffer
      - .offset:         40
        .size:           8
        .value_kind:     by_value
      - .offset:         48
        .size:           8
        .value_kind:     by_value
      - .address_space:  global
        .offset:         56
        .size:           8
        .value_kind:     global_buffer
      - .offset:         64
        .size:           8
        .value_kind:     by_value
      - .offset:         72
        .size:           8
        .value_kind:     by_value
      - .offset:         80
        .size:           4
        .value_kind:     by_value
      - .address_space:  global
        .offset:         88
        .size:           8
        .value_kind:     global_buffer
      - .offset:         96
        .size:           8
        .value_kind:     by_value
      - .offset:         104
        .size:           8
        .value_kind:     by_value
      - .address_space:  global
        .offset:         112
        .size:           8
        .value_kind:     global_buffer
      - .offset:         120
        .size:           8
        .value_kind:     by_value
      - .offset:         128
        .size:           8
        .value_kind:     by_value
      - .offset:         136
        .size:           4
        .value_kind:     by_value
    .group_segment_fixed_size: 2048
    .kernarg_segment_align: 8
    .kernarg_segment_size: 140
    .language:       OpenCL C
    .language_version:
      - 2
      - 0
    .max_flat_workgroup_size: 256
    .name:           _ZN12_GLOBAL__N_127rocblas_gemm_batched_kernelIfLi16ELi16ELi64ELi64ELi4ELi64ELi4ELi4ELi64ELc84ELc78EKPKDF16_KPKfKPfEEvlllT_PT11_llSB_llS9_PT12_llPT13_lli
    .private_segment_fixed_size: 0
    .sgpr_count:     38
    .sgpr_spill_count: 0
    .symbol:         _ZN12_GLOBAL__N_127rocblas_gemm_batched_kernelIfLi16ELi16ELi64ELi64ELi4ELi64ELi4ELi4ELi64ELc84ELc78EKPKDF16_KPKfKPfEEvlllT_PT11_llSB_llS9_PT12_llPT13_lli.kd
    .uniform_work_group_size: 1
    .uses_dynamic_stack: false
    .vgpr_count:     78
    .vgpr_spill_count: 0
    .wavefront_size: 32
  - .args:
      - .offset:         0
        .size:           8
        .value_kind:     by_value
      - .offset:         8
        .size:           8
        .value_kind:     by_value
      - .offset:         16
        .size:           8
        .value_kind:     by_value
      - .offset:         24
        .size:           4
        .value_kind:     by_value
      - .address_space:  global
        .offset:         32
        .size:           8
        .value_kind:     global_buffer
      - .offset:         40
        .size:           8
        .value_kind:     by_value
      - .offset:         48
        .size:           8
        .value_kind:     by_value
      - .address_space:  global
        .offset:         56
        .size:           8
        .value_kind:     global_buffer
      - .offset:         64
        .size:           8
        .value_kind:     by_value
      - .offset:         72
        .size:           8
        .value_kind:     by_value
      - .offset:         80
        .size:           4
        .value_kind:     by_value
      - .address_space:  global
        .offset:         88
        .size:           8
        .value_kind:     global_buffer
      - .offset:         96
        .size:           8
        .value_kind:     by_value
      - .offset:         104
        .size:           8
        .value_kind:     by_value
      - .address_space:  global
        .offset:         112
        .size:           8
        .value_kind:     global_buffer
      - .offset:         120
        .size:           8
        .value_kind:     by_value
      - .offset:         128
        .size:           8
        .value_kind:     by_value
      - .offset:         136
        .size:           4
        .value_kind:     by_value
    .group_segment_fixed_size: 2048
    .kernarg_segment_align: 8
    .kernarg_segment_size: 140
    .language:       OpenCL C
    .language_version:
      - 2
      - 0
    .max_flat_workgroup_size: 256
    .name:           _ZN12_GLOBAL__N_127rocblas_gemm_batched_kernelIfLi16ELi16ELi64ELi64ELi4ELi64ELi4ELi4ELi64ELc78ELc84EKPKDF16_KPKfKPfEEvlllT_PT11_llSB_llS9_PT12_llPT13_lli
    .private_segment_fixed_size: 0
    .sgpr_count:     40
    .sgpr_spill_count: 0
    .symbol:         _ZN12_GLOBAL__N_127rocblas_gemm_batched_kernelIfLi16ELi16ELi64ELi64ELi4ELi64ELi4ELi4ELi64ELc78ELc84EKPKDF16_KPKfKPfEEvlllT_PT11_llSB_llS9_PT12_llPT13_lli.kd
    .uniform_work_group_size: 1
    .uses_dynamic_stack: false
    .vgpr_count:     80
    .vgpr_spill_count: 0
    .wavefront_size: 32
  - .args:
      - .offset:         0
        .size:           8
        .value_kind:     by_value
      - .offset:         8
        .size:           8
        .value_kind:     by_value
      - .offset:         16
        .size:           8
        .value_kind:     by_value
      - .offset:         24
        .size:           4
        .value_kind:     by_value
      - .address_space:  global
        .offset:         32
        .size:           8
        .value_kind:     global_buffer
      - .offset:         40
        .size:           8
        .value_kind:     by_value
      - .offset:         48
        .size:           8
        .value_kind:     by_value
      - .address_space:  global
        .offset:         56
        .size:           8
        .value_kind:     global_buffer
      - .offset:         64
        .size:           8
        .value_kind:     by_value
      - .offset:         72
        .size:           8
        .value_kind:     by_value
      - .offset:         80
        .size:           4
        .value_kind:     by_value
      - .address_space:  global
        .offset:         88
        .size:           8
        .value_kind:     global_buffer
      - .offset:         96
        .size:           8
        .value_kind:     by_value
      - .offset:         104
        .size:           8
        .value_kind:     by_value
      - .address_space:  global
        .offset:         112
        .size:           8
        .value_kind:     global_buffer
      - .offset:         120
        .size:           8
        .value_kind:     by_value
      - .offset:         128
        .size:           8
        .value_kind:     by_value
      - .offset:         136
        .size:           4
        .value_kind:     by_value
    .group_segment_fixed_size: 2048
    .kernarg_segment_align: 8
    .kernarg_segment_size: 140
    .language:       OpenCL C
    .language_version:
      - 2
      - 0
    .max_flat_workgroup_size: 256
    .name:           _ZN12_GLOBAL__N_127rocblas_gemm_batched_kernelIfLi16ELi16ELi64ELi64ELi4ELi64ELi4ELi4ELi64ELc84ELc84EKPKDF16_KPKfKPfEEvlllT_PT11_llSB_llS9_PT12_llPT13_lli
    .private_segment_fixed_size: 0
    .sgpr_count:     38
    .sgpr_spill_count: 0
    .symbol:         _ZN12_GLOBAL__N_127rocblas_gemm_batched_kernelIfLi16ELi16ELi64ELi64ELi4ELi64ELi4ELi4ELi64ELc84ELc84EKPKDF16_KPKfKPfEEvlllT_PT11_llSB_llS9_PT12_llPT13_lli.kd
    .uniform_work_group_size: 1
    .uses_dynamic_stack: false
    .vgpr_count:     78
    .vgpr_spill_count: 0
    .wavefront_size: 32
  - .args:
      - .offset:         0
        .size:           8
        .value_kind:     by_value
      - .offset:         8
        .size:           8
        .value_kind:     by_value
      - .offset:         16
        .size:           8
        .value_kind:     by_value
      - .offset:         24
        .size:           4
        .value_kind:     by_value
      - .address_space:  global
        .offset:         32
        .size:           8
        .value_kind:     global_buffer
      - .offset:         40
        .size:           8
        .value_kind:     by_value
      - .offset:         48
        .size:           8
        .value_kind:     by_value
      - .address_space:  global
        .offset:         56
        .size:           8
        .value_kind:     global_buffer
      - .offset:         64
        .size:           8
        .value_kind:     by_value
      - .offset:         72
        .size:           8
        .value_kind:     by_value
      - .offset:         80
        .size:           4
        .value_kind:     by_value
      - .address_space:  global
        .offset:         88
        .size:           8
        .value_kind:     global_buffer
      - .offset:         96
        .size:           8
        .value_kind:     by_value
      - .offset:         104
        .size:           8
        .value_kind:     by_value
      - .address_space:  global
        .offset:         112
        .size:           8
        .value_kind:     global_buffer
      - .offset:         120
        .size:           8
        .value_kind:     by_value
      - .offset:         128
        .size:           8
        .value_kind:     by_value
      - .offset:         136
        .size:           4
        .value_kind:     by_value
    .group_segment_fixed_size: 2048
    .kernarg_segment_align: 8
    .kernarg_segment_size: 140
    .language:       OpenCL C
    .language_version:
      - 2
      - 0
    .max_flat_workgroup_size: 256
    .name:           _ZN12_GLOBAL__N_127rocblas_gemm_batched_kernelIfLi16ELi16ELi64ELi64ELi4ELi64ELi4ELi4ELi64ELc67ELc67EKPKDF16_KPKfKPfEEvlllT_PT11_llSB_llS9_PT12_llPT13_lli
    .private_segment_fixed_size: 0
    .sgpr_count:     38
    .sgpr_spill_count: 0
    .symbol:         _ZN12_GLOBAL__N_127rocblas_gemm_batched_kernelIfLi16ELi16ELi64ELi64ELi4ELi64ELi4ELi4ELi64ELc67ELc67EKPKDF16_KPKfKPfEEvlllT_PT11_llSB_llS9_PT12_llPT13_lli.kd
    .uniform_work_group_size: 1
    .uses_dynamic_stack: false
    .vgpr_count:     78
    .vgpr_spill_count: 0
    .wavefront_size: 32
  - .args:
      - .offset:         0
        .size:           8
        .value_kind:     by_value
      - .offset:         8
        .size:           8
        .value_kind:     by_value
      - .offset:         16
        .size:           8
        .value_kind:     by_value
      - .offset:         24
        .size:           4
        .value_kind:     by_value
      - .address_space:  global
        .offset:         32
        .size:           8
        .value_kind:     global_buffer
      - .offset:         40
        .size:           8
        .value_kind:     by_value
      - .offset:         48
        .size:           8
        .value_kind:     by_value
      - .address_space:  global
        .offset:         56
        .size:           8
        .value_kind:     global_buffer
      - .offset:         64
        .size:           8
        .value_kind:     by_value
      - .offset:         72
        .size:           8
        .value_kind:     by_value
      - .offset:         80
        .size:           4
        .value_kind:     by_value
      - .address_space:  global
        .offset:         88
        .size:           8
        .value_kind:     global_buffer
      - .offset:         96
        .size:           8
        .value_kind:     by_value
      - .offset:         104
        .size:           8
        .value_kind:     by_value
      - .address_space:  global
        .offset:         112
        .size:           8
        .value_kind:     global_buffer
      - .offset:         120
        .size:           8
        .value_kind:     by_value
      - .offset:         128
        .size:           8
        .value_kind:     by_value
      - .offset:         136
        .size:           4
        .value_kind:     by_value
    .group_segment_fixed_size: 2048
    .kernarg_segment_align: 8
    .kernarg_segment_size: 140
    .language:       OpenCL C
    .language_version:
      - 2
      - 0
    .max_flat_workgroup_size: 256
    .name:           _ZN12_GLOBAL__N_127rocblas_gemm_batched_kernelIfLi16ELi16ELi64ELi64ELi4ELi64ELi4ELi4ELi64ELc67ELc78EKPKDF16_KPKfKPfEEvlllT_PT11_llSB_llS9_PT12_llPT13_lli
    .private_segment_fixed_size: 0
    .sgpr_count:     38
    .sgpr_spill_count: 0
    .symbol:         _ZN12_GLOBAL__N_127rocblas_gemm_batched_kernelIfLi16ELi16ELi64ELi64ELi4ELi64ELi4ELi4ELi64ELc67ELc78EKPKDF16_KPKfKPfEEvlllT_PT11_llSB_llS9_PT12_llPT13_lli.kd
    .uniform_work_group_size: 1
    .uses_dynamic_stack: false
    .vgpr_count:     78
    .vgpr_spill_count: 0
    .wavefront_size: 32
  - .args:
      - .offset:         0
        .size:           8
        .value_kind:     by_value
      - .offset:         8
        .size:           8
        .value_kind:     by_value
      - .offset:         16
        .size:           8
        .value_kind:     by_value
      - .offset:         24
        .size:           4
        .value_kind:     by_value
      - .address_space:  global
        .offset:         32
        .size:           8
        .value_kind:     global_buffer
      - .offset:         40
        .size:           8
        .value_kind:     by_value
      - .offset:         48
        .size:           8
        .value_kind:     by_value
      - .address_space:  global
        .offset:         56
        .size:           8
        .value_kind:     global_buffer
      - .offset:         64
        .size:           8
        .value_kind:     by_value
      - .offset:         72
        .size:           8
        .value_kind:     by_value
      - .offset:         80
        .size:           4
        .value_kind:     by_value
      - .address_space:  global
        .offset:         88
        .size:           8
        .value_kind:     global_buffer
      - .offset:         96
        .size:           8
        .value_kind:     by_value
      - .offset:         104
        .size:           8
        .value_kind:     by_value
      - .address_space:  global
        .offset:         112
        .size:           8
        .value_kind:     global_buffer
      - .offset:         120
        .size:           8
        .value_kind:     by_value
      - .offset:         128
        .size:           8
        .value_kind:     by_value
      - .offset:         136
        .size:           4
        .value_kind:     by_value
    .group_segment_fixed_size: 2048
    .kernarg_segment_align: 8
    .kernarg_segment_size: 140
    .language:       OpenCL C
    .language_version:
      - 2
      - 0
    .max_flat_workgroup_size: 256
    .name:           _ZN12_GLOBAL__N_127rocblas_gemm_batched_kernelIfLi16ELi16ELi64ELi64ELi4ELi64ELi4ELi4ELi64ELc67ELc84EKPKDF16_KPKfKPfEEvlllT_PT11_llSB_llS9_PT12_llPT13_lli
    .private_segment_fixed_size: 0
    .sgpr_count:     38
    .sgpr_spill_count: 0
    .symbol:         _ZN12_GLOBAL__N_127rocblas_gemm_batched_kernelIfLi16ELi16ELi64ELi64ELi4ELi64ELi4ELi4ELi64ELc67ELc84EKPKDF16_KPKfKPfEEvlllT_PT11_llSB_llS9_PT12_llPT13_lli.kd
    .uniform_work_group_size: 1
    .uses_dynamic_stack: false
    .vgpr_count:     78
    .vgpr_spill_count: 0
    .wavefront_size: 32
  - .args:
      - .offset:         0
        .size:           8
        .value_kind:     by_value
      - .offset:         8
        .size:           8
        .value_kind:     by_value
      - .offset:         16
        .size:           8
        .value_kind:     by_value
      - .offset:         24
        .size:           4
        .value_kind:     by_value
      - .address_space:  global
        .offset:         32
        .size:           8
        .value_kind:     global_buffer
      - .offset:         40
        .size:           8
        .value_kind:     by_value
      - .offset:         48
        .size:           8
        .value_kind:     by_value
      - .address_space:  global
        .offset:         56
        .size:           8
        .value_kind:     global_buffer
      - .offset:         64
        .size:           8
        .value_kind:     by_value
      - .offset:         72
        .size:           8
        .value_kind:     by_value
      - .offset:         80
        .size:           4
        .value_kind:     by_value
      - .address_space:  global
        .offset:         88
        .size:           8
        .value_kind:     global_buffer
      - .offset:         96
        .size:           8
        .value_kind:     by_value
      - .offset:         104
        .size:           8
        .value_kind:     by_value
      - .address_space:  global
        .offset:         112
        .size:           8
        .value_kind:     global_buffer
      - .offset:         120
        .size:           8
        .value_kind:     by_value
      - .offset:         128
        .size:           8
        .value_kind:     by_value
      - .offset:         136
        .size:           4
        .value_kind:     by_value
    .group_segment_fixed_size: 2048
    .kernarg_segment_align: 8
    .kernarg_segment_size: 140
    .language:       OpenCL C
    .language_version:
      - 2
      - 0
    .max_flat_workgroup_size: 256
    .name:           _ZN12_GLOBAL__N_127rocblas_gemm_batched_kernelIfLi16ELi16ELi64ELi64ELi4ELi64ELi4ELi4ELi64ELc78ELc67EKPKDF16_KPKfKPfEEvlllT_PT11_llSB_llS9_PT12_llPT13_lli
    .private_segment_fixed_size: 0
    .sgpr_count:     40
    .sgpr_spill_count: 0
    .symbol:         _ZN12_GLOBAL__N_127rocblas_gemm_batched_kernelIfLi16ELi16ELi64ELi64ELi4ELi64ELi4ELi4ELi64ELc78ELc67EKPKDF16_KPKfKPfEEvlllT_PT11_llSB_llS9_PT12_llPT13_lli.kd
    .uniform_work_group_size: 1
    .uses_dynamic_stack: false
    .vgpr_count:     80
    .vgpr_spill_count: 0
    .wavefront_size: 32
  - .args:
      - .offset:         0
        .size:           8
        .value_kind:     by_value
      - .offset:         8
        .size:           8
        .value_kind:     by_value
      - .offset:         16
        .size:           8
        .value_kind:     by_value
      - .offset:         24
        .size:           4
        .value_kind:     by_value
      - .address_space:  global
        .offset:         32
        .size:           8
        .value_kind:     global_buffer
      - .offset:         40
        .size:           8
        .value_kind:     by_value
      - .offset:         48
        .size:           8
        .value_kind:     by_value
      - .address_space:  global
        .offset:         56
        .size:           8
        .value_kind:     global_buffer
      - .offset:         64
        .size:           8
        .value_kind:     by_value
      - .offset:         72
        .size:           8
        .value_kind:     by_value
      - .offset:         80
        .size:           4
        .value_kind:     by_value
      - .address_space:  global
        .offset:         88
        .size:           8
        .value_kind:     global_buffer
      - .offset:         96
        .size:           8
        .value_kind:     by_value
      - .offset:         104
        .size:           8
        .value_kind:     by_value
      - .address_space:  global
        .offset:         112
        .size:           8
        .value_kind:     global_buffer
      - .offset:         120
        .size:           8
        .value_kind:     by_value
      - .offset:         128
        .size:           8
        .value_kind:     by_value
      - .offset:         136
        .size:           4
        .value_kind:     by_value
    .group_segment_fixed_size: 2048
    .kernarg_segment_align: 8
    .kernarg_segment_size: 140
    .language:       OpenCL C
    .language_version:
      - 2
      - 0
    .max_flat_workgroup_size: 256
    .name:           _ZN12_GLOBAL__N_127rocblas_gemm_batched_kernelIfLi16ELi16ELi64ELi64ELi4ELi64ELi4ELi4ELi64ELc84ELc67EKPKDF16_KPKfKPfEEvlllT_PT11_llSB_llS9_PT12_llPT13_lli
    .private_segment_fixed_size: 0
    .sgpr_count:     38
    .sgpr_spill_count: 0
    .symbol:         _ZN12_GLOBAL__N_127rocblas_gemm_batched_kernelIfLi16ELi16ELi64ELi64ELi4ELi64ELi4ELi4ELi64ELc84ELc67EKPKDF16_KPKfKPfEEvlllT_PT11_llSB_llS9_PT12_llPT13_lli.kd
    .uniform_work_group_size: 1
    .uses_dynamic_stack: false
    .vgpr_count:     78
    .vgpr_spill_count: 0
    .wavefront_size: 32
  - .args:
      - .offset:         0
        .size:           8
        .value_kind:     by_value
      - .offset:         8
        .size:           8
        .value_kind:     by_value
      - .offset:         16
        .size:           8
        .value_kind:     by_value
      - .offset:         24
        .size:           4
        .value_kind:     by_value
      - .address_space:  global
        .offset:         32
        .size:           8
        .value_kind:     global_buffer
      - .offset:         40
        .size:           8
        .value_kind:     by_value
      - .offset:         48
        .size:           8
        .value_kind:     by_value
      - .address_space:  global
        .offset:         56
        .size:           8
        .value_kind:     global_buffer
      - .offset:         64
        .size:           8
        .value_kind:     by_value
      - .offset:         72
        .size:           8
        .value_kind:     by_value
      - .offset:         80
        .size:           4
        .value_kind:     by_value
      - .address_space:  global
        .offset:         88
        .size:           8
        .value_kind:     global_buffer
      - .offset:         96
        .size:           8
        .value_kind:     by_value
      - .offset:         104
        .size:           8
        .value_kind:     by_value
      - .address_space:  global
        .offset:         112
        .size:           8
        .value_kind:     global_buffer
      - .offset:         120
        .size:           8
        .value_kind:     by_value
      - .offset:         128
        .size:           8
        .value_kind:     by_value
      - .offset:         136
        .size:           4
        .value_kind:     by_value
    .group_segment_fixed_size: 2048
    .kernarg_segment_align: 8
    .kernarg_segment_size: 140
    .language:       OpenCL C
    .language_version:
      - 2
      - 0
    .max_flat_workgroup_size: 256
    .name:           _ZN12_GLOBAL__N_127rocblas_gemm_batched_kernelIfLi16ELi16ELi32ELi32ELi8ELi32ELi8ELi8ELi32ELc78ELc78EKPKDF16_KPKfKPfEEvlllT_PT11_llSB_llS9_PT12_llPT13_lli
    .private_segment_fixed_size: 0
    .sgpr_count:     38
    .sgpr_spill_count: 0
    .symbol:         _ZN12_GLOBAL__N_127rocblas_gemm_batched_kernelIfLi16ELi16ELi32ELi32ELi8ELi32ELi8ELi8ELi32ELc78ELc78EKPKDF16_KPKfKPfEEvlllT_PT11_llSB_llS9_PT12_llPT13_lli.kd
    .uniform_work_group_size: 1
    .uses_dynamic_stack: false
    .vgpr_count:     62
    .vgpr_spill_count: 0
    .wavefront_size: 32
  - .args:
      - .offset:         0
        .size:           8
        .value_kind:     by_value
      - .offset:         8
        .size:           8
        .value_kind:     by_value
      - .offset:         16
        .size:           8
        .value_kind:     by_value
      - .offset:         24
        .size:           4
        .value_kind:     by_value
      - .address_space:  global
        .offset:         32
        .size:           8
        .value_kind:     global_buffer
      - .offset:         40
        .size:           8
        .value_kind:     by_value
      - .offset:         48
        .size:           8
        .value_kind:     by_value
      - .address_space:  global
        .offset:         56
        .size:           8
        .value_kind:     global_buffer
      - .offset:         64
        .size:           8
        .value_kind:     by_value
      - .offset:         72
        .size:           8
        .value_kind:     by_value
      - .offset:         80
        .size:           4
        .value_kind:     by_value
      - .address_space:  global
        .offset:         88
        .size:           8
        .value_kind:     global_buffer
      - .offset:         96
        .size:           8
        .value_kind:     by_value
      - .offset:         104
        .size:           8
        .value_kind:     by_value
      - .address_space:  global
        .offset:         112
        .size:           8
        .value_kind:     global_buffer
      - .offset:         120
        .size:           8
        .value_kind:     by_value
      - .offset:         128
        .size:           8
        .value_kind:     by_value
      - .offset:         136
        .size:           4
        .value_kind:     by_value
    .group_segment_fixed_size: 2048
    .kernarg_segment_align: 8
    .kernarg_segment_size: 140
    .language:       OpenCL C
    .language_version:
      - 2
      - 0
    .max_flat_workgroup_size: 256
    .name:           _ZN12_GLOBAL__N_127rocblas_gemm_batched_kernelIfLi16ELi16ELi32ELi32ELi8ELi32ELi8ELi8ELi32ELc84ELc78EKPKDF16_KPKfKPfEEvlllT_PT11_llSB_llS9_PT12_llPT13_lli
    .private_segment_fixed_size: 0
    .sgpr_count:     38
    .sgpr_spill_count: 0
    .symbol:         _ZN12_GLOBAL__N_127rocblas_gemm_batched_kernelIfLi16ELi16ELi32ELi32ELi8ELi32ELi8ELi8ELi32ELc84ELc78EKPKDF16_KPKfKPfEEvlllT_PT11_llSB_llS9_PT12_llPT13_lli.kd
    .uniform_work_group_size: 1
    .uses_dynamic_stack: false
    .vgpr_count:     62
    .vgpr_spill_count: 0
    .wavefront_size: 32
  - .args:
      - .offset:         0
        .size:           8
        .value_kind:     by_value
      - .offset:         8
        .size:           8
        .value_kind:     by_value
      - .offset:         16
        .size:           8
        .value_kind:     by_value
      - .offset:         24
        .size:           4
        .value_kind:     by_value
      - .address_space:  global
        .offset:         32
        .size:           8
        .value_kind:     global_buffer
      - .offset:         40
        .size:           8
        .value_kind:     by_value
      - .offset:         48
        .size:           8
        .value_kind:     by_value
      - .address_space:  global
        .offset:         56
        .size:           8
        .value_kind:     global_buffer
      - .offset:         64
        .size:           8
        .value_kind:     by_value
      - .offset:         72
        .size:           8
        .value_kind:     by_value
      - .offset:         80
        .size:           4
        .value_kind:     by_value
      - .address_space:  global
        .offset:         88
        .size:           8
        .value_kind:     global_buffer
      - .offset:         96
        .size:           8
        .value_kind:     by_value
      - .offset:         104
        .size:           8
        .value_kind:     by_value
      - .address_space:  global
        .offset:         112
        .size:           8
        .value_kind:     global_buffer
      - .offset:         120
        .size:           8
        .value_kind:     by_value
      - .offset:         128
        .size:           8
        .value_kind:     by_value
      - .offset:         136
        .size:           4
        .value_kind:     by_value
    .group_segment_fixed_size: 2048
    .kernarg_segment_align: 8
    .kernarg_segment_size: 140
    .language:       OpenCL C
    .language_version:
      - 2
      - 0
    .max_flat_workgroup_size: 256
    .name:           _ZN12_GLOBAL__N_127rocblas_gemm_batched_kernelIfLi16ELi16ELi32ELi32ELi8ELi32ELi8ELi8ELi32ELc78ELc84EKPKDF16_KPKfKPfEEvlllT_PT11_llSB_llS9_PT12_llPT13_lli
    .private_segment_fixed_size: 0
    .sgpr_count:     40
    .sgpr_spill_count: 0
    .symbol:         _ZN12_GLOBAL__N_127rocblas_gemm_batched_kernelIfLi16ELi16ELi32ELi32ELi8ELi32ELi8ELi8ELi32ELc78ELc84EKPKDF16_KPKfKPfEEvlllT_PT11_llSB_llS9_PT12_llPT13_lli.kd
    .uniform_work_group_size: 1
    .uses_dynamic_stack: false
    .vgpr_count:     62
    .vgpr_spill_count: 0
    .wavefront_size: 32
  - .args:
      - .offset:         0
        .size:           8
        .value_kind:     by_value
      - .offset:         8
        .size:           8
        .value_kind:     by_value
      - .offset:         16
        .size:           8
        .value_kind:     by_value
      - .offset:         24
        .size:           4
        .value_kind:     by_value
      - .address_space:  global
        .offset:         32
        .size:           8
        .value_kind:     global_buffer
      - .offset:         40
        .size:           8
        .value_kind:     by_value
      - .offset:         48
        .size:           8
        .value_kind:     by_value
      - .address_space:  global
        .offset:         56
        .size:           8
        .value_kind:     global_buffer
      - .offset:         64
        .size:           8
        .value_kind:     by_value
      - .offset:         72
        .size:           8
        .value_kind:     by_value
      - .offset:         80
        .size:           4
        .value_kind:     by_value
      - .address_space:  global
        .offset:         88
        .size:           8
        .value_kind:     global_buffer
      - .offset:         96
        .size:           8
        .value_kind:     by_value
      - .offset:         104
        .size:           8
        .value_kind:     by_value
      - .address_space:  global
        .offset:         112
        .size:           8
        .value_kind:     global_buffer
      - .offset:         120
        .size:           8
        .value_kind:     by_value
      - .offset:         128
        .size:           8
        .value_kind:     by_value
      - .offset:         136
        .size:           4
        .value_kind:     by_value
    .group_segment_fixed_size: 2048
    .kernarg_segment_align: 8
    .kernarg_segment_size: 140
    .language:       OpenCL C
    .language_version:
      - 2
      - 0
    .max_flat_workgroup_size: 256
    .name:           _ZN12_GLOBAL__N_127rocblas_gemm_batched_kernelIfLi16ELi16ELi32ELi32ELi8ELi32ELi8ELi8ELi32ELc84ELc84EKPKDF16_KPKfKPfEEvlllT_PT11_llSB_llS9_PT12_llPT13_lli
    .private_segment_fixed_size: 0
    .sgpr_count:     38
    .sgpr_spill_count: 0
    .symbol:         _ZN12_GLOBAL__N_127rocblas_gemm_batched_kernelIfLi16ELi16ELi32ELi32ELi8ELi32ELi8ELi8ELi32ELc84ELc84EKPKDF16_KPKfKPfEEvlllT_PT11_llSB_llS9_PT12_llPT13_lli.kd
    .uniform_work_group_size: 1
    .uses_dynamic_stack: false
    .vgpr_count:     62
    .vgpr_spill_count: 0
    .wavefront_size: 32
  - .args:
      - .offset:         0
        .size:           8
        .value_kind:     by_value
      - .offset:         8
        .size:           8
        .value_kind:     by_value
      - .offset:         16
        .size:           8
        .value_kind:     by_value
      - .offset:         24
        .size:           4
        .value_kind:     by_value
      - .address_space:  global
        .offset:         32
        .size:           8
        .value_kind:     global_buffer
      - .offset:         40
        .size:           8
        .value_kind:     by_value
      - .offset:         48
        .size:           8
        .value_kind:     by_value
      - .address_space:  global
        .offset:         56
        .size:           8
        .value_kind:     global_buffer
      - .offset:         64
        .size:           8
        .value_kind:     by_value
      - .offset:         72
        .size:           8
        .value_kind:     by_value
      - .offset:         80
        .size:           4
        .value_kind:     by_value
      - .address_space:  global
        .offset:         88
        .size:           8
        .value_kind:     global_buffer
      - .offset:         96
        .size:           8
        .value_kind:     by_value
      - .offset:         104
        .size:           8
        .value_kind:     by_value
      - .address_space:  global
        .offset:         112
        .size:           8
        .value_kind:     global_buffer
      - .offset:         120
        .size:           8
        .value_kind:     by_value
      - .offset:         128
        .size:           8
        .value_kind:     by_value
      - .offset:         136
        .size:           4
        .value_kind:     by_value
    .group_segment_fixed_size: 2048
    .kernarg_segment_align: 8
    .kernarg_segment_size: 140
    .language:       OpenCL C
    .language_version:
      - 2
      - 0
    .max_flat_workgroup_size: 256
    .name:           _ZN12_GLOBAL__N_127rocblas_gemm_batched_kernelIfLi16ELi16ELi32ELi32ELi8ELi32ELi8ELi8ELi32ELc67ELc67EKPKDF16_KPKfKPfEEvlllT_PT11_llSB_llS9_PT12_llPT13_lli
    .private_segment_fixed_size: 0
    .sgpr_count:     38
    .sgpr_spill_count: 0
    .symbol:         _ZN12_GLOBAL__N_127rocblas_gemm_batched_kernelIfLi16ELi16ELi32ELi32ELi8ELi32ELi8ELi8ELi32ELc67ELc67EKPKDF16_KPKfKPfEEvlllT_PT11_llSB_llS9_PT12_llPT13_lli.kd
    .uniform_work_group_size: 1
    .uses_dynamic_stack: false
    .vgpr_count:     62
    .vgpr_spill_count: 0
    .wavefront_size: 32
  - .args:
      - .offset:         0
        .size:           8
        .value_kind:     by_value
      - .offset:         8
        .size:           8
        .value_kind:     by_value
      - .offset:         16
        .size:           8
        .value_kind:     by_value
      - .offset:         24
        .size:           4
        .value_kind:     by_value
      - .address_space:  global
        .offset:         32
        .size:           8
        .value_kind:     global_buffer
      - .offset:         40
        .size:           8
        .value_kind:     by_value
      - .offset:         48
        .size:           8
        .value_kind:     by_value
      - .address_space:  global
        .offset:         56
        .size:           8
        .value_kind:     global_buffer
      - .offset:         64
        .size:           8
        .value_kind:     by_value
      - .offset:         72
        .size:           8
        .value_kind:     by_value
      - .offset:         80
        .size:           4
        .value_kind:     by_value
      - .address_space:  global
        .offset:         88
        .size:           8
        .value_kind:     global_buffer
      - .offset:         96
        .size:           8
        .value_kind:     by_value
      - .offset:         104
        .size:           8
        .value_kind:     by_value
      - .address_space:  global
        .offset:         112
        .size:           8
        .value_kind:     global_buffer
      - .offset:         120
        .size:           8
        .value_kind:     by_value
      - .offset:         128
        .size:           8
        .value_kind:     by_value
      - .offset:         136
        .size:           4
        .value_kind:     by_value
    .group_segment_fixed_size: 2048
    .kernarg_segment_align: 8
    .kernarg_segment_size: 140
    .language:       OpenCL C
    .language_version:
      - 2
      - 0
    .max_flat_workgroup_size: 256
    .name:           _ZN12_GLOBAL__N_127rocblas_gemm_batched_kernelIfLi16ELi16ELi32ELi32ELi8ELi32ELi8ELi8ELi32ELc67ELc78EKPKDF16_KPKfKPfEEvlllT_PT11_llSB_llS9_PT12_llPT13_lli
    .private_segment_fixed_size: 0
    .sgpr_count:     38
    .sgpr_spill_count: 0
    .symbol:         _ZN12_GLOBAL__N_127rocblas_gemm_batched_kernelIfLi16ELi16ELi32ELi32ELi8ELi32ELi8ELi8ELi32ELc67ELc78EKPKDF16_KPKfKPfEEvlllT_PT11_llSB_llS9_PT12_llPT13_lli.kd
    .uniform_work_group_size: 1
    .uses_dynamic_stack: false
    .vgpr_count:     62
    .vgpr_spill_count: 0
    .wavefront_size: 32
  - .args:
      - .offset:         0
        .size:           8
        .value_kind:     by_value
      - .offset:         8
        .size:           8
        .value_kind:     by_value
      - .offset:         16
        .size:           8
        .value_kind:     by_value
      - .offset:         24
        .size:           4
        .value_kind:     by_value
      - .address_space:  global
        .offset:         32
        .size:           8
        .value_kind:     global_buffer
      - .offset:         40
        .size:           8
        .value_kind:     by_value
      - .offset:         48
        .size:           8
        .value_kind:     by_value
      - .address_space:  global
        .offset:         56
        .size:           8
        .value_kind:     global_buffer
      - .offset:         64
        .size:           8
        .value_kind:     by_value
      - .offset:         72
        .size:           8
        .value_kind:     by_value
      - .offset:         80
        .size:           4
        .value_kind:     by_value
      - .address_space:  global
        .offset:         88
        .size:           8
        .value_kind:     global_buffer
      - .offset:         96
        .size:           8
        .value_kind:     by_value
      - .offset:         104
        .size:           8
        .value_kind:     by_value
      - .address_space:  global
        .offset:         112
        .size:           8
        .value_kind:     global_buffer
      - .offset:         120
        .size:           8
        .value_kind:     by_value
      - .offset:         128
        .size:           8
        .value_kind:     by_value
      - .offset:         136
        .size:           4
        .value_kind:     by_value
    .group_segment_fixed_size: 2048
    .kernarg_segment_align: 8
    .kernarg_segment_size: 140
    .language:       OpenCL C
    .language_version:
      - 2
      - 0
    .max_flat_workgroup_size: 256
    .name:           _ZN12_GLOBAL__N_127rocblas_gemm_batched_kernelIfLi16ELi16ELi32ELi32ELi8ELi32ELi8ELi8ELi32ELc67ELc84EKPKDF16_KPKfKPfEEvlllT_PT11_llSB_llS9_PT12_llPT13_lli
    .private_segment_fixed_size: 0
    .sgpr_count:     38
    .sgpr_spill_count: 0
    .symbol:         _ZN12_GLOBAL__N_127rocblas_gemm_batched_kernelIfLi16ELi16ELi32ELi32ELi8ELi32ELi8ELi8ELi32ELc67ELc84EKPKDF16_KPKfKPfEEvlllT_PT11_llSB_llS9_PT12_llPT13_lli.kd
    .uniform_work_group_size: 1
    .uses_dynamic_stack: false
    .vgpr_count:     62
    .vgpr_spill_count: 0
    .wavefront_size: 32
  - .args:
      - .offset:         0
        .size:           8
        .value_kind:     by_value
      - .offset:         8
        .size:           8
        .value_kind:     by_value
      - .offset:         16
        .size:           8
        .value_kind:     by_value
      - .offset:         24
        .size:           4
        .value_kind:     by_value
      - .address_space:  global
        .offset:         32
        .size:           8
        .value_kind:     global_buffer
      - .offset:         40
        .size:           8
        .value_kind:     by_value
      - .offset:         48
        .size:           8
        .value_kind:     by_value
      - .address_space:  global
        .offset:         56
        .size:           8
        .value_kind:     global_buffer
      - .offset:         64
        .size:           8
        .value_kind:     by_value
      - .offset:         72
        .size:           8
        .value_kind:     by_value
      - .offset:         80
        .size:           4
        .value_kind:     by_value
      - .address_space:  global
        .offset:         88
        .size:           8
        .value_kind:     global_buffer
      - .offset:         96
        .size:           8
        .value_kind:     by_value
      - .offset:         104
        .size:           8
        .value_kind:     by_value
      - .address_space:  global
        .offset:         112
        .size:           8
        .value_kind:     global_buffer
      - .offset:         120
        .size:           8
        .value_kind:     by_value
      - .offset:         128
        .size:           8
        .value_kind:     by_value
      - .offset:         136
        .size:           4
        .value_kind:     by_value
    .group_segment_fixed_size: 2048
    .kernarg_segment_align: 8
    .kernarg_segment_size: 140
    .language:       OpenCL C
    .language_version:
      - 2
      - 0
    .max_flat_workgroup_size: 256
    .name:           _ZN12_GLOBAL__N_127rocblas_gemm_batched_kernelIfLi16ELi16ELi32ELi32ELi8ELi32ELi8ELi8ELi32ELc78ELc67EKPKDF16_KPKfKPfEEvlllT_PT11_llSB_llS9_PT12_llPT13_lli
    .private_segment_fixed_size: 0
    .sgpr_count:     40
    .sgpr_spill_count: 0
    .symbol:         _ZN12_GLOBAL__N_127rocblas_gemm_batched_kernelIfLi16ELi16ELi32ELi32ELi8ELi32ELi8ELi8ELi32ELc78ELc67EKPKDF16_KPKfKPfEEvlllT_PT11_llSB_llS9_PT12_llPT13_lli.kd
    .uniform_work_group_size: 1
    .uses_dynamic_stack: false
    .vgpr_count:     62
    .vgpr_spill_count: 0
    .wavefront_size: 32
  - .args:
      - .offset:         0
        .size:           8
        .value_kind:     by_value
      - .offset:         8
        .size:           8
        .value_kind:     by_value
      - .offset:         16
        .size:           8
        .value_kind:     by_value
      - .offset:         24
        .size:           4
        .value_kind:     by_value
      - .address_space:  global
        .offset:         32
        .size:           8
        .value_kind:     global_buffer
      - .offset:         40
        .size:           8
        .value_kind:     by_value
      - .offset:         48
        .size:           8
        .value_kind:     by_value
      - .address_space:  global
        .offset:         56
        .size:           8
        .value_kind:     global_buffer
      - .offset:         64
        .size:           8
        .value_kind:     by_value
      - .offset:         72
        .size:           8
        .value_kind:     by_value
      - .offset:         80
        .size:           4
        .value_kind:     by_value
      - .address_space:  global
        .offset:         88
        .size:           8
        .value_kind:     global_buffer
      - .offset:         96
        .size:           8
        .value_kind:     by_value
      - .offset:         104
        .size:           8
        .value_kind:     by_value
      - .address_space:  global
        .offset:         112
        .size:           8
        .value_kind:     global_buffer
      - .offset:         120
        .size:           8
        .value_kind:     by_value
      - .offset:         128
        .size:           8
        .value_kind:     by_value
      - .offset:         136
        .size:           4
        .value_kind:     by_value
    .group_segment_fixed_size: 2048
    .kernarg_segment_align: 8
    .kernarg_segment_size: 140
    .language:       OpenCL C
    .language_version:
      - 2
      - 0
    .max_flat_workgroup_size: 256
    .name:           _ZN12_GLOBAL__N_127rocblas_gemm_batched_kernelIfLi16ELi16ELi32ELi32ELi8ELi32ELi8ELi8ELi32ELc84ELc67EKPKDF16_KPKfKPfEEvlllT_PT11_llSB_llS9_PT12_llPT13_lli
    .private_segment_fixed_size: 0
    .sgpr_count:     38
    .sgpr_spill_count: 0
    .symbol:         _ZN12_GLOBAL__N_127rocblas_gemm_batched_kernelIfLi16ELi16ELi32ELi32ELi8ELi32ELi8ELi8ELi32ELc84ELc67EKPKDF16_KPKfKPfEEvlllT_PT11_llSB_llS9_PT12_llPT13_lli.kd
    .uniform_work_group_size: 1
    .uses_dynamic_stack: false
    .vgpr_count:     62
    .vgpr_spill_count: 0
    .wavefront_size: 32
  - .args:
      - .offset:         0
        .size:           8
        .value_kind:     by_value
      - .offset:         8
        .size:           8
        .value_kind:     by_value
      - .offset:         16
        .size:           8
        .value_kind:     by_value
      - .offset:         24
        .size:           4
        .value_kind:     by_value
      - .address_space:  global
        .offset:         32
        .size:           8
        .value_kind:     global_buffer
      - .offset:         40
        .size:           8
        .value_kind:     by_value
      - .offset:         48
        .size:           8
        .value_kind:     by_value
      - .address_space:  global
        .offset:         56
        .size:           8
        .value_kind:     global_buffer
      - .offset:         64
        .size:           8
        .value_kind:     by_value
      - .offset:         72
        .size:           8
        .value_kind:     by_value
      - .offset:         80
        .size:           4
        .value_kind:     by_value
      - .address_space:  global
        .offset:         88
        .size:           8
        .value_kind:     global_buffer
      - .offset:         96
        .size:           8
        .value_kind:     by_value
      - .offset:         104
        .size:           8
        .value_kind:     by_value
      - .address_space:  global
        .offset:         112
        .size:           8
        .value_kind:     global_buffer
      - .offset:         120
        .size:           8
        .value_kind:     by_value
      - .offset:         128
        .size:           8
        .value_kind:     by_value
      - .offset:         136
        .size:           4
        .value_kind:     by_value
    .group_segment_fixed_size: 2048
    .kernarg_segment_align: 8
    .kernarg_segment_size: 140
    .language:       OpenCL C
    .language_version:
      - 2
      - 0
    .max_flat_workgroup_size: 256
    .name:           _ZN12_GLOBAL__N_135rocblas_gemm_batched_general_kernelIfLi16ELi16ELi32ELi32ELi8ELi32ELi8ELi8ELi32ELc78ELc78EKPKDF16_KPKfKPfEEvlllT_PT11_llSB_llS9_PT12_llPT13_lli
    .private_segment_fixed_size: 0
    .sgpr_count:     46
    .sgpr_spill_count: 0
    .symbol:         _ZN12_GLOBAL__N_135rocblas_gemm_batched_general_kernelIfLi16ELi16ELi32ELi32ELi8ELi32ELi8ELi8ELi32ELc78ELc78EKPKDF16_KPKfKPfEEvlllT_PT11_llSB_llS9_PT12_llPT13_lli.kd
    .uniform_work_group_size: 1
    .uses_dynamic_stack: false
    .vgpr_count:     56
    .vgpr_spill_count: 0
    .wavefront_size: 32
  - .args:
      - .offset:         0
        .size:           8
        .value_kind:     by_value
      - .offset:         8
        .size:           8
        .value_kind:     by_value
      - .offset:         16
        .size:           8
        .value_kind:     by_value
      - .offset:         24
        .size:           4
        .value_kind:     by_value
      - .address_space:  global
        .offset:         32
        .size:           8
        .value_kind:     global_buffer
      - .offset:         40
        .size:           8
        .value_kind:     by_value
      - .offset:         48
        .size:           8
        .value_kind:     by_value
      - .address_space:  global
        .offset:         56
        .size:           8
        .value_kind:     global_buffer
      - .offset:         64
        .size:           8
        .value_kind:     by_value
      - .offset:         72
        .size:           8
        .value_kind:     by_value
      - .offset:         80
        .size:           4
        .value_kind:     by_value
      - .address_space:  global
        .offset:         88
        .size:           8
        .value_kind:     global_buffer
      - .offset:         96
        .size:           8
        .value_kind:     by_value
      - .offset:         104
        .size:           8
        .value_kind:     by_value
      - .address_space:  global
        .offset:         112
        .size:           8
        .value_kind:     global_buffer
      - .offset:         120
        .size:           8
        .value_kind:     by_value
      - .offset:         128
        .size:           8
        .value_kind:     by_value
      - .offset:         136
        .size:           4
        .value_kind:     by_value
    .group_segment_fixed_size: 2048
    .kernarg_segment_align: 8
    .kernarg_segment_size: 140
    .language:       OpenCL C
    .language_version:
      - 2
      - 0
    .max_flat_workgroup_size: 256
    .name:           _ZN12_GLOBAL__N_135rocblas_gemm_batched_general_kernelIfLi16ELi16ELi32ELi32ELi8ELi32ELi8ELi8ELi32ELc84ELc78EKPKDF16_KPKfKPfEEvlllT_PT11_llSB_llS9_PT12_llPT13_lli
    .private_segment_fixed_size: 0
    .sgpr_count:     46
    .sgpr_spill_count: 0
    .symbol:         _ZN12_GLOBAL__N_135rocblas_gemm_batched_general_kernelIfLi16ELi16ELi32ELi32ELi8ELi32ELi8ELi8ELi32ELc84ELc78EKPKDF16_KPKfKPfEEvlllT_PT11_llSB_llS9_PT12_llPT13_lli.kd
    .uniform_work_group_size: 1
    .uses_dynamic_stack: false
    .vgpr_count:     56
    .vgpr_spill_count: 0
    .wavefront_size: 32
  - .args:
      - .offset:         0
        .size:           8
        .value_kind:     by_value
      - .offset:         8
        .size:           8
        .value_kind:     by_value
      - .offset:         16
        .size:           8
        .value_kind:     by_value
      - .offset:         24
        .size:           4
        .value_kind:     by_value
      - .address_space:  global
        .offset:         32
        .size:           8
        .value_kind:     global_buffer
      - .offset:         40
        .size:           8
        .value_kind:     by_value
      - .offset:         48
        .size:           8
        .value_kind:     by_value
      - .address_space:  global
        .offset:         56
        .size:           8
        .value_kind:     global_buffer
      - .offset:         64
        .size:           8
        .value_kind:     by_value
      - .offset:         72
        .size:           8
        .value_kind:     by_value
      - .offset:         80
        .size:           4
        .value_kind:     by_value
      - .address_space:  global
        .offset:         88
        .size:           8
        .value_kind:     global_buffer
      - .offset:         96
        .size:           8
        .value_kind:     by_value
      - .offset:         104
        .size:           8
        .value_kind:     by_value
      - .address_space:  global
        .offset:         112
        .size:           8
        .value_kind:     global_buffer
      - .offset:         120
        .size:           8
        .value_kind:     by_value
      - .offset:         128
        .size:           8
        .value_kind:     by_value
      - .offset:         136
        .size:           4
        .value_kind:     by_value
    .group_segment_fixed_size: 2048
    .kernarg_segment_align: 8
    .kernarg_segment_size: 140
    .language:       OpenCL C
    .language_version:
      - 2
      - 0
    .max_flat_workgroup_size: 256
    .name:           _ZN12_GLOBAL__N_135rocblas_gemm_batched_general_kernelIfLi16ELi16ELi32ELi32ELi8ELi32ELi8ELi8ELi32ELc78ELc84EKPKDF16_KPKfKPfEEvlllT_PT11_llSB_llS9_PT12_llPT13_lli
    .private_segment_fixed_size: 0
    .sgpr_count:     48
    .sgpr_spill_count: 0
    .symbol:         _ZN12_GLOBAL__N_135rocblas_gemm_batched_general_kernelIfLi16ELi16ELi32ELi32ELi8ELi32ELi8ELi8ELi32ELc78ELc84EKPKDF16_KPKfKPfEEvlllT_PT11_llSB_llS9_PT12_llPT13_lli.kd
    .uniform_work_group_size: 1
    .uses_dynamic_stack: false
    .vgpr_count:     56
    .vgpr_spill_count: 0
    .wavefront_size: 32
  - .args:
      - .offset:         0
        .size:           8
        .value_kind:     by_value
      - .offset:         8
        .size:           8
        .value_kind:     by_value
      - .offset:         16
        .size:           8
        .value_kind:     by_value
      - .offset:         24
        .size:           4
        .value_kind:     by_value
      - .address_space:  global
        .offset:         32
        .size:           8
        .value_kind:     global_buffer
      - .offset:         40
        .size:           8
        .value_kind:     by_value
      - .offset:         48
        .size:           8
        .value_kind:     by_value
      - .address_space:  global
        .offset:         56
        .size:           8
        .value_kind:     global_buffer
      - .offset:         64
        .size:           8
        .value_kind:     by_value
      - .offset:         72
        .size:           8
        .value_kind:     by_value
      - .offset:         80
        .size:           4
        .value_kind:     by_value
      - .address_space:  global
        .offset:         88
        .size:           8
        .value_kind:     global_buffer
      - .offset:         96
        .size:           8
        .value_kind:     by_value
      - .offset:         104
        .size:           8
        .value_kind:     by_value
      - .address_space:  global
        .offset:         112
        .size:           8
        .value_kind:     global_buffer
      - .offset:         120
        .size:           8
        .value_kind:     by_value
      - .offset:         128
        .size:           8
        .value_kind:     by_value
      - .offset:         136
        .size:           4
        .value_kind:     by_value
    .group_segment_fixed_size: 2048
    .kernarg_segment_align: 8
    .kernarg_segment_size: 140
    .language:       OpenCL C
    .language_version:
      - 2
      - 0
    .max_flat_workgroup_size: 256
    .name:           _ZN12_GLOBAL__N_135rocblas_gemm_batched_general_kernelIfLi16ELi16ELi32ELi32ELi8ELi32ELi8ELi8ELi32ELc84ELc84EKPKDF16_KPKfKPfEEvlllT_PT11_llSB_llS9_PT12_llPT13_lli
    .private_segment_fixed_size: 0
    .sgpr_count:     44
    .sgpr_spill_count: 0
    .symbol:         _ZN12_GLOBAL__N_135rocblas_gemm_batched_general_kernelIfLi16ELi16ELi32ELi32ELi8ELi32ELi8ELi8ELi32ELc84ELc84EKPKDF16_KPKfKPfEEvlllT_PT11_llSB_llS9_PT12_llPT13_lli.kd
    .uniform_work_group_size: 1
    .uses_dynamic_stack: false
    .vgpr_count:     56
    .vgpr_spill_count: 0
    .wavefront_size: 32
  - .args:
      - .offset:         0
        .size:           8
        .value_kind:     by_value
      - .offset:         8
        .size:           8
        .value_kind:     by_value
      - .offset:         16
        .size:           8
        .value_kind:     by_value
      - .offset:         24
        .size:           4
        .value_kind:     by_value
      - .address_space:  global
        .offset:         32
        .size:           8
        .value_kind:     global_buffer
      - .offset:         40
        .size:           8
        .value_kind:     by_value
      - .offset:         48
        .size:           8
        .value_kind:     by_value
      - .address_space:  global
        .offset:         56
        .size:           8
        .value_kind:     global_buffer
      - .offset:         64
        .size:           8
        .value_kind:     by_value
      - .offset:         72
        .size:           8
        .value_kind:     by_value
      - .offset:         80
        .size:           4
        .value_kind:     by_value
      - .address_space:  global
        .offset:         88
        .size:           8
        .value_kind:     global_buffer
      - .offset:         96
        .size:           8
        .value_kind:     by_value
      - .offset:         104
        .size:           8
        .value_kind:     by_value
      - .address_space:  global
        .offset:         112
        .size:           8
        .value_kind:     global_buffer
      - .offset:         120
        .size:           8
        .value_kind:     by_value
      - .offset:         128
        .size:           8
        .value_kind:     by_value
      - .offset:         136
        .size:           4
        .value_kind:     by_value
    .group_segment_fixed_size: 2048
    .kernarg_segment_align: 8
    .kernarg_segment_size: 140
    .language:       OpenCL C
    .language_version:
      - 2
      - 0
    .max_flat_workgroup_size: 256
    .name:           _ZN12_GLOBAL__N_135rocblas_gemm_batched_general_kernelIfLi16ELi16ELi32ELi32ELi8ELi32ELi8ELi8ELi32ELc67ELc67EKPKDF16_KPKfKPfEEvlllT_PT11_llSB_llS9_PT12_llPT13_lli
    .private_segment_fixed_size: 0
    .sgpr_count:     44
    .sgpr_spill_count: 0
    .symbol:         _ZN12_GLOBAL__N_135rocblas_gemm_batched_general_kernelIfLi16ELi16ELi32ELi32ELi8ELi32ELi8ELi8ELi32ELc67ELc67EKPKDF16_KPKfKPfEEvlllT_PT11_llSB_llS9_PT12_llPT13_lli.kd
    .uniform_work_group_size: 1
    .uses_dynamic_stack: false
    .vgpr_count:     56
    .vgpr_spill_count: 0
    .wavefront_size: 32
  - .args:
      - .offset:         0
        .size:           8
        .value_kind:     by_value
      - .offset:         8
        .size:           8
        .value_kind:     by_value
      - .offset:         16
        .size:           8
        .value_kind:     by_value
      - .offset:         24
        .size:           4
        .value_kind:     by_value
      - .address_space:  global
        .offset:         32
        .size:           8
        .value_kind:     global_buffer
      - .offset:         40
        .size:           8
        .value_kind:     by_value
      - .offset:         48
        .size:           8
        .value_kind:     by_value
      - .address_space:  global
        .offset:         56
        .size:           8
        .value_kind:     global_buffer
      - .offset:         64
        .size:           8
        .value_kind:     by_value
      - .offset:         72
        .size:           8
        .value_kind:     by_value
      - .offset:         80
        .size:           4
        .value_kind:     by_value
      - .address_space:  global
        .offset:         88
        .size:           8
        .value_kind:     global_buffer
      - .offset:         96
        .size:           8
        .value_kind:     by_value
      - .offset:         104
        .size:           8
        .value_kind:     by_value
      - .address_space:  global
        .offset:         112
        .size:           8
        .value_kind:     global_buffer
      - .offset:         120
        .size:           8
        .value_kind:     by_value
      - .offset:         128
        .size:           8
        .value_kind:     by_value
      - .offset:         136
        .size:           4
        .value_kind:     by_value
    .group_segment_fixed_size: 2048
    .kernarg_segment_align: 8
    .kernarg_segment_size: 140
    .language:       OpenCL C
    .language_version:
      - 2
      - 0
    .max_flat_workgroup_size: 256
    .name:           _ZN12_GLOBAL__N_135rocblas_gemm_batched_general_kernelIfLi16ELi16ELi32ELi32ELi8ELi32ELi8ELi8ELi32ELc67ELc78EKPKDF16_KPKfKPfEEvlllT_PT11_llSB_llS9_PT12_llPT13_lli
    .private_segment_fixed_size: 0
    .sgpr_count:     46
    .sgpr_spill_count: 0
    .symbol:         _ZN12_GLOBAL__N_135rocblas_gemm_batched_general_kernelIfLi16ELi16ELi32ELi32ELi8ELi32ELi8ELi8ELi32ELc67ELc78EKPKDF16_KPKfKPfEEvlllT_PT11_llSB_llS9_PT12_llPT13_lli.kd
    .uniform_work_group_size: 1
    .uses_dynamic_stack: false
    .vgpr_count:     56
    .vgpr_spill_count: 0
    .wavefront_size: 32
  - .args:
      - .offset:         0
        .size:           8
        .value_kind:     by_value
      - .offset:         8
        .size:           8
        .value_kind:     by_value
      - .offset:         16
        .size:           8
        .value_kind:     by_value
      - .offset:         24
        .size:           4
        .value_kind:     by_value
      - .address_space:  global
        .offset:         32
        .size:           8
        .value_kind:     global_buffer
      - .offset:         40
        .size:           8
        .value_kind:     by_value
      - .offset:         48
        .size:           8
        .value_kind:     by_value
      - .address_space:  global
        .offset:         56
        .size:           8
        .value_kind:     global_buffer
      - .offset:         64
        .size:           8
        .value_kind:     by_value
      - .offset:         72
        .size:           8
        .value_kind:     by_value
      - .offset:         80
        .size:           4
        .value_kind:     by_value
      - .address_space:  global
        .offset:         88
        .size:           8
        .value_kind:     global_buffer
      - .offset:         96
        .size:           8
        .value_kind:     by_value
      - .offset:         104
        .size:           8
        .value_kind:     by_value
      - .address_space:  global
        .offset:         112
        .size:           8
        .value_kind:     global_buffer
      - .offset:         120
        .size:           8
        .value_kind:     by_value
      - .offset:         128
        .size:           8
        .value_kind:     by_value
      - .offset:         136
        .size:           4
        .value_kind:     by_value
    .group_segment_fixed_size: 2048
    .kernarg_segment_align: 8
    .kernarg_segment_size: 140
    .language:       OpenCL C
    .language_version:
      - 2
      - 0
    .max_flat_workgroup_size: 256
    .name:           _ZN12_GLOBAL__N_135rocblas_gemm_batched_general_kernelIfLi16ELi16ELi32ELi32ELi8ELi32ELi8ELi8ELi32ELc67ELc84EKPKDF16_KPKfKPfEEvlllT_PT11_llSB_llS9_PT12_llPT13_lli
    .private_segment_fixed_size: 0
    .sgpr_count:     44
    .sgpr_spill_count: 0
    .symbol:         _ZN12_GLOBAL__N_135rocblas_gemm_batched_general_kernelIfLi16ELi16ELi32ELi32ELi8ELi32ELi8ELi8ELi32ELc67ELc84EKPKDF16_KPKfKPfEEvlllT_PT11_llSB_llS9_PT12_llPT13_lli.kd
    .uniform_work_group_size: 1
    .uses_dynamic_stack: false
    .vgpr_count:     56
    .vgpr_spill_count: 0
    .wavefront_size: 32
  - .args:
      - .offset:         0
        .size:           8
        .value_kind:     by_value
      - .offset:         8
        .size:           8
        .value_kind:     by_value
      - .offset:         16
        .size:           8
        .value_kind:     by_value
      - .offset:         24
        .size:           4
        .value_kind:     by_value
      - .address_space:  global
        .offset:         32
        .size:           8
        .value_kind:     global_buffer
      - .offset:         40
        .size:           8
        .value_kind:     by_value
      - .offset:         48
        .size:           8
        .value_kind:     by_value
      - .address_space:  global
        .offset:         56
        .size:           8
        .value_kind:     global_buffer
      - .offset:         64
        .size:           8
        .value_kind:     by_value
      - .offset:         72
        .size:           8
        .value_kind:     by_value
      - .offset:         80
        .size:           4
        .value_kind:     by_value
      - .address_space:  global
        .offset:         88
        .size:           8
        .value_kind:     global_buffer
      - .offset:         96
        .size:           8
        .value_kind:     by_value
      - .offset:         104
        .size:           8
        .value_kind:     by_value
      - .address_space:  global
        .offset:         112
        .size:           8
        .value_kind:     global_buffer
      - .offset:         120
        .size:           8
        .value_kind:     by_value
      - .offset:         128
        .size:           8
        .value_kind:     by_value
      - .offset:         136
        .size:           4
        .value_kind:     by_value
    .group_segment_fixed_size: 2048
    .kernarg_segment_align: 8
    .kernarg_segment_size: 140
    .language:       OpenCL C
    .language_version:
      - 2
      - 0
    .max_flat_workgroup_size: 256
    .name:           _ZN12_GLOBAL__N_135rocblas_gemm_batched_general_kernelIfLi16ELi16ELi32ELi32ELi8ELi32ELi8ELi8ELi32ELc78ELc67EKPKDF16_KPKfKPfEEvlllT_PT11_llSB_llS9_PT12_llPT13_lli
    .private_segment_fixed_size: 0
    .sgpr_count:     48
    .sgpr_spill_count: 0
    .symbol:         _ZN12_GLOBAL__N_135rocblas_gemm_batched_general_kernelIfLi16ELi16ELi32ELi32ELi8ELi32ELi8ELi8ELi32ELc78ELc67EKPKDF16_KPKfKPfEEvlllT_PT11_llSB_llS9_PT12_llPT13_lli.kd
    .uniform_work_group_size: 1
    .uses_dynamic_stack: false
    .vgpr_count:     56
    .vgpr_spill_count: 0
    .wavefront_size: 32
  - .args:
      - .offset:         0
        .size:           8
        .value_kind:     by_value
      - .offset:         8
        .size:           8
        .value_kind:     by_value
      - .offset:         16
        .size:           8
        .value_kind:     by_value
      - .offset:         24
        .size:           4
        .value_kind:     by_value
      - .address_space:  global
        .offset:         32
        .size:           8
        .value_kind:     global_buffer
      - .offset:         40
        .size:           8
        .value_kind:     by_value
      - .offset:         48
        .size:           8
        .value_kind:     by_value
      - .address_space:  global
        .offset:         56
        .size:           8
        .value_kind:     global_buffer
      - .offset:         64
        .size:           8
        .value_kind:     by_value
      - .offset:         72
        .size:           8
        .value_kind:     by_value
      - .offset:         80
        .size:           4
        .value_kind:     by_value
      - .address_space:  global
        .offset:         88
        .size:           8
        .value_kind:     global_buffer
      - .offset:         96
        .size:           8
        .value_kind:     by_value
      - .offset:         104
        .size:           8
        .value_kind:     by_value
      - .address_space:  global
        .offset:         112
        .size:           8
        .value_kind:     global_buffer
      - .offset:         120
        .size:           8
        .value_kind:     by_value
      - .offset:         128
        .size:           8
        .value_kind:     by_value
      - .offset:         136
        .size:           4
        .value_kind:     by_value
    .group_segment_fixed_size: 2048
    .kernarg_segment_align: 8
    .kernarg_segment_size: 140
    .language:       OpenCL C
    .language_version:
      - 2
      - 0
    .max_flat_workgroup_size: 256
    .name:           _ZN12_GLOBAL__N_135rocblas_gemm_batched_general_kernelIfLi16ELi16ELi32ELi32ELi8ELi32ELi8ELi8ELi32ELc84ELc67EKPKDF16_KPKfKPfEEvlllT_PT11_llSB_llS9_PT12_llPT13_lli
    .private_segment_fixed_size: 0
    .sgpr_count:     44
    .sgpr_spill_count: 0
    .symbol:         _ZN12_GLOBAL__N_135rocblas_gemm_batched_general_kernelIfLi16ELi16ELi32ELi32ELi8ELi32ELi8ELi8ELi32ELc84ELc67EKPKDF16_KPKfKPfEEvlllT_PT11_llSB_llS9_PT12_llPT13_lli.kd
    .uniform_work_group_size: 1
    .uses_dynamic_stack: false
    .vgpr_count:     56
    .vgpr_spill_count: 0
    .wavefront_size: 32
  - .args:
      - .offset:         0
        .size:           4
        .value_kind:     by_value
      - .offset:         4
        .size:           4
        .value_kind:     by_value
      - .offset:         8
        .size:           4
        .value_kind:     by_value
      - .address_space:  global
        .offset:         16
        .size:           8
        .value_kind:     global_buffer
      - .offset:         24
        .size:           8
        .value_kind:     by_value
      - .offset:         32
        .size:           8
        .value_kind:     by_value
      - .offset:         40
        .size:           8
        .value_kind:     by_value
      - .address_space:  global
        .offset:         48
        .size:           8
        .value_kind:     global_buffer
      - .offset:         56
        .size:           8
        .value_kind:     by_value
      - .offset:         64
        .size:           8
        .value_kind:     by_value
      - .offset:         72
        .size:           8
        .value_kind:     by_value
      - .offset:         80
        .size:           4
        .value_kind:     by_value
    .group_segment_fixed_size: 0
    .kernarg_segment_align: 8
    .kernarg_segment_size: 84
    .language:       OpenCL C
    .language_version:
      - 2
      - 0
    .max_flat_workgroup_size: 1024
    .name:           _ZN12_GLOBAL__N_120gemm_ex_scale_kernelILi32ELi32EfPKPK16rocblas_bfloat16PKPS1_EEviiT1_T2_lllT3_llli
    .private_segment_fixed_size: 0
    .sgpr_count:     25
    .sgpr_spill_count: 0
    .symbol:         _ZN12_GLOBAL__N_120gemm_ex_scale_kernelILi32ELi32EfPKPK16rocblas_bfloat16PKPS1_EEviiT1_T2_lllT3_llli.kd
    .uniform_work_group_size: 1
    .uses_dynamic_stack: false
    .vgpr_count:     10
    .vgpr_spill_count: 0
    .wavefront_size: 32
  - .args:
      - .offset:         0
        .size:           8
        .value_kind:     by_value
      - .offset:         8
        .size:           8
        .value_kind:     by_value
      - .offset:         16
        .size:           8
        .value_kind:     by_value
      - .offset:         24
        .size:           4
        .value_kind:     by_value
      - .address_space:  global
        .offset:         32
        .size:           8
        .value_kind:     global_buffer
      - .offset:         40
        .size:           8
        .value_kind:     by_value
      - .offset:         48
        .size:           8
        .value_kind:     by_value
      - .address_space:  global
        .offset:         56
        .size:           8
        .value_kind:     global_buffer
      - .offset:         64
        .size:           8
        .value_kind:     by_value
      - .offset:         72
        .size:           8
        .value_kind:     by_value
      - .offset:         80
        .size:           4
        .value_kind:     by_value
      - .address_space:  global
        .offset:         88
        .size:           8
        .value_kind:     global_buffer
      - .offset:         96
        .size:           8
        .value_kind:     by_value
      - .offset:         104
        .size:           8
        .value_kind:     by_value
      - .address_space:  global
        .offset:         112
        .size:           8
        .value_kind:     global_buffer
      - .offset:         120
        .size:           8
        .value_kind:     by_value
      - .offset:         128
        .size:           8
        .value_kind:     by_value
      - .offset:         136
        .size:           4
        .value_kind:     by_value
    .group_segment_fixed_size: 2048
    .kernarg_segment_align: 8
    .kernarg_segment_size: 140
    .language:       OpenCL C
    .language_version:
      - 2
      - 0
    .max_flat_workgroup_size: 256
    .name:           _ZN12_GLOBAL__N_127rocblas_gemm_batched_kernelIfLi16ELi16ELi64ELi64ELi4ELi64ELi4ELi4ELi64ELc78ELc78EKPK16rocblas_bfloat16S4_KPS1_EEvlllT_PT11_llS9_llS7_PT12_llPT13_lli
    .private_segment_fixed_size: 0
    .sgpr_count:     40
    .sgpr_spill_count: 0
    .symbol:         _ZN12_GLOBAL__N_127rocblas_gemm_batched_kernelIfLi16ELi16ELi64ELi64ELi4ELi64ELi4ELi4ELi64ELc78ELc78EKPK16rocblas_bfloat16S4_KPS1_EEvlllT_PT11_llS9_llS7_PT12_llPT13_lli.kd
    .uniform_work_group_size: 1
    .uses_dynamic_stack: false
    .vgpr_count:     74
    .vgpr_spill_count: 0
    .wavefront_size: 32
  - .args:
      - .offset:         0
        .size:           8
        .value_kind:     by_value
      - .offset:         8
        .size:           8
        .value_kind:     by_value
      - .offset:         16
        .size:           8
        .value_kind:     by_value
      - .offset:         24
        .size:           4
        .value_kind:     by_value
      - .address_space:  global
        .offset:         32
        .size:           8
        .value_kind:     global_buffer
      - .offset:         40
        .size:           8
        .value_kind:     by_value
      - .offset:         48
        .size:           8
        .value_kind:     by_value
      - .address_space:  global
        .offset:         56
        .size:           8
        .value_kind:     global_buffer
      - .offset:         64
        .size:           8
        .value_kind:     by_value
      - .offset:         72
        .size:           8
        .value_kind:     by_value
      - .offset:         80
        .size:           4
        .value_kind:     by_value
      - .address_space:  global
        .offset:         88
        .size:           8
        .value_kind:     global_buffer
      - .offset:         96
        .size:           8
        .value_kind:     by_value
      - .offset:         104
        .size:           8
        .value_kind:     by_value
      - .address_space:  global
        .offset:         112
        .size:           8
        .value_kind:     global_buffer
      - .offset:         120
        .size:           8
        .value_kind:     by_value
      - .offset:         128
        .size:           8
        .value_kind:     by_value
      - .offset:         136
        .size:           4
        .value_kind:     by_value
    .group_segment_fixed_size: 2048
    .kernarg_segment_align: 8
    .kernarg_segment_size: 140
    .language:       OpenCL C
    .language_version:
      - 2
      - 0
    .max_flat_workgroup_size: 256
    .name:           _ZN12_GLOBAL__N_127rocblas_gemm_batched_kernelIfLi16ELi16ELi64ELi64ELi4ELi64ELi4ELi4ELi64ELc84ELc78EKPK16rocblas_bfloat16S4_KPS1_EEvlllT_PT11_llS9_llS7_PT12_llPT13_lli
    .private_segment_fixed_size: 0
    .sgpr_count:     40
    .sgpr_spill_count: 0
    .symbol:         _ZN12_GLOBAL__N_127rocblas_gemm_batched_kernelIfLi16ELi16ELi64ELi64ELi4ELi64ELi4ELi4ELi64ELc84ELc78EKPK16rocblas_bfloat16S4_KPS1_EEvlllT_PT11_llS9_llS7_PT12_llPT13_lli.kd
    .uniform_work_group_size: 1
    .uses_dynamic_stack: false
    .vgpr_count:     74
    .vgpr_spill_count: 0
    .wavefront_size: 32
  - .args:
      - .offset:         0
        .size:           8
        .value_kind:     by_value
      - .offset:         8
        .size:           8
        .value_kind:     by_value
      - .offset:         16
        .size:           8
        .value_kind:     by_value
      - .offset:         24
        .size:           4
        .value_kind:     by_value
      - .address_space:  global
        .offset:         32
        .size:           8
        .value_kind:     global_buffer
      - .offset:         40
        .size:           8
        .value_kind:     by_value
      - .offset:         48
        .size:           8
        .value_kind:     by_value
      - .address_space:  global
        .offset:         56
        .size:           8
        .value_kind:     global_buffer
      - .offset:         64
        .size:           8
        .value_kind:     by_value
      - .offset:         72
        .size:           8
        .value_kind:     by_value
      - .offset:         80
        .size:           4
        .value_kind:     by_value
      - .address_space:  global
        .offset:         88
        .size:           8
        .value_kind:     global_buffer
      - .offset:         96
        .size:           8
        .value_kind:     by_value
      - .offset:         104
        .size:           8
        .value_kind:     by_value
      - .address_space:  global
        .offset:         112
        .size:           8
        .value_kind:     global_buffer
      - .offset:         120
        .size:           8
        .value_kind:     by_value
      - .offset:         128
        .size:           8
        .value_kind:     by_value
      - .offset:         136
        .size:           4
        .value_kind:     by_value
    .group_segment_fixed_size: 2048
    .kernarg_segment_align: 8
    .kernarg_segment_size: 140
    .language:       OpenCL C
    .language_version:
      - 2
      - 0
    .max_flat_workgroup_size: 256
    .name:           _ZN12_GLOBAL__N_127rocblas_gemm_batched_kernelIfLi16ELi16ELi64ELi64ELi4ELi64ELi4ELi4ELi64ELc78ELc84EKPK16rocblas_bfloat16S4_KPS1_EEvlllT_PT11_llS9_llS7_PT12_llPT13_lli
    .private_segment_fixed_size: 0
    .sgpr_count:     40
    .sgpr_spill_count: 0
    .symbol:         _ZN12_GLOBAL__N_127rocblas_gemm_batched_kernelIfLi16ELi16ELi64ELi64ELi4ELi64ELi4ELi4ELi64ELc78ELc84EKPK16rocblas_bfloat16S4_KPS1_EEvlllT_PT11_llS9_llS7_PT12_llPT13_lli.kd
    .uniform_work_group_size: 1
    .uses_dynamic_stack: false
    .vgpr_count:     76
    .vgpr_spill_count: 0
    .wavefront_size: 32
  - .args:
      - .offset:         0
        .size:           8
        .value_kind:     by_value
      - .offset:         8
        .size:           8
        .value_kind:     by_value
      - .offset:         16
        .size:           8
        .value_kind:     by_value
      - .offset:         24
        .size:           4
        .value_kind:     by_value
      - .address_space:  global
        .offset:         32
        .size:           8
        .value_kind:     global_buffer
      - .offset:         40
        .size:           8
        .value_kind:     by_value
      - .offset:         48
        .size:           8
        .value_kind:     by_value
      - .address_space:  global
        .offset:         56
        .size:           8
        .value_kind:     global_buffer
      - .offset:         64
        .size:           8
        .value_kind:     by_value
      - .offset:         72
        .size:           8
        .value_kind:     by_value
      - .offset:         80
        .size:           4
        .value_kind:     by_value
      - .address_space:  global
        .offset:         88
        .size:           8
        .value_kind:     global_buffer
      - .offset:         96
        .size:           8
        .value_kind:     by_value
      - .offset:         104
        .size:           8
        .value_kind:     by_value
      - .address_space:  global
        .offset:         112
        .size:           8
        .value_kind:     global_buffer
      - .offset:         120
        .size:           8
        .value_kind:     by_value
      - .offset:         128
        .size:           8
        .value_kind:     by_value
      - .offset:         136
        .size:           4
        .value_kind:     by_value
    .group_segment_fixed_size: 2048
    .kernarg_segment_align: 8
    .kernarg_segment_size: 140
    .language:       OpenCL C
    .language_version:
      - 2
      - 0
    .max_flat_workgroup_size: 256
    .name:           _ZN12_GLOBAL__N_127rocblas_gemm_batched_kernelIfLi16ELi16ELi64ELi64ELi4ELi64ELi4ELi4ELi64ELc84ELc84EKPK16rocblas_bfloat16S4_KPS1_EEvlllT_PT11_llS9_llS7_PT12_llPT13_lli
    .private_segment_fixed_size: 0
    .sgpr_count:     40
    .sgpr_spill_count: 0
    .symbol:         _ZN12_GLOBAL__N_127rocblas_gemm_batched_kernelIfLi16ELi16ELi64ELi64ELi4ELi64ELi4ELi4ELi64ELc84ELc84EKPK16rocblas_bfloat16S4_KPS1_EEvlllT_PT11_llS9_llS7_PT12_llPT13_lli.kd
    .uniform_work_group_size: 1
    .uses_dynamic_stack: false
    .vgpr_count:     74
    .vgpr_spill_count: 0
    .wavefront_size: 32
  - .args:
      - .offset:         0
        .size:           8
        .value_kind:     by_value
      - .offset:         8
        .size:           8
        .value_kind:     by_value
      - .offset:         16
        .size:           8
        .value_kind:     by_value
      - .offset:         24
        .size:           4
        .value_kind:     by_value
      - .address_space:  global
        .offset:         32
        .size:           8
        .value_kind:     global_buffer
      - .offset:         40
        .size:           8
        .value_kind:     by_value
      - .offset:         48
        .size:           8
        .value_kind:     by_value
      - .address_space:  global
        .offset:         56
        .size:           8
        .value_kind:     global_buffer
      - .offset:         64
        .size:           8
        .value_kind:     by_value
      - .offset:         72
        .size:           8
        .value_kind:     by_value
      - .offset:         80
        .size:           4
        .value_kind:     by_value
      - .address_space:  global
        .offset:         88
        .size:           8
        .value_kind:     global_buffer
      - .offset:         96
        .size:           8
        .value_kind:     by_value
      - .offset:         104
        .size:           8
        .value_kind:     by_value
      - .address_space:  global
        .offset:         112
        .size:           8
        .value_kind:     global_buffer
      - .offset:         120
        .size:           8
        .value_kind:     by_value
      - .offset:         128
        .size:           8
        .value_kind:     by_value
      - .offset:         136
        .size:           4
        .value_kind:     by_value
    .group_segment_fixed_size: 2048
    .kernarg_segment_align: 8
    .kernarg_segment_size: 140
    .language:       OpenCL C
    .language_version:
      - 2
      - 0
    .max_flat_workgroup_size: 256
    .name:           _ZN12_GLOBAL__N_127rocblas_gemm_batched_kernelIfLi16ELi16ELi64ELi64ELi4ELi64ELi4ELi4ELi64ELc67ELc67EKPK16rocblas_bfloat16S4_KPS1_EEvlllT_PT11_llS9_llS7_PT12_llPT13_lli
    .private_segment_fixed_size: 0
    .sgpr_count:     40
    .sgpr_spill_count: 0
    .symbol:         _ZN12_GLOBAL__N_127rocblas_gemm_batched_kernelIfLi16ELi16ELi64ELi64ELi4ELi64ELi4ELi4ELi64ELc67ELc67EKPK16rocblas_bfloat16S4_KPS1_EEvlllT_PT11_llS9_llS7_PT12_llPT13_lli.kd
    .uniform_work_group_size: 1
    .uses_dynamic_stack: false
    .vgpr_count:     74
    .vgpr_spill_count: 0
    .wavefront_size: 32
  - .args:
      - .offset:         0
        .size:           8
        .value_kind:     by_value
      - .offset:         8
        .size:           8
        .value_kind:     by_value
      - .offset:         16
        .size:           8
        .value_kind:     by_value
      - .offset:         24
        .size:           4
        .value_kind:     by_value
      - .address_space:  global
        .offset:         32
        .size:           8
        .value_kind:     global_buffer
      - .offset:         40
        .size:           8
        .value_kind:     by_value
      - .offset:         48
        .size:           8
        .value_kind:     by_value
      - .address_space:  global
        .offset:         56
        .size:           8
        .value_kind:     global_buffer
      - .offset:         64
        .size:           8
        .value_kind:     by_value
      - .offset:         72
        .size:           8
        .value_kind:     by_value
      - .offset:         80
        .size:           4
        .value_kind:     by_value
      - .address_space:  global
        .offset:         88
        .size:           8
        .value_kind:     global_buffer
      - .offset:         96
        .size:           8
        .value_kind:     by_value
      - .offset:         104
        .size:           8
        .value_kind:     by_value
      - .address_space:  global
        .offset:         112
        .size:           8
        .value_kind:     global_buffer
      - .offset:         120
        .size:           8
        .value_kind:     by_value
      - .offset:         128
        .size:           8
        .value_kind:     by_value
      - .offset:         136
        .size:           4
        .value_kind:     by_value
    .group_segment_fixed_size: 2048
    .kernarg_segment_align: 8
    .kernarg_segment_size: 140
    .language:       OpenCL C
    .language_version:
      - 2
      - 0
    .max_flat_workgroup_size: 256
    .name:           _ZN12_GLOBAL__N_127rocblas_gemm_batched_kernelIfLi16ELi16ELi64ELi64ELi4ELi64ELi4ELi4ELi64ELc67ELc78EKPK16rocblas_bfloat16S4_KPS1_EEvlllT_PT11_llS9_llS7_PT12_llPT13_lli
    .private_segment_fixed_size: 0
    .sgpr_count:     40
    .sgpr_spill_count: 0
    .symbol:         _ZN12_GLOBAL__N_127rocblas_gemm_batched_kernelIfLi16ELi16ELi64ELi64ELi4ELi64ELi4ELi4ELi64ELc67ELc78EKPK16rocblas_bfloat16S4_KPS1_EEvlllT_PT11_llS9_llS7_PT12_llPT13_lli.kd
    .uniform_work_group_size: 1
    .uses_dynamic_stack: false
    .vgpr_count:     74
    .vgpr_spill_count: 0
    .wavefront_size: 32
  - .args:
      - .offset:         0
        .size:           8
        .value_kind:     by_value
      - .offset:         8
        .size:           8
        .value_kind:     by_value
      - .offset:         16
        .size:           8
        .value_kind:     by_value
      - .offset:         24
        .size:           4
        .value_kind:     by_value
      - .address_space:  global
        .offset:         32
        .size:           8
        .value_kind:     global_buffer
      - .offset:         40
        .size:           8
        .value_kind:     by_value
      - .offset:         48
        .size:           8
        .value_kind:     by_value
      - .address_space:  global
        .offset:         56
        .size:           8
        .value_kind:     global_buffer
      - .offset:         64
        .size:           8
        .value_kind:     by_value
      - .offset:         72
        .size:           8
        .value_kind:     by_value
      - .offset:         80
        .size:           4
        .value_kind:     by_value
      - .address_space:  global
        .offset:         88
        .size:           8
        .value_kind:     global_buffer
      - .offset:         96
        .size:           8
        .value_kind:     by_value
      - .offset:         104
        .size:           8
        .value_kind:     by_value
      - .address_space:  global
        .offset:         112
        .size:           8
        .value_kind:     global_buffer
      - .offset:         120
        .size:           8
        .value_kind:     by_value
      - .offset:         128
        .size:           8
        .value_kind:     by_value
      - .offset:         136
        .size:           4
        .value_kind:     by_value
    .group_segment_fixed_size: 2048
    .kernarg_segment_align: 8
    .kernarg_segment_size: 140
    .language:       OpenCL C
    .language_version:
      - 2
      - 0
    .max_flat_workgroup_size: 256
    .name:           _ZN12_GLOBAL__N_127rocblas_gemm_batched_kernelIfLi16ELi16ELi64ELi64ELi4ELi64ELi4ELi4ELi64ELc67ELc84EKPK16rocblas_bfloat16S4_KPS1_EEvlllT_PT11_llS9_llS7_PT12_llPT13_lli
    .private_segment_fixed_size: 0
    .sgpr_count:     40
    .sgpr_spill_count: 0
    .symbol:         _ZN12_GLOBAL__N_127rocblas_gemm_batched_kernelIfLi16ELi16ELi64ELi64ELi4ELi64ELi4ELi4ELi64ELc67ELc84EKPK16rocblas_bfloat16S4_KPS1_EEvlllT_PT11_llS9_llS7_PT12_llPT13_lli.kd
    .uniform_work_group_size: 1
    .uses_dynamic_stack: false
    .vgpr_count:     74
    .vgpr_spill_count: 0
    .wavefront_size: 32
  - .args:
      - .offset:         0
        .size:           8
        .value_kind:     by_value
      - .offset:         8
        .size:           8
        .value_kind:     by_value
      - .offset:         16
        .size:           8
        .value_kind:     by_value
      - .offset:         24
        .size:           4
        .value_kind:     by_value
      - .address_space:  global
        .offset:         32
        .size:           8
        .value_kind:     global_buffer
      - .offset:         40
        .size:           8
        .value_kind:     by_value
      - .offset:         48
        .size:           8
        .value_kind:     by_value
      - .address_space:  global
        .offset:         56
        .size:           8
        .value_kind:     global_buffer
      - .offset:         64
        .size:           8
        .value_kind:     by_value
      - .offset:         72
        .size:           8
        .value_kind:     by_value
      - .offset:         80
        .size:           4
        .value_kind:     by_value
      - .address_space:  global
        .offset:         88
        .size:           8
        .value_kind:     global_buffer
      - .offset:         96
        .size:           8
        .value_kind:     by_value
      - .offset:         104
        .size:           8
        .value_kind:     by_value
      - .address_space:  global
        .offset:         112
        .size:           8
        .value_kind:     global_buffer
      - .offset:         120
        .size:           8
        .value_kind:     by_value
      - .offset:         128
        .size:           8
        .value_kind:     by_value
      - .offset:         136
        .size:           4
        .value_kind:     by_value
    .group_segment_fixed_size: 2048
    .kernarg_segment_align: 8
    .kernarg_segment_size: 140
    .language:       OpenCL C
    .language_version:
      - 2
      - 0
    .max_flat_workgroup_size: 256
    .name:           _ZN12_GLOBAL__N_127rocblas_gemm_batched_kernelIfLi16ELi16ELi64ELi64ELi4ELi64ELi4ELi4ELi64ELc78ELc67EKPK16rocblas_bfloat16S4_KPS1_EEvlllT_PT11_llS9_llS7_PT12_llPT13_lli
    .private_segment_fixed_size: 0
    .sgpr_count:     40
    .sgpr_spill_count: 0
    .symbol:         _ZN12_GLOBAL__N_127rocblas_gemm_batched_kernelIfLi16ELi16ELi64ELi64ELi4ELi64ELi4ELi4ELi64ELc78ELc67EKPK16rocblas_bfloat16S4_KPS1_EEvlllT_PT11_llS9_llS7_PT12_llPT13_lli.kd
    .uniform_work_group_size: 1
    .uses_dynamic_stack: false
    .vgpr_count:     76
    .vgpr_spill_count: 0
    .wavefront_size: 32
  - .args:
      - .offset:         0
        .size:           8
        .value_kind:     by_value
      - .offset:         8
        .size:           8
        .value_kind:     by_value
      - .offset:         16
        .size:           8
        .value_kind:     by_value
      - .offset:         24
        .size:           4
        .value_kind:     by_value
      - .address_space:  global
        .offset:         32
        .size:           8
        .value_kind:     global_buffer
      - .offset:         40
        .size:           8
        .value_kind:     by_value
      - .offset:         48
        .size:           8
        .value_kind:     by_value
      - .address_space:  global
        .offset:         56
        .size:           8
        .value_kind:     global_buffer
      - .offset:         64
        .size:           8
        .value_kind:     by_value
      - .offset:         72
        .size:           8
        .value_kind:     by_value
      - .offset:         80
        .size:           4
        .value_kind:     by_value
      - .address_space:  global
        .offset:         88
        .size:           8
        .value_kind:     global_buffer
      - .offset:         96
        .size:           8
        .value_kind:     by_value
      - .offset:         104
        .size:           8
        .value_kind:     by_value
      - .address_space:  global
        .offset:         112
        .size:           8
        .value_kind:     global_buffer
      - .offset:         120
        .size:           8
        .value_kind:     by_value
      - .offset:         128
        .size:           8
        .value_kind:     by_value
      - .offset:         136
        .size:           4
        .value_kind:     by_value
    .group_segment_fixed_size: 2048
    .kernarg_segment_align: 8
    .kernarg_segment_size: 140
    .language:       OpenCL C
    .language_version:
      - 2
      - 0
    .max_flat_workgroup_size: 256
    .name:           _ZN12_GLOBAL__N_127rocblas_gemm_batched_kernelIfLi16ELi16ELi64ELi64ELi4ELi64ELi4ELi4ELi64ELc84ELc67EKPK16rocblas_bfloat16S4_KPS1_EEvlllT_PT11_llS9_llS7_PT12_llPT13_lli
    .private_segment_fixed_size: 0
    .sgpr_count:     40
    .sgpr_spill_count: 0
    .symbol:         _ZN12_GLOBAL__N_127rocblas_gemm_batched_kernelIfLi16ELi16ELi64ELi64ELi4ELi64ELi4ELi4ELi64ELc84ELc67EKPK16rocblas_bfloat16S4_KPS1_EEvlllT_PT11_llS9_llS7_PT12_llPT13_lli.kd
    .uniform_work_group_size: 1
    .uses_dynamic_stack: false
    .vgpr_count:     74
    .vgpr_spill_count: 0
    .wavefront_size: 32
  - .args:
      - .offset:         0
        .size:           8
        .value_kind:     by_value
      - .offset:         8
        .size:           8
        .value_kind:     by_value
      - .offset:         16
        .size:           8
        .value_kind:     by_value
      - .offset:         24
        .size:           4
        .value_kind:     by_value
      - .address_space:  global
        .offset:         32
        .size:           8
        .value_kind:     global_buffer
      - .offset:         40
        .size:           8
        .value_kind:     by_value
      - .offset:         48
        .size:           8
        .value_kind:     by_value
      - .address_space:  global
        .offset:         56
        .size:           8
        .value_kind:     global_buffer
      - .offset:         64
        .size:           8
        .value_kind:     by_value
      - .offset:         72
        .size:           8
        .value_kind:     by_value
      - .offset:         80
        .size:           4
        .value_kind:     by_value
      - .address_space:  global
        .offset:         88
        .size:           8
        .value_kind:     global_buffer
      - .offset:         96
        .size:           8
        .value_kind:     by_value
      - .offset:         104
        .size:           8
        .value_kind:     by_value
      - .address_space:  global
        .offset:         112
        .size:           8
        .value_kind:     global_buffer
      - .offset:         120
        .size:           8
        .value_kind:     by_value
      - .offset:         128
        .size:           8
        .value_kind:     by_value
      - .offset:         136
        .size:           4
        .value_kind:     by_value
    .group_segment_fixed_size: 2048
    .kernarg_segment_align: 8
    .kernarg_segment_size: 140
    .language:       OpenCL C
    .language_version:
      - 2
      - 0
    .max_flat_workgroup_size: 256
    .name:           _ZN12_GLOBAL__N_127rocblas_gemm_batched_kernelIfLi16ELi16ELi32ELi32ELi8ELi32ELi8ELi8ELi32ELc78ELc78EKPK16rocblas_bfloat16S4_KPS1_EEvlllT_PT11_llS9_llS7_PT12_llPT13_lli
    .private_segment_fixed_size: 0
    .sgpr_count:     40
    .sgpr_spill_count: 0
    .symbol:         _ZN12_GLOBAL__N_127rocblas_gemm_batched_kernelIfLi16ELi16ELi32ELi32ELi8ELi32ELi8ELi8ELi32ELc78ELc78EKPK16rocblas_bfloat16S4_KPS1_EEvlllT_PT11_llS9_llS7_PT12_llPT13_lli.kd
    .uniform_work_group_size: 1
    .uses_dynamic_stack: false
    .vgpr_count:     58
    .vgpr_spill_count: 0
    .wavefront_size: 32
  - .args:
      - .offset:         0
        .size:           8
        .value_kind:     by_value
      - .offset:         8
        .size:           8
        .value_kind:     by_value
      - .offset:         16
        .size:           8
        .value_kind:     by_value
      - .offset:         24
        .size:           4
        .value_kind:     by_value
      - .address_space:  global
        .offset:         32
        .size:           8
        .value_kind:     global_buffer
      - .offset:         40
        .size:           8
        .value_kind:     by_value
      - .offset:         48
        .size:           8
        .value_kind:     by_value
      - .address_space:  global
        .offset:         56
        .size:           8
        .value_kind:     global_buffer
      - .offset:         64
        .size:           8
        .value_kind:     by_value
      - .offset:         72
        .size:           8
        .value_kind:     by_value
      - .offset:         80
        .size:           4
        .value_kind:     by_value
      - .address_space:  global
        .offset:         88
        .size:           8
        .value_kind:     global_buffer
      - .offset:         96
        .size:           8
        .value_kind:     by_value
      - .offset:         104
        .size:           8
        .value_kind:     by_value
      - .address_space:  global
        .offset:         112
        .size:           8
        .value_kind:     global_buffer
      - .offset:         120
        .size:           8
        .value_kind:     by_value
      - .offset:         128
        .size:           8
        .value_kind:     by_value
      - .offset:         136
        .size:           4
        .value_kind:     by_value
    .group_segment_fixed_size: 2048
    .kernarg_segment_align: 8
    .kernarg_segment_size: 140
    .language:       OpenCL C
    .language_version:
      - 2
      - 0
    .max_flat_workgroup_size: 256
    .name:           _ZN12_GLOBAL__N_127rocblas_gemm_batched_kernelIfLi16ELi16ELi32ELi32ELi8ELi32ELi8ELi8ELi32ELc84ELc78EKPK16rocblas_bfloat16S4_KPS1_EEvlllT_PT11_llS9_llS7_PT12_llPT13_lli
    .private_segment_fixed_size: 0
    .sgpr_count:     40
    .sgpr_spill_count: 0
    .symbol:         _ZN12_GLOBAL__N_127rocblas_gemm_batched_kernelIfLi16ELi16ELi32ELi32ELi8ELi32ELi8ELi8ELi32ELc84ELc78EKPK16rocblas_bfloat16S4_KPS1_EEvlllT_PT11_llS9_llS7_PT12_llPT13_lli.kd
    .uniform_work_group_size: 1
    .uses_dynamic_stack: false
    .vgpr_count:     58
    .vgpr_spill_count: 0
    .wavefront_size: 32
  - .args:
      - .offset:         0
        .size:           8
        .value_kind:     by_value
      - .offset:         8
        .size:           8
        .value_kind:     by_value
      - .offset:         16
        .size:           8
        .value_kind:     by_value
      - .offset:         24
        .size:           4
        .value_kind:     by_value
      - .address_space:  global
        .offset:         32
        .size:           8
        .value_kind:     global_buffer
      - .offset:         40
        .size:           8
        .value_kind:     by_value
      - .offset:         48
        .size:           8
        .value_kind:     by_value
      - .address_space:  global
        .offset:         56
        .size:           8
        .value_kind:     global_buffer
      - .offset:         64
        .size:           8
        .value_kind:     by_value
      - .offset:         72
        .size:           8
        .value_kind:     by_value
      - .offset:         80
        .size:           4
        .value_kind:     by_value
      - .address_space:  global
        .offset:         88
        .size:           8
        .value_kind:     global_buffer
      - .offset:         96
        .size:           8
        .value_kind:     by_value
      - .offset:         104
        .size:           8
        .value_kind:     by_value
      - .address_space:  global
        .offset:         112
        .size:           8
        .value_kind:     global_buffer
      - .offset:         120
        .size:           8
        .value_kind:     by_value
      - .offset:         128
        .size:           8
        .value_kind:     by_value
      - .offset:         136
        .size:           4
        .value_kind:     by_value
    .group_segment_fixed_size: 2048
    .kernarg_segment_align: 8
    .kernarg_segment_size: 140
    .language:       OpenCL C
    .language_version:
      - 2
      - 0
    .max_flat_workgroup_size: 256
    .name:           _ZN12_GLOBAL__N_127rocblas_gemm_batched_kernelIfLi16ELi16ELi32ELi32ELi8ELi32ELi8ELi8ELi32ELc78ELc84EKPK16rocblas_bfloat16S4_KPS1_EEvlllT_PT11_llS9_llS7_PT12_llPT13_lli
    .private_segment_fixed_size: 0
    .sgpr_count:     40
    .sgpr_spill_count: 0
    .symbol:         _ZN12_GLOBAL__N_127rocblas_gemm_batched_kernelIfLi16ELi16ELi32ELi32ELi8ELi32ELi8ELi8ELi32ELc78ELc84EKPK16rocblas_bfloat16S4_KPS1_EEvlllT_PT11_llS9_llS7_PT12_llPT13_lli.kd
    .uniform_work_group_size: 1
    .uses_dynamic_stack: false
    .vgpr_count:     58
    .vgpr_spill_count: 0
    .wavefront_size: 32
  - .args:
      - .offset:         0
        .size:           8
        .value_kind:     by_value
      - .offset:         8
        .size:           8
        .value_kind:     by_value
      - .offset:         16
        .size:           8
        .value_kind:     by_value
      - .offset:         24
        .size:           4
        .value_kind:     by_value
      - .address_space:  global
        .offset:         32
        .size:           8
        .value_kind:     global_buffer
      - .offset:         40
        .size:           8
        .value_kind:     by_value
      - .offset:         48
        .size:           8
        .value_kind:     by_value
      - .address_space:  global
        .offset:         56
        .size:           8
        .value_kind:     global_buffer
      - .offset:         64
        .size:           8
        .value_kind:     by_value
      - .offset:         72
        .size:           8
        .value_kind:     by_value
      - .offset:         80
        .size:           4
        .value_kind:     by_value
      - .address_space:  global
        .offset:         88
        .size:           8
        .value_kind:     global_buffer
      - .offset:         96
        .size:           8
        .value_kind:     by_value
      - .offset:         104
        .size:           8
        .value_kind:     by_value
      - .address_space:  global
        .offset:         112
        .size:           8
        .value_kind:     global_buffer
      - .offset:         120
        .size:           8
        .value_kind:     by_value
      - .offset:         128
        .size:           8
        .value_kind:     by_value
      - .offset:         136
        .size:           4
        .value_kind:     by_value
    .group_segment_fixed_size: 2048
    .kernarg_segment_align: 8
    .kernarg_segment_size: 140
    .language:       OpenCL C
    .language_version:
      - 2
      - 0
    .max_flat_workgroup_size: 256
    .name:           _ZN12_GLOBAL__N_127rocblas_gemm_batched_kernelIfLi16ELi16ELi32ELi32ELi8ELi32ELi8ELi8ELi32ELc84ELc84EKPK16rocblas_bfloat16S4_KPS1_EEvlllT_PT11_llS9_llS7_PT12_llPT13_lli
    .private_segment_fixed_size: 0
    .sgpr_count:     38
    .sgpr_spill_count: 0
    .symbol:         _ZN12_GLOBAL__N_127rocblas_gemm_batched_kernelIfLi16ELi16ELi32ELi32ELi8ELi32ELi8ELi8ELi32ELc84ELc84EKPK16rocblas_bfloat16S4_KPS1_EEvlllT_PT11_llS9_llS7_PT12_llPT13_lli.kd
    .uniform_work_group_size: 1
    .uses_dynamic_stack: false
    .vgpr_count:     58
    .vgpr_spill_count: 0
    .wavefront_size: 32
  - .args:
      - .offset:         0
        .size:           8
        .value_kind:     by_value
      - .offset:         8
        .size:           8
        .value_kind:     by_value
      - .offset:         16
        .size:           8
        .value_kind:     by_value
      - .offset:         24
        .size:           4
        .value_kind:     by_value
      - .address_space:  global
        .offset:         32
        .size:           8
        .value_kind:     global_buffer
      - .offset:         40
        .size:           8
        .value_kind:     by_value
      - .offset:         48
        .size:           8
        .value_kind:     by_value
      - .address_space:  global
        .offset:         56
        .size:           8
        .value_kind:     global_buffer
      - .offset:         64
        .size:           8
        .value_kind:     by_value
      - .offset:         72
        .size:           8
        .value_kind:     by_value
      - .offset:         80
        .size:           4
        .value_kind:     by_value
      - .address_space:  global
        .offset:         88
        .size:           8
        .value_kind:     global_buffer
      - .offset:         96
        .size:           8
        .value_kind:     by_value
      - .offset:         104
        .size:           8
        .value_kind:     by_value
      - .address_space:  global
        .offset:         112
        .size:           8
        .value_kind:     global_buffer
      - .offset:         120
        .size:           8
        .value_kind:     by_value
      - .offset:         128
        .size:           8
        .value_kind:     by_value
      - .offset:         136
        .size:           4
        .value_kind:     by_value
    .group_segment_fixed_size: 2048
    .kernarg_segment_align: 8
    .kernarg_segment_size: 140
    .language:       OpenCL C
    .language_version:
      - 2
      - 0
    .max_flat_workgroup_size: 256
    .name:           _ZN12_GLOBAL__N_127rocblas_gemm_batched_kernelIfLi16ELi16ELi32ELi32ELi8ELi32ELi8ELi8ELi32ELc67ELc67EKPK16rocblas_bfloat16S4_KPS1_EEvlllT_PT11_llS9_llS7_PT12_llPT13_lli
    .private_segment_fixed_size: 0
    .sgpr_count:     38
    .sgpr_spill_count: 0
    .symbol:         _ZN12_GLOBAL__N_127rocblas_gemm_batched_kernelIfLi16ELi16ELi32ELi32ELi8ELi32ELi8ELi8ELi32ELc67ELc67EKPK16rocblas_bfloat16S4_KPS1_EEvlllT_PT11_llS9_llS7_PT12_llPT13_lli.kd
    .uniform_work_group_size: 1
    .uses_dynamic_stack: false
    .vgpr_count:     58
    .vgpr_spill_count: 0
    .wavefront_size: 32
  - .args:
      - .offset:         0
        .size:           8
        .value_kind:     by_value
      - .offset:         8
        .size:           8
        .value_kind:     by_value
      - .offset:         16
        .size:           8
        .value_kind:     by_value
      - .offset:         24
        .size:           4
        .value_kind:     by_value
      - .address_space:  global
        .offset:         32
        .size:           8
        .value_kind:     global_buffer
      - .offset:         40
        .size:           8
        .value_kind:     by_value
      - .offset:         48
        .size:           8
        .value_kind:     by_value
      - .address_space:  global
        .offset:         56
        .size:           8
        .value_kind:     global_buffer
      - .offset:         64
        .size:           8
        .value_kind:     by_value
      - .offset:         72
        .size:           8
        .value_kind:     by_value
      - .offset:         80
        .size:           4
        .value_kind:     by_value
      - .address_space:  global
        .offset:         88
        .size:           8
        .value_kind:     global_buffer
      - .offset:         96
        .size:           8
        .value_kind:     by_value
      - .offset:         104
        .size:           8
        .value_kind:     by_value
      - .address_space:  global
        .offset:         112
        .size:           8
        .value_kind:     global_buffer
      - .offset:         120
        .size:           8
        .value_kind:     by_value
      - .offset:         128
        .size:           8
        .value_kind:     by_value
      - .offset:         136
        .size:           4
        .value_kind:     by_value
    .group_segment_fixed_size: 2048
    .kernarg_segment_align: 8
    .kernarg_segment_size: 140
    .language:       OpenCL C
    .language_version:
      - 2
      - 0
    .max_flat_workgroup_size: 256
    .name:           _ZN12_GLOBAL__N_127rocblas_gemm_batched_kernelIfLi16ELi16ELi32ELi32ELi8ELi32ELi8ELi8ELi32ELc67ELc78EKPK16rocblas_bfloat16S4_KPS1_EEvlllT_PT11_llS9_llS7_PT12_llPT13_lli
    .private_segment_fixed_size: 0
    .sgpr_count:     40
    .sgpr_spill_count: 0
    .symbol:         _ZN12_GLOBAL__N_127rocblas_gemm_batched_kernelIfLi16ELi16ELi32ELi32ELi8ELi32ELi8ELi8ELi32ELc67ELc78EKPK16rocblas_bfloat16S4_KPS1_EEvlllT_PT11_llS9_llS7_PT12_llPT13_lli.kd
    .uniform_work_group_size: 1
    .uses_dynamic_stack: false
    .vgpr_count:     58
    .vgpr_spill_count: 0
    .wavefront_size: 32
  - .args:
      - .offset:         0
        .size:           8
        .value_kind:     by_value
      - .offset:         8
        .size:           8
        .value_kind:     by_value
      - .offset:         16
        .size:           8
        .value_kind:     by_value
      - .offset:         24
        .size:           4
        .value_kind:     by_value
      - .address_space:  global
        .offset:         32
        .size:           8
        .value_kind:     global_buffer
      - .offset:         40
        .size:           8
        .value_kind:     by_value
      - .offset:         48
        .size:           8
        .value_kind:     by_value
      - .address_space:  global
        .offset:         56
        .size:           8
        .value_kind:     global_buffer
      - .offset:         64
        .size:           8
        .value_kind:     by_value
      - .offset:         72
        .size:           8
        .value_kind:     by_value
      - .offset:         80
        .size:           4
        .value_kind:     by_value
      - .address_space:  global
        .offset:         88
        .size:           8
        .value_kind:     global_buffer
      - .offset:         96
        .size:           8
        .value_kind:     by_value
      - .offset:         104
        .size:           8
        .value_kind:     by_value
      - .address_space:  global
        .offset:         112
        .size:           8
        .value_kind:     global_buffer
      - .offset:         120
        .size:           8
        .value_kind:     by_value
      - .offset:         128
        .size:           8
        .value_kind:     by_value
      - .offset:         136
        .size:           4
        .value_kind:     by_value
    .group_segment_fixed_size: 2048
    .kernarg_segment_align: 8
    .kernarg_segment_size: 140
    .language:       OpenCL C
    .language_version:
      - 2
      - 0
    .max_flat_workgroup_size: 256
    .name:           _ZN12_GLOBAL__N_127rocblas_gemm_batched_kernelIfLi16ELi16ELi32ELi32ELi8ELi32ELi8ELi8ELi32ELc67ELc84EKPK16rocblas_bfloat16S4_KPS1_EEvlllT_PT11_llS9_llS7_PT12_llPT13_lli
    .private_segment_fixed_size: 0
    .sgpr_count:     38
    .sgpr_spill_count: 0
    .symbol:         _ZN12_GLOBAL__N_127rocblas_gemm_batched_kernelIfLi16ELi16ELi32ELi32ELi8ELi32ELi8ELi8ELi32ELc67ELc84EKPK16rocblas_bfloat16S4_KPS1_EEvlllT_PT11_llS9_llS7_PT12_llPT13_lli.kd
    .uniform_work_group_size: 1
    .uses_dynamic_stack: false
    .vgpr_count:     58
    .vgpr_spill_count: 0
    .wavefront_size: 32
  - .args:
      - .offset:         0
        .size:           8
        .value_kind:     by_value
      - .offset:         8
        .size:           8
        .value_kind:     by_value
      - .offset:         16
        .size:           8
        .value_kind:     by_value
      - .offset:         24
        .size:           4
        .value_kind:     by_value
      - .address_space:  global
        .offset:         32
        .size:           8
        .value_kind:     global_buffer
      - .offset:         40
        .size:           8
        .value_kind:     by_value
      - .offset:         48
        .size:           8
        .value_kind:     by_value
      - .address_space:  global
        .offset:         56
        .size:           8
        .value_kind:     global_buffer
      - .offset:         64
        .size:           8
        .value_kind:     by_value
      - .offset:         72
        .size:           8
        .value_kind:     by_value
      - .offset:         80
        .size:           4
        .value_kind:     by_value
      - .address_space:  global
        .offset:         88
        .size:           8
        .value_kind:     global_buffer
      - .offset:         96
        .size:           8
        .value_kind:     by_value
      - .offset:         104
        .size:           8
        .value_kind:     by_value
      - .address_space:  global
        .offset:         112
        .size:           8
        .value_kind:     global_buffer
      - .offset:         120
        .size:           8
        .value_kind:     by_value
      - .offset:         128
        .size:           8
        .value_kind:     by_value
      - .offset:         136
        .size:           4
        .value_kind:     by_value
    .group_segment_fixed_size: 2048
    .kernarg_segment_align: 8
    .kernarg_segment_size: 140
    .language:       OpenCL C
    .language_version:
      - 2
      - 0
    .max_flat_workgroup_size: 256
    .name:           _ZN12_GLOBAL__N_127rocblas_gemm_batched_kernelIfLi16ELi16ELi32ELi32ELi8ELi32ELi8ELi8ELi32ELc78ELc67EKPK16rocblas_bfloat16S4_KPS1_EEvlllT_PT11_llS9_llS7_PT12_llPT13_lli
    .private_segment_fixed_size: 0
    .sgpr_count:     40
    .sgpr_spill_count: 0
    .symbol:         _ZN12_GLOBAL__N_127rocblas_gemm_batched_kernelIfLi16ELi16ELi32ELi32ELi8ELi32ELi8ELi8ELi32ELc78ELc67EKPK16rocblas_bfloat16S4_KPS1_EEvlllT_PT11_llS9_llS7_PT12_llPT13_lli.kd
    .uniform_work_group_size: 1
    .uses_dynamic_stack: false
    .vgpr_count:     58
    .vgpr_spill_count: 0
    .wavefront_size: 32
  - .args:
      - .offset:         0
        .size:           8
        .value_kind:     by_value
      - .offset:         8
        .size:           8
        .value_kind:     by_value
      - .offset:         16
        .size:           8
        .value_kind:     by_value
      - .offset:         24
        .size:           4
        .value_kind:     by_value
      - .address_space:  global
        .offset:         32
        .size:           8
        .value_kind:     global_buffer
      - .offset:         40
        .size:           8
        .value_kind:     by_value
      - .offset:         48
        .size:           8
        .value_kind:     by_value
      - .address_space:  global
        .offset:         56
        .size:           8
        .value_kind:     global_buffer
      - .offset:         64
        .size:           8
        .value_kind:     by_value
      - .offset:         72
        .size:           8
        .value_kind:     by_value
      - .offset:         80
        .size:           4
        .value_kind:     by_value
      - .address_space:  global
        .offset:         88
        .size:           8
        .value_kind:     global_buffer
      - .offset:         96
        .size:           8
        .value_kind:     by_value
      - .offset:         104
        .size:           8
        .value_kind:     by_value
      - .address_space:  global
        .offset:         112
        .size:           8
        .value_kind:     global_buffer
      - .offset:         120
        .size:           8
        .value_kind:     by_value
      - .offset:         128
        .size:           8
        .value_kind:     by_value
      - .offset:         136
        .size:           4
        .value_kind:     by_value
    .group_segment_fixed_size: 2048
    .kernarg_segment_align: 8
    .kernarg_segment_size: 140
    .language:       OpenCL C
    .language_version:
      - 2
      - 0
    .max_flat_workgroup_size: 256
    .name:           _ZN12_GLOBAL__N_127rocblas_gemm_batched_kernelIfLi16ELi16ELi32ELi32ELi8ELi32ELi8ELi8ELi32ELc84ELc67EKPK16rocblas_bfloat16S4_KPS1_EEvlllT_PT11_llS9_llS7_PT12_llPT13_lli
    .private_segment_fixed_size: 0
    .sgpr_count:     38
    .sgpr_spill_count: 0
    .symbol:         _ZN12_GLOBAL__N_127rocblas_gemm_batched_kernelIfLi16ELi16ELi32ELi32ELi8ELi32ELi8ELi8ELi32ELc84ELc67EKPK16rocblas_bfloat16S4_KPS1_EEvlllT_PT11_llS9_llS7_PT12_llPT13_lli.kd
    .uniform_work_group_size: 1
    .uses_dynamic_stack: false
    .vgpr_count:     58
    .vgpr_spill_count: 0
    .wavefront_size: 32
  - .args:
      - .offset:         0
        .size:           8
        .value_kind:     by_value
      - .offset:         8
        .size:           8
        .value_kind:     by_value
      - .offset:         16
        .size:           8
        .value_kind:     by_value
      - .offset:         24
        .size:           4
        .value_kind:     by_value
      - .address_space:  global
        .offset:         32
        .size:           8
        .value_kind:     global_buffer
      - .offset:         40
        .size:           8
        .value_kind:     by_value
      - .offset:         48
        .size:           8
        .value_kind:     by_value
      - .address_space:  global
        .offset:         56
        .size:           8
        .value_kind:     global_buffer
      - .offset:         64
        .size:           8
        .value_kind:     by_value
      - .offset:         72
        .size:           8
        .value_kind:     by_value
      - .offset:         80
        .size:           4
        .value_kind:     by_value
      - .address_space:  global
        .offset:         88
        .size:           8
        .value_kind:     global_buffer
      - .offset:         96
        .size:           8
        .value_kind:     by_value
      - .offset:         104
        .size:           8
        .value_kind:     by_value
      - .address_space:  global
        .offset:         112
        .size:           8
        .value_kind:     global_buffer
      - .offset:         120
        .size:           8
        .value_kind:     by_value
      - .offset:         128
        .size:           8
        .value_kind:     by_value
      - .offset:         136
        .size:           4
        .value_kind:     by_value
    .group_segment_fixed_size: 2048
    .kernarg_segment_align: 8
    .kernarg_segment_size: 140
    .language:       OpenCL C
    .language_version:
      - 2
      - 0
    .max_flat_workgroup_size: 256
    .name:           _ZN12_GLOBAL__N_135rocblas_gemm_batched_general_kernelIfLi16ELi16ELi32ELi32ELi8ELi32ELi8ELi8ELi32ELc78ELc78EKPK16rocblas_bfloat16S4_KPS1_EEvlllT_PT11_llS9_llS7_PT12_llPT13_lli
    .private_segment_fixed_size: 0
    .sgpr_count:     46
    .sgpr_spill_count: 0
    .symbol:         _ZN12_GLOBAL__N_135rocblas_gemm_batched_general_kernelIfLi16ELi16ELi32ELi32ELi8ELi32ELi8ELi8ELi32ELc78ELc78EKPK16rocblas_bfloat16S4_KPS1_EEvlllT_PT11_llS9_llS7_PT12_llPT13_lli.kd
    .uniform_work_group_size: 1
    .uses_dynamic_stack: false
    .vgpr_count:     56
    .vgpr_spill_count: 0
    .wavefront_size: 32
  - .args:
      - .offset:         0
        .size:           8
        .value_kind:     by_value
      - .offset:         8
        .size:           8
        .value_kind:     by_value
      - .offset:         16
        .size:           8
        .value_kind:     by_value
      - .offset:         24
        .size:           4
        .value_kind:     by_value
      - .address_space:  global
        .offset:         32
        .size:           8
        .value_kind:     global_buffer
      - .offset:         40
        .size:           8
        .value_kind:     by_value
      - .offset:         48
        .size:           8
        .value_kind:     by_value
      - .address_space:  global
        .offset:         56
        .size:           8
        .value_kind:     global_buffer
      - .offset:         64
        .size:           8
        .value_kind:     by_value
      - .offset:         72
        .size:           8
        .value_kind:     by_value
      - .offset:         80
        .size:           4
        .value_kind:     by_value
      - .address_space:  global
        .offset:         88
        .size:           8
        .value_kind:     global_buffer
      - .offset:         96
        .size:           8
        .value_kind:     by_value
      - .offset:         104
        .size:           8
        .value_kind:     by_value
      - .address_space:  global
        .offset:         112
        .size:           8
        .value_kind:     global_buffer
      - .offset:         120
        .size:           8
        .value_kind:     by_value
      - .offset:         128
        .size:           8
        .value_kind:     by_value
      - .offset:         136
        .size:           4
        .value_kind:     by_value
    .group_segment_fixed_size: 2048
    .kernarg_segment_align: 8
    .kernarg_segment_size: 140
    .language:       OpenCL C
    .language_version:
      - 2
      - 0
    .max_flat_workgroup_size: 256
    .name:           _ZN12_GLOBAL__N_135rocblas_gemm_batched_general_kernelIfLi16ELi16ELi32ELi32ELi8ELi32ELi8ELi8ELi32ELc84ELc78EKPK16rocblas_bfloat16S4_KPS1_EEvlllT_PT11_llS9_llS7_PT12_llPT13_lli
    .private_segment_fixed_size: 0
    .sgpr_count:     44
    .sgpr_spill_count: 0
    .symbol:         _ZN12_GLOBAL__N_135rocblas_gemm_batched_general_kernelIfLi16ELi16ELi32ELi32ELi8ELi32ELi8ELi8ELi32ELc84ELc78EKPK16rocblas_bfloat16S4_KPS1_EEvlllT_PT11_llS9_llS7_PT12_llPT13_lli.kd
    .uniform_work_group_size: 1
    .uses_dynamic_stack: false
    .vgpr_count:     56
    .vgpr_spill_count: 0
    .wavefront_size: 32
  - .args:
      - .offset:         0
        .size:           8
        .value_kind:     by_value
      - .offset:         8
        .size:           8
        .value_kind:     by_value
      - .offset:         16
        .size:           8
        .value_kind:     by_value
      - .offset:         24
        .size:           4
        .value_kind:     by_value
      - .address_space:  global
        .offset:         32
        .size:           8
        .value_kind:     global_buffer
      - .offset:         40
        .size:           8
        .value_kind:     by_value
      - .offset:         48
        .size:           8
        .value_kind:     by_value
      - .address_space:  global
        .offset:         56
        .size:           8
        .value_kind:     global_buffer
      - .offset:         64
        .size:           8
        .value_kind:     by_value
      - .offset:         72
        .size:           8
        .value_kind:     by_value
      - .offset:         80
        .size:           4
        .value_kind:     by_value
      - .address_space:  global
        .offset:         88
        .size:           8
        .value_kind:     global_buffer
      - .offset:         96
        .size:           8
        .value_kind:     by_value
      - .offset:         104
        .size:           8
        .value_kind:     by_value
      - .address_space:  global
        .offset:         112
        .size:           8
        .value_kind:     global_buffer
      - .offset:         120
        .size:           8
        .value_kind:     by_value
      - .offset:         128
        .size:           8
        .value_kind:     by_value
      - .offset:         136
        .size:           4
        .value_kind:     by_value
    .group_segment_fixed_size: 2048
    .kernarg_segment_align: 8
    .kernarg_segment_size: 140
    .language:       OpenCL C
    .language_version:
      - 2
      - 0
    .max_flat_workgroup_size: 256
    .name:           _ZN12_GLOBAL__N_135rocblas_gemm_batched_general_kernelIfLi16ELi16ELi32ELi32ELi8ELi32ELi8ELi8ELi32ELc78ELc84EKPK16rocblas_bfloat16S4_KPS1_EEvlllT_PT11_llS9_llS7_PT12_llPT13_lli
    .private_segment_fixed_size: 0
    .sgpr_count:     48
    .sgpr_spill_count: 0
    .symbol:         _ZN12_GLOBAL__N_135rocblas_gemm_batched_general_kernelIfLi16ELi16ELi32ELi32ELi8ELi32ELi8ELi8ELi32ELc78ELc84EKPK16rocblas_bfloat16S4_KPS1_EEvlllT_PT11_llS9_llS7_PT12_llPT13_lli.kd
    .uniform_work_group_size: 1
    .uses_dynamic_stack: false
    .vgpr_count:     56
    .vgpr_spill_count: 0
    .wavefront_size: 32
  - .args:
      - .offset:         0
        .size:           8
        .value_kind:     by_value
      - .offset:         8
        .size:           8
        .value_kind:     by_value
      - .offset:         16
        .size:           8
        .value_kind:     by_value
      - .offset:         24
        .size:           4
        .value_kind:     by_value
      - .address_space:  global
        .offset:         32
        .size:           8
        .value_kind:     global_buffer
      - .offset:         40
        .size:           8
        .value_kind:     by_value
      - .offset:         48
        .size:           8
        .value_kind:     by_value
      - .address_space:  global
        .offset:         56
        .size:           8
        .value_kind:     global_buffer
      - .offset:         64
        .size:           8
        .value_kind:     by_value
      - .offset:         72
        .size:           8
        .value_kind:     by_value
      - .offset:         80
        .size:           4
        .value_kind:     by_value
      - .address_space:  global
        .offset:         88
        .size:           8
        .value_kind:     global_buffer
      - .offset:         96
        .size:           8
        .value_kind:     by_value
      - .offset:         104
        .size:           8
        .value_kind:     by_value
      - .address_space:  global
        .offset:         112
        .size:           8
        .value_kind:     global_buffer
      - .offset:         120
        .size:           8
        .value_kind:     by_value
      - .offset:         128
        .size:           8
        .value_kind:     by_value
      - .offset:         136
        .size:           4
        .value_kind:     by_value
    .group_segment_fixed_size: 2048
    .kernarg_segment_align: 8
    .kernarg_segment_size: 140
    .language:       OpenCL C
    .language_version:
      - 2
      - 0
    .max_flat_workgroup_size: 256
    .name:           _ZN12_GLOBAL__N_135rocblas_gemm_batched_general_kernelIfLi16ELi16ELi32ELi32ELi8ELi32ELi8ELi8ELi32ELc84ELc84EKPK16rocblas_bfloat16S4_KPS1_EEvlllT_PT11_llS9_llS7_PT12_llPT13_lli
    .private_segment_fixed_size: 0
    .sgpr_count:     44
    .sgpr_spill_count: 0
    .symbol:         _ZN12_GLOBAL__N_135rocblas_gemm_batched_general_kernelIfLi16ELi16ELi32ELi32ELi8ELi32ELi8ELi8ELi32ELc84ELc84EKPK16rocblas_bfloat16S4_KPS1_EEvlllT_PT11_llS9_llS7_PT12_llPT13_lli.kd
    .uniform_work_group_size: 1
    .uses_dynamic_stack: false
    .vgpr_count:     56
    .vgpr_spill_count: 0
    .wavefront_size: 32
  - .args:
      - .offset:         0
        .size:           8
        .value_kind:     by_value
      - .offset:         8
        .size:           8
        .value_kind:     by_value
      - .offset:         16
        .size:           8
        .value_kind:     by_value
      - .offset:         24
        .size:           4
        .value_kind:     by_value
      - .address_space:  global
        .offset:         32
        .size:           8
        .value_kind:     global_buffer
      - .offset:         40
        .size:           8
        .value_kind:     by_value
      - .offset:         48
        .size:           8
        .value_kind:     by_value
      - .address_space:  global
        .offset:         56
        .size:           8
        .value_kind:     global_buffer
      - .offset:         64
        .size:           8
        .value_kind:     by_value
      - .offset:         72
        .size:           8
        .value_kind:     by_value
      - .offset:         80
        .size:           4
        .value_kind:     by_value
      - .address_space:  global
        .offset:         88
        .size:           8
        .value_kind:     global_buffer
      - .offset:         96
        .size:           8
        .value_kind:     by_value
      - .offset:         104
        .size:           8
        .value_kind:     by_value
      - .address_space:  global
        .offset:         112
        .size:           8
        .value_kind:     global_buffer
      - .offset:         120
        .size:           8
        .value_kind:     by_value
      - .offset:         128
        .size:           8
        .value_kind:     by_value
      - .offset:         136
        .size:           4
        .value_kind:     by_value
    .group_segment_fixed_size: 2048
    .kernarg_segment_align: 8
    .kernarg_segment_size: 140
    .language:       OpenCL C
    .language_version:
      - 2
      - 0
    .max_flat_workgroup_size: 256
    .name:           _ZN12_GLOBAL__N_135rocblas_gemm_batched_general_kernelIfLi16ELi16ELi32ELi32ELi8ELi32ELi8ELi8ELi32ELc67ELc67EKPK16rocblas_bfloat16S4_KPS1_EEvlllT_PT11_llS9_llS7_PT12_llPT13_lli
    .private_segment_fixed_size: 0
    .sgpr_count:     44
    .sgpr_spill_count: 0
    .symbol:         _ZN12_GLOBAL__N_135rocblas_gemm_batched_general_kernelIfLi16ELi16ELi32ELi32ELi8ELi32ELi8ELi8ELi32ELc67ELc67EKPK16rocblas_bfloat16S4_KPS1_EEvlllT_PT11_llS9_llS7_PT12_llPT13_lli.kd
    .uniform_work_group_size: 1
    .uses_dynamic_stack: false
    .vgpr_count:     56
    .vgpr_spill_count: 0
    .wavefront_size: 32
  - .args:
      - .offset:         0
        .size:           8
        .value_kind:     by_value
      - .offset:         8
        .size:           8
        .value_kind:     by_value
      - .offset:         16
        .size:           8
        .value_kind:     by_value
      - .offset:         24
        .size:           4
        .value_kind:     by_value
      - .address_space:  global
        .offset:         32
        .size:           8
        .value_kind:     global_buffer
      - .offset:         40
        .size:           8
        .value_kind:     by_value
      - .offset:         48
        .size:           8
        .value_kind:     by_value
      - .address_space:  global
        .offset:         56
        .size:           8
        .value_kind:     global_buffer
      - .offset:         64
        .size:           8
        .value_kind:     by_value
      - .offset:         72
        .size:           8
        .value_kind:     by_value
      - .offset:         80
        .size:           4
        .value_kind:     by_value
      - .address_space:  global
        .offset:         88
        .size:           8
        .value_kind:     global_buffer
      - .offset:         96
        .size:           8
        .value_kind:     by_value
      - .offset:         104
        .size:           8
        .value_kind:     by_value
      - .address_space:  global
        .offset:         112
        .size:           8
        .value_kind:     global_buffer
      - .offset:         120
        .size:           8
        .value_kind:     by_value
      - .offset:         128
        .size:           8
        .value_kind:     by_value
      - .offset:         136
        .size:           4
        .value_kind:     by_value
    .group_segment_fixed_size: 2048
    .kernarg_segment_align: 8
    .kernarg_segment_size: 140
    .language:       OpenCL C
    .language_version:
      - 2
      - 0
    .max_flat_workgroup_size: 256
    .name:           _ZN12_GLOBAL__N_135rocblas_gemm_batched_general_kernelIfLi16ELi16ELi32ELi32ELi8ELi32ELi8ELi8ELi32ELc67ELc78EKPK16rocblas_bfloat16S4_KPS1_EEvlllT_PT11_llS9_llS7_PT12_llPT13_lli
    .private_segment_fixed_size: 0
    .sgpr_count:     44
    .sgpr_spill_count: 0
    .symbol:         _ZN12_GLOBAL__N_135rocblas_gemm_batched_general_kernelIfLi16ELi16ELi32ELi32ELi8ELi32ELi8ELi8ELi32ELc67ELc78EKPK16rocblas_bfloat16S4_KPS1_EEvlllT_PT11_llS9_llS7_PT12_llPT13_lli.kd
    .uniform_work_group_size: 1
    .uses_dynamic_stack: false
    .vgpr_count:     56
    .vgpr_spill_count: 0
    .wavefront_size: 32
  - .args:
      - .offset:         0
        .size:           8
        .value_kind:     by_value
      - .offset:         8
        .size:           8
        .value_kind:     by_value
      - .offset:         16
        .size:           8
        .value_kind:     by_value
      - .offset:         24
        .size:           4
        .value_kind:     by_value
      - .address_space:  global
        .offset:         32
        .size:           8
        .value_kind:     global_buffer
      - .offset:         40
        .size:           8
        .value_kind:     by_value
      - .offset:         48
        .size:           8
        .value_kind:     by_value
      - .address_space:  global
        .offset:         56
        .size:           8
        .value_kind:     global_buffer
      - .offset:         64
        .size:           8
        .value_kind:     by_value
      - .offset:         72
        .size:           8
        .value_kind:     by_value
      - .offset:         80
        .size:           4
        .value_kind:     by_value
      - .address_space:  global
        .offset:         88
        .size:           8
        .value_kind:     global_buffer
      - .offset:         96
        .size:           8
        .value_kind:     by_value
      - .offset:         104
        .size:           8
        .value_kind:     by_value
      - .address_space:  global
        .offset:         112
        .size:           8
        .value_kind:     global_buffer
      - .offset:         120
        .size:           8
        .value_kind:     by_value
      - .offset:         128
        .size:           8
        .value_kind:     by_value
      - .offset:         136
        .size:           4
        .value_kind:     by_value
    .group_segment_fixed_size: 2048
    .kernarg_segment_align: 8
    .kernarg_segment_size: 140
    .language:       OpenCL C
    .language_version:
      - 2
      - 0
    .max_flat_workgroup_size: 256
    .name:           _ZN12_GLOBAL__N_135rocblas_gemm_batched_general_kernelIfLi16ELi16ELi32ELi32ELi8ELi32ELi8ELi8ELi32ELc67ELc84EKPK16rocblas_bfloat16S4_KPS1_EEvlllT_PT11_llS9_llS7_PT12_llPT13_lli
    .private_segment_fixed_size: 0
    .sgpr_count:     44
    .sgpr_spill_count: 0
    .symbol:         _ZN12_GLOBAL__N_135rocblas_gemm_batched_general_kernelIfLi16ELi16ELi32ELi32ELi8ELi32ELi8ELi8ELi32ELc67ELc84EKPK16rocblas_bfloat16S4_KPS1_EEvlllT_PT11_llS9_llS7_PT12_llPT13_lli.kd
    .uniform_work_group_size: 1
    .uses_dynamic_stack: false
    .vgpr_count:     56
    .vgpr_spill_count: 0
    .wavefront_size: 32
  - .args:
      - .offset:         0
        .size:           8
        .value_kind:     by_value
      - .offset:         8
        .size:           8
        .value_kind:     by_value
      - .offset:         16
        .size:           8
        .value_kind:     by_value
      - .offset:         24
        .size:           4
        .value_kind:     by_value
      - .address_space:  global
        .offset:         32
        .size:           8
        .value_kind:     global_buffer
      - .offset:         40
        .size:           8
        .value_kind:     by_value
      - .offset:         48
        .size:           8
        .value_kind:     by_value
      - .address_space:  global
        .offset:         56
        .size:           8
        .value_kind:     global_buffer
      - .offset:         64
        .size:           8
        .value_kind:     by_value
      - .offset:         72
        .size:           8
        .value_kind:     by_value
      - .offset:         80
        .size:           4
        .value_kind:     by_value
      - .address_space:  global
        .offset:         88
        .size:           8
        .value_kind:     global_buffer
      - .offset:         96
        .size:           8
        .value_kind:     by_value
      - .offset:         104
        .size:           8
        .value_kind:     by_value
      - .address_space:  global
        .offset:         112
        .size:           8
        .value_kind:     global_buffer
      - .offset:         120
        .size:           8
        .value_kind:     by_value
      - .offset:         128
        .size:           8
        .value_kind:     by_value
      - .offset:         136
        .size:           4
        .value_kind:     by_value
    .group_segment_fixed_size: 2048
    .kernarg_segment_align: 8
    .kernarg_segment_size: 140
    .language:       OpenCL C
    .language_version:
      - 2
      - 0
    .max_flat_workgroup_size: 256
    .name:           _ZN12_GLOBAL__N_135rocblas_gemm_batched_general_kernelIfLi16ELi16ELi32ELi32ELi8ELi32ELi8ELi8ELi32ELc78ELc67EKPK16rocblas_bfloat16S4_KPS1_EEvlllT_PT11_llS9_llS7_PT12_llPT13_lli
    .private_segment_fixed_size: 0
    .sgpr_count:     48
    .sgpr_spill_count: 0
    .symbol:         _ZN12_GLOBAL__N_135rocblas_gemm_batched_general_kernelIfLi16ELi16ELi32ELi32ELi8ELi32ELi8ELi8ELi32ELc78ELc67EKPK16rocblas_bfloat16S4_KPS1_EEvlllT_PT11_llS9_llS7_PT12_llPT13_lli.kd
    .uniform_work_group_size: 1
    .uses_dynamic_stack: false
    .vgpr_count:     56
    .vgpr_spill_count: 0
    .wavefront_size: 32
  - .args:
      - .offset:         0
        .size:           8
        .value_kind:     by_value
      - .offset:         8
        .size:           8
        .value_kind:     by_value
      - .offset:         16
        .size:           8
        .value_kind:     by_value
      - .offset:         24
        .size:           4
        .value_kind:     by_value
      - .address_space:  global
        .offset:         32
        .size:           8
        .value_kind:     global_buffer
      - .offset:         40
        .size:           8
        .value_kind:     by_value
      - .offset:         48
        .size:           8
        .value_kind:     by_value
      - .address_space:  global
        .offset:         56
        .size:           8
        .value_kind:     global_buffer
      - .offset:         64
        .size:           8
        .value_kind:     by_value
      - .offset:         72
        .size:           8
        .value_kind:     by_value
      - .offset:         80
        .size:           4
        .value_kind:     by_value
      - .address_space:  global
        .offset:         88
        .size:           8
        .value_kind:     global_buffer
      - .offset:         96
        .size:           8
        .value_kind:     by_value
      - .offset:         104
        .size:           8
        .value_kind:     by_value
      - .address_space:  global
        .offset:         112
        .size:           8
        .value_kind:     global_buffer
      - .offset:         120
        .size:           8
        .value_kind:     by_value
      - .offset:         128
        .size:           8
        .value_kind:     by_value
      - .offset:         136
        .size:           4
        .value_kind:     by_value
    .group_segment_fixed_size: 2048
    .kernarg_segment_align: 8
    .kernarg_segment_size: 140
    .language:       OpenCL C
    .language_version:
      - 2
      - 0
    .max_flat_workgroup_size: 256
    .name:           _ZN12_GLOBAL__N_135rocblas_gemm_batched_general_kernelIfLi16ELi16ELi32ELi32ELi8ELi32ELi8ELi8ELi32ELc84ELc67EKPK16rocblas_bfloat16S4_KPS1_EEvlllT_PT11_llS9_llS7_PT12_llPT13_lli
    .private_segment_fixed_size: 0
    .sgpr_count:     44
    .sgpr_spill_count: 0
    .symbol:         _ZN12_GLOBAL__N_135rocblas_gemm_batched_general_kernelIfLi16ELi16ELi32ELi32ELi8ELi32ELi8ELi8ELi32ELc84ELc67EKPK16rocblas_bfloat16S4_KPS1_EEvlllT_PT11_llS9_llS7_PT12_llPT13_lli.kd
    .uniform_work_group_size: 1
    .uses_dynamic_stack: false
    .vgpr_count:     56
    .vgpr_spill_count: 0
    .wavefront_size: 32
  - .args:
      - .offset:         0
        .size:           8
        .value_kind:     by_value
      - .offset:         8
        .size:           8
        .value_kind:     by_value
      - .offset:         16
        .size:           8
        .value_kind:     by_value
      - .offset:         24
        .size:           4
        .value_kind:     by_value
      - .address_space:  global
        .offset:         32
        .size:           8
        .value_kind:     global_buffer
      - .offset:         40
        .size:           8
        .value_kind:     by_value
      - .offset:         48
        .size:           8
        .value_kind:     by_value
      - .address_space:  global
        .offset:         56
        .size:           8
        .value_kind:     global_buffer
      - .offset:         64
        .size:           8
        .value_kind:     by_value
      - .offset:         72
        .size:           8
        .value_kind:     by_value
      - .offset:         80
        .size:           4
        .value_kind:     by_value
      - .address_space:  global
        .offset:         88
        .size:           8
        .value_kind:     global_buffer
      - .offset:         96
        .size:           8
        .value_kind:     by_value
      - .offset:         104
        .size:           8
        .value_kind:     by_value
      - .address_space:  global
        .offset:         112
        .size:           8
        .value_kind:     global_buffer
      - .offset:         120
        .size:           8
        .value_kind:     by_value
      - .offset:         128
        .size:           8
        .value_kind:     by_value
      - .offset:         136
        .size:           4
        .value_kind:     by_value
    .group_segment_fixed_size: 2048
    .kernarg_segment_align: 8
    .kernarg_segment_size: 140
    .language:       OpenCL C
    .language_version:
      - 2
      - 0
    .max_flat_workgroup_size: 256
    .name:           _ZN12_GLOBAL__N_127rocblas_gemm_batched_kernelIfLi16ELi16ELi64ELi64ELi4ELi64ELi4ELi4ELi64ELc78ELc78EKPK16rocblas_bfloat16KPKfKPfEEvlllT_PT11_llSC_llSA_PT12_llPT13_lli
    .private_segment_fixed_size: 0
    .sgpr_count:     40
    .sgpr_spill_count: 0
    .symbol:         _ZN12_GLOBAL__N_127rocblas_gemm_batched_kernelIfLi16ELi16ELi64ELi64ELi4ELi64ELi4ELi4ELi64ELc78ELc78EKPK16rocblas_bfloat16KPKfKPfEEvlllT_PT11_llSC_llSA_PT12_llPT13_lli.kd
    .uniform_work_group_size: 1
    .uses_dynamic_stack: false
    .vgpr_count:     78
    .vgpr_spill_count: 0
    .wavefront_size: 32
  - .args:
      - .offset:         0
        .size:           8
        .value_kind:     by_value
      - .offset:         8
        .size:           8
        .value_kind:     by_value
      - .offset:         16
        .size:           8
        .value_kind:     by_value
      - .offset:         24
        .size:           4
        .value_kind:     by_value
      - .address_space:  global
        .offset:         32
        .size:           8
        .value_kind:     global_buffer
      - .offset:         40
        .size:           8
        .value_kind:     by_value
      - .offset:         48
        .size:           8
        .value_kind:     by_value
      - .address_space:  global
        .offset:         56
        .size:           8
        .value_kind:     global_buffer
      - .offset:         64
        .size:           8
        .value_kind:     by_value
      - .offset:         72
        .size:           8
        .value_kind:     by_value
      - .offset:         80
        .size:           4
        .value_kind:     by_value
      - .address_space:  global
        .offset:         88
        .size:           8
        .value_kind:     global_buffer
      - .offset:         96
        .size:           8
        .value_kind:     by_value
      - .offset:         104
        .size:           8
        .value_kind:     by_value
      - .address_space:  global
        .offset:         112
        .size:           8
        .value_kind:     global_buffer
      - .offset:         120
        .size:           8
        .value_kind:     by_value
      - .offset:         128
        .size:           8
        .value_kind:     by_value
      - .offset:         136
        .size:           4
        .value_kind:     by_value
    .group_segment_fixed_size: 2048
    .kernarg_segment_align: 8
    .kernarg_segment_size: 140
    .language:       OpenCL C
    .language_version:
      - 2
      - 0
    .max_flat_workgroup_size: 256
    .name:           _ZN12_GLOBAL__N_127rocblas_gemm_batched_kernelIfLi16ELi16ELi64ELi64ELi4ELi64ELi4ELi4ELi64ELc84ELc78EKPK16rocblas_bfloat16KPKfKPfEEvlllT_PT11_llSC_llSA_PT12_llPT13_lli
    .private_segment_fixed_size: 0
    .sgpr_count:     38
    .sgpr_spill_count: 0
    .symbol:         _ZN12_GLOBAL__N_127rocblas_gemm_batched_kernelIfLi16ELi16ELi64ELi64ELi4ELi64ELi4ELi4ELi64ELc84ELc78EKPK16rocblas_bfloat16KPKfKPfEEvlllT_PT11_llSC_llSA_PT12_llPT13_lli.kd
    .uniform_work_group_size: 1
    .uses_dynamic_stack: false
    .vgpr_count:     78
    .vgpr_spill_count: 0
    .wavefront_size: 32
  - .args:
      - .offset:         0
        .size:           8
        .value_kind:     by_value
      - .offset:         8
        .size:           8
        .value_kind:     by_value
      - .offset:         16
        .size:           8
        .value_kind:     by_value
      - .offset:         24
        .size:           4
        .value_kind:     by_value
      - .address_space:  global
        .offset:         32
        .size:           8
        .value_kind:     global_buffer
      - .offset:         40
        .size:           8
        .value_kind:     by_value
      - .offset:         48
        .size:           8
        .value_kind:     by_value
      - .address_space:  global
        .offset:         56
        .size:           8
        .value_kind:     global_buffer
      - .offset:         64
        .size:           8
        .value_kind:     by_value
      - .offset:         72
        .size:           8
        .value_kind:     by_value
      - .offset:         80
        .size:           4
        .value_kind:     by_value
      - .address_space:  global
        .offset:         88
        .size:           8
        .value_kind:     global_buffer
      - .offset:         96
        .size:           8
        .value_kind:     by_value
      - .offset:         104
        .size:           8
        .value_kind:     by_value
      - .address_space:  global
        .offset:         112
        .size:           8
        .value_kind:     global_buffer
      - .offset:         120
        .size:           8
        .value_kind:     by_value
      - .offset:         128
        .size:           8
        .value_kind:     by_value
      - .offset:         136
        .size:           4
        .value_kind:     by_value
    .group_segment_fixed_size: 2048
    .kernarg_segment_align: 8
    .kernarg_segment_size: 140
    .language:       OpenCL C
    .language_version:
      - 2
      - 0
    .max_flat_workgroup_size: 256
    .name:           _ZN12_GLOBAL__N_127rocblas_gemm_batched_kernelIfLi16ELi16ELi64ELi64ELi4ELi64ELi4ELi4ELi64ELc78ELc84EKPK16rocblas_bfloat16KPKfKPfEEvlllT_PT11_llSC_llSA_PT12_llPT13_lli
    .private_segment_fixed_size: 0
    .sgpr_count:     40
    .sgpr_spill_count: 0
    .symbol:         _ZN12_GLOBAL__N_127rocblas_gemm_batched_kernelIfLi16ELi16ELi64ELi64ELi4ELi64ELi4ELi4ELi64ELc78ELc84EKPK16rocblas_bfloat16KPKfKPfEEvlllT_PT11_llSC_llSA_PT12_llPT13_lli.kd
    .uniform_work_group_size: 1
    .uses_dynamic_stack: false
    .vgpr_count:     80
    .vgpr_spill_count: 0
    .wavefront_size: 32
  - .args:
      - .offset:         0
        .size:           8
        .value_kind:     by_value
      - .offset:         8
        .size:           8
        .value_kind:     by_value
      - .offset:         16
        .size:           8
        .value_kind:     by_value
      - .offset:         24
        .size:           4
        .value_kind:     by_value
      - .address_space:  global
        .offset:         32
        .size:           8
        .value_kind:     global_buffer
      - .offset:         40
        .size:           8
        .value_kind:     by_value
      - .offset:         48
        .size:           8
        .value_kind:     by_value
      - .address_space:  global
        .offset:         56
        .size:           8
        .value_kind:     global_buffer
      - .offset:         64
        .size:           8
        .value_kind:     by_value
      - .offset:         72
        .size:           8
        .value_kind:     by_value
      - .offset:         80
        .size:           4
        .value_kind:     by_value
      - .address_space:  global
        .offset:         88
        .size:           8
        .value_kind:     global_buffer
      - .offset:         96
        .size:           8
        .value_kind:     by_value
      - .offset:         104
        .size:           8
        .value_kind:     by_value
      - .address_space:  global
        .offset:         112
        .size:           8
        .value_kind:     global_buffer
      - .offset:         120
        .size:           8
        .value_kind:     by_value
      - .offset:         128
        .size:           8
        .value_kind:     by_value
      - .offset:         136
        .size:           4
        .value_kind:     by_value
    .group_segment_fixed_size: 2048
    .kernarg_segment_align: 8
    .kernarg_segment_size: 140
    .language:       OpenCL C
    .language_version:
      - 2
      - 0
    .max_flat_workgroup_size: 256
    .name:           _ZN12_GLOBAL__N_127rocblas_gemm_batched_kernelIfLi16ELi16ELi64ELi64ELi4ELi64ELi4ELi4ELi64ELc84ELc84EKPK16rocblas_bfloat16KPKfKPfEEvlllT_PT11_llSC_llSA_PT12_llPT13_lli
    .private_segment_fixed_size: 0
    .sgpr_count:     38
    .sgpr_spill_count: 0
    .symbol:         _ZN12_GLOBAL__N_127rocblas_gemm_batched_kernelIfLi16ELi16ELi64ELi64ELi4ELi64ELi4ELi4ELi64ELc84ELc84EKPK16rocblas_bfloat16KPKfKPfEEvlllT_PT11_llSC_llSA_PT12_llPT13_lli.kd
    .uniform_work_group_size: 1
    .uses_dynamic_stack: false
    .vgpr_count:     78
    .vgpr_spill_count: 0
    .wavefront_size: 32
  - .args:
      - .offset:         0
        .size:           8
        .value_kind:     by_value
      - .offset:         8
        .size:           8
        .value_kind:     by_value
      - .offset:         16
        .size:           8
        .value_kind:     by_value
      - .offset:         24
        .size:           4
        .value_kind:     by_value
      - .address_space:  global
        .offset:         32
        .size:           8
        .value_kind:     global_buffer
      - .offset:         40
        .size:           8
        .value_kind:     by_value
      - .offset:         48
        .size:           8
        .value_kind:     by_value
      - .address_space:  global
        .offset:         56
        .size:           8
        .value_kind:     global_buffer
      - .offset:         64
        .size:           8
        .value_kind:     by_value
      - .offset:         72
        .size:           8
        .value_kind:     by_value
      - .offset:         80
        .size:           4
        .value_kind:     by_value
      - .address_space:  global
        .offset:         88
        .size:           8
        .value_kind:     global_buffer
      - .offset:         96
        .size:           8
        .value_kind:     by_value
      - .offset:         104
        .size:           8
        .value_kind:     by_value
      - .address_space:  global
        .offset:         112
        .size:           8
        .value_kind:     global_buffer
      - .offset:         120
        .size:           8
        .value_kind:     by_value
      - .offset:         128
        .size:           8
        .value_kind:     by_value
      - .offset:         136
        .size:           4
        .value_kind:     by_value
    .group_segment_fixed_size: 2048
    .kernarg_segment_align: 8
    .kernarg_segment_size: 140
    .language:       OpenCL C
    .language_version:
      - 2
      - 0
    .max_flat_workgroup_size: 256
    .name:           _ZN12_GLOBAL__N_127rocblas_gemm_batched_kernelIfLi16ELi16ELi64ELi64ELi4ELi64ELi4ELi4ELi64ELc67ELc67EKPK16rocblas_bfloat16KPKfKPfEEvlllT_PT11_llSC_llSA_PT12_llPT13_lli
    .private_segment_fixed_size: 0
    .sgpr_count:     38
    .sgpr_spill_count: 0
    .symbol:         _ZN12_GLOBAL__N_127rocblas_gemm_batched_kernelIfLi16ELi16ELi64ELi64ELi4ELi64ELi4ELi4ELi64ELc67ELc67EKPK16rocblas_bfloat16KPKfKPfEEvlllT_PT11_llSC_llSA_PT12_llPT13_lli.kd
    .uniform_work_group_size: 1
    .uses_dynamic_stack: false
    .vgpr_count:     78
    .vgpr_spill_count: 0
    .wavefront_size: 32
  - .args:
      - .offset:         0
        .size:           8
        .value_kind:     by_value
      - .offset:         8
        .size:           8
        .value_kind:     by_value
      - .offset:         16
        .size:           8
        .value_kind:     by_value
      - .offset:         24
        .size:           4
        .value_kind:     by_value
      - .address_space:  global
        .offset:         32
        .size:           8
        .value_kind:     global_buffer
      - .offset:         40
        .size:           8
        .value_kind:     by_value
      - .offset:         48
        .size:           8
        .value_kind:     by_value
      - .address_space:  global
        .offset:         56
        .size:           8
        .value_kind:     global_buffer
      - .offset:         64
        .size:           8
        .value_kind:     by_value
      - .offset:         72
        .size:           8
        .value_kind:     by_value
      - .offset:         80
        .size:           4
        .value_kind:     by_value
      - .address_space:  global
        .offset:         88
        .size:           8
        .value_kind:     global_buffer
      - .offset:         96
        .size:           8
        .value_kind:     by_value
      - .offset:         104
        .size:           8
        .value_kind:     by_value
      - .address_space:  global
        .offset:         112
        .size:           8
        .value_kind:     global_buffer
      - .offset:         120
        .size:           8
        .value_kind:     by_value
      - .offset:         128
        .size:           8
        .value_kind:     by_value
      - .offset:         136
        .size:           4
        .value_kind:     by_value
    .group_segment_fixed_size: 2048
    .kernarg_segment_align: 8
    .kernarg_segment_size: 140
    .language:       OpenCL C
    .language_version:
      - 2
      - 0
    .max_flat_workgroup_size: 256
    .name:           _ZN12_GLOBAL__N_127rocblas_gemm_batched_kernelIfLi16ELi16ELi64ELi64ELi4ELi64ELi4ELi4ELi64ELc67ELc78EKPK16rocblas_bfloat16KPKfKPfEEvlllT_PT11_llSC_llSA_PT12_llPT13_lli
    .private_segment_fixed_size: 0
    .sgpr_count:     38
    .sgpr_spill_count: 0
    .symbol:         _ZN12_GLOBAL__N_127rocblas_gemm_batched_kernelIfLi16ELi16ELi64ELi64ELi4ELi64ELi4ELi4ELi64ELc67ELc78EKPK16rocblas_bfloat16KPKfKPfEEvlllT_PT11_llSC_llSA_PT12_llPT13_lli.kd
    .uniform_work_group_size: 1
    .uses_dynamic_stack: false
    .vgpr_count:     78
    .vgpr_spill_count: 0
    .wavefront_size: 32
  - .args:
      - .offset:         0
        .size:           8
        .value_kind:     by_value
      - .offset:         8
        .size:           8
        .value_kind:     by_value
      - .offset:         16
        .size:           8
        .value_kind:     by_value
      - .offset:         24
        .size:           4
        .value_kind:     by_value
      - .address_space:  global
        .offset:         32
        .size:           8
        .value_kind:     global_buffer
      - .offset:         40
        .size:           8
        .value_kind:     by_value
      - .offset:         48
        .size:           8
        .value_kind:     by_value
      - .address_space:  global
        .offset:         56
        .size:           8
        .value_kind:     global_buffer
      - .offset:         64
        .size:           8
        .value_kind:     by_value
      - .offset:         72
        .size:           8
        .value_kind:     by_value
      - .offset:         80
        .size:           4
        .value_kind:     by_value
      - .address_space:  global
        .offset:         88
        .size:           8
        .value_kind:     global_buffer
      - .offset:         96
        .size:           8
        .value_kind:     by_value
      - .offset:         104
        .size:           8
        .value_kind:     by_value
      - .address_space:  global
        .offset:         112
        .size:           8
        .value_kind:     global_buffer
      - .offset:         120
        .size:           8
        .value_kind:     by_value
      - .offset:         128
        .size:           8
        .value_kind:     by_value
      - .offset:         136
        .size:           4
        .value_kind:     by_value
    .group_segment_fixed_size: 2048
    .kernarg_segment_align: 8
    .kernarg_segment_size: 140
    .language:       OpenCL C
    .language_version:
      - 2
      - 0
    .max_flat_workgroup_size: 256
    .name:           _ZN12_GLOBAL__N_127rocblas_gemm_batched_kernelIfLi16ELi16ELi64ELi64ELi4ELi64ELi4ELi4ELi64ELc67ELc84EKPK16rocblas_bfloat16KPKfKPfEEvlllT_PT11_llSC_llSA_PT12_llPT13_lli
    .private_segment_fixed_size: 0
    .sgpr_count:     38
    .sgpr_spill_count: 0
    .symbol:         _ZN12_GLOBAL__N_127rocblas_gemm_batched_kernelIfLi16ELi16ELi64ELi64ELi4ELi64ELi4ELi4ELi64ELc67ELc84EKPK16rocblas_bfloat16KPKfKPfEEvlllT_PT11_llSC_llSA_PT12_llPT13_lli.kd
    .uniform_work_group_size: 1
    .uses_dynamic_stack: false
    .vgpr_count:     78
    .vgpr_spill_count: 0
    .wavefront_size: 32
  - .args:
      - .offset:         0
        .size:           8
        .value_kind:     by_value
      - .offset:         8
        .size:           8
        .value_kind:     by_value
      - .offset:         16
        .size:           8
        .value_kind:     by_value
      - .offset:         24
        .size:           4
        .value_kind:     by_value
      - .address_space:  global
        .offset:         32
        .size:           8
        .value_kind:     global_buffer
      - .offset:         40
        .size:           8
        .value_kind:     by_value
      - .offset:         48
        .size:           8
        .value_kind:     by_value
      - .address_space:  global
        .offset:         56
        .size:           8
        .value_kind:     global_buffer
      - .offset:         64
        .size:           8
        .value_kind:     by_value
      - .offset:         72
        .size:           8
        .value_kind:     by_value
      - .offset:         80
        .size:           4
        .value_kind:     by_value
      - .address_space:  global
        .offset:         88
        .size:           8
        .value_kind:     global_buffer
      - .offset:         96
        .size:           8
        .value_kind:     by_value
      - .offset:         104
        .size:           8
        .value_kind:     by_value
      - .address_space:  global
        .offset:         112
        .size:           8
        .value_kind:     global_buffer
      - .offset:         120
        .size:           8
        .value_kind:     by_value
      - .offset:         128
        .size:           8
        .value_kind:     by_value
      - .offset:         136
        .size:           4
        .value_kind:     by_value
    .group_segment_fixed_size: 2048
    .kernarg_segment_align: 8
    .kernarg_segment_size: 140
    .language:       OpenCL C
    .language_version:
      - 2
      - 0
    .max_flat_workgroup_size: 256
    .name:           _ZN12_GLOBAL__N_127rocblas_gemm_batched_kernelIfLi16ELi16ELi64ELi64ELi4ELi64ELi4ELi4ELi64ELc78ELc67EKPK16rocblas_bfloat16KPKfKPfEEvlllT_PT11_llSC_llSA_PT12_llPT13_lli
    .private_segment_fixed_size: 0
    .sgpr_count:     40
    .sgpr_spill_count: 0
    .symbol:         _ZN12_GLOBAL__N_127rocblas_gemm_batched_kernelIfLi16ELi16ELi64ELi64ELi4ELi64ELi4ELi4ELi64ELc78ELc67EKPK16rocblas_bfloat16KPKfKPfEEvlllT_PT11_llSC_llSA_PT12_llPT13_lli.kd
    .uniform_work_group_size: 1
    .uses_dynamic_stack: false
    .vgpr_count:     80
    .vgpr_spill_count: 0
    .wavefront_size: 32
  - .args:
      - .offset:         0
        .size:           8
        .value_kind:     by_value
      - .offset:         8
        .size:           8
        .value_kind:     by_value
      - .offset:         16
        .size:           8
        .value_kind:     by_value
      - .offset:         24
        .size:           4
        .value_kind:     by_value
      - .address_space:  global
        .offset:         32
        .size:           8
        .value_kind:     global_buffer
      - .offset:         40
        .size:           8
        .value_kind:     by_value
      - .offset:         48
        .size:           8
        .value_kind:     by_value
      - .address_space:  global
        .offset:         56
        .size:           8
        .value_kind:     global_buffer
      - .offset:         64
        .size:           8
        .value_kind:     by_value
      - .offset:         72
        .size:           8
        .value_kind:     by_value
      - .offset:         80
        .size:           4
        .value_kind:     by_value
      - .address_space:  global
        .offset:         88
        .size:           8
        .value_kind:     global_buffer
      - .offset:         96
        .size:           8
        .value_kind:     by_value
      - .offset:         104
        .size:           8
        .value_kind:     by_value
      - .address_space:  global
        .offset:         112
        .size:           8
        .value_kind:     global_buffer
      - .offset:         120
        .size:           8
        .value_kind:     by_value
      - .offset:         128
        .size:           8
        .value_kind:     by_value
      - .offset:         136
        .size:           4
        .value_kind:     by_value
    .group_segment_fixed_size: 2048
    .kernarg_segment_align: 8
    .kernarg_segment_size: 140
    .language:       OpenCL C
    .language_version:
      - 2
      - 0
    .max_flat_workgroup_size: 256
    .name:           _ZN12_GLOBAL__N_127rocblas_gemm_batched_kernelIfLi16ELi16ELi64ELi64ELi4ELi64ELi4ELi4ELi64ELc84ELc67EKPK16rocblas_bfloat16KPKfKPfEEvlllT_PT11_llSC_llSA_PT12_llPT13_lli
    .private_segment_fixed_size: 0
    .sgpr_count:     38
    .sgpr_spill_count: 0
    .symbol:         _ZN12_GLOBAL__N_127rocblas_gemm_batched_kernelIfLi16ELi16ELi64ELi64ELi4ELi64ELi4ELi4ELi64ELc84ELc67EKPK16rocblas_bfloat16KPKfKPfEEvlllT_PT11_llSC_llSA_PT12_llPT13_lli.kd
    .uniform_work_group_size: 1
    .uses_dynamic_stack: false
    .vgpr_count:     78
    .vgpr_spill_count: 0
    .wavefront_size: 32
  - .args:
      - .offset:         0
        .size:           8
        .value_kind:     by_value
      - .offset:         8
        .size:           8
        .value_kind:     by_value
      - .offset:         16
        .size:           8
        .value_kind:     by_value
      - .offset:         24
        .size:           4
        .value_kind:     by_value
      - .address_space:  global
        .offset:         32
        .size:           8
        .value_kind:     global_buffer
      - .offset:         40
        .size:           8
        .value_kind:     by_value
      - .offset:         48
        .size:           8
        .value_kind:     by_value
      - .address_space:  global
        .offset:         56
        .size:           8
        .value_kind:     global_buffer
      - .offset:         64
        .size:           8
        .value_kind:     by_value
      - .offset:         72
        .size:           8
        .value_kind:     by_value
      - .offset:         80
        .size:           4
        .value_kind:     by_value
      - .address_space:  global
        .offset:         88
        .size:           8
        .value_kind:     global_buffer
      - .offset:         96
        .size:           8
        .value_kind:     by_value
      - .offset:         104
        .size:           8
        .value_kind:     by_value
      - .address_space:  global
        .offset:         112
        .size:           8
        .value_kind:     global_buffer
      - .offset:         120
        .size:           8
        .value_kind:     by_value
      - .offset:         128
        .size:           8
        .value_kind:     by_value
      - .offset:         136
        .size:           4
        .value_kind:     by_value
    .group_segment_fixed_size: 2048
    .kernarg_segment_align: 8
    .kernarg_segment_size: 140
    .language:       OpenCL C
    .language_version:
      - 2
      - 0
    .max_flat_workgroup_size: 256
    .name:           _ZN12_GLOBAL__N_127rocblas_gemm_batched_kernelIfLi16ELi16ELi32ELi32ELi8ELi32ELi8ELi8ELi32ELc78ELc78EKPK16rocblas_bfloat16KPKfKPfEEvlllT_PT11_llSC_llSA_PT12_llPT13_lli
    .private_segment_fixed_size: 0
    .sgpr_count:     38
    .sgpr_spill_count: 0
    .symbol:         _ZN12_GLOBAL__N_127rocblas_gemm_batched_kernelIfLi16ELi16ELi32ELi32ELi8ELi32ELi8ELi8ELi32ELc78ELc78EKPK16rocblas_bfloat16KPKfKPfEEvlllT_PT11_llSC_llSA_PT12_llPT13_lli.kd
    .uniform_work_group_size: 1
    .uses_dynamic_stack: false
    .vgpr_count:     62
    .vgpr_spill_count: 0
    .wavefront_size: 32
  - .args:
      - .offset:         0
        .size:           8
        .value_kind:     by_value
      - .offset:         8
        .size:           8
        .value_kind:     by_value
      - .offset:         16
        .size:           8
        .value_kind:     by_value
      - .offset:         24
        .size:           4
        .value_kind:     by_value
      - .address_space:  global
        .offset:         32
        .size:           8
        .value_kind:     global_buffer
      - .offset:         40
        .size:           8
        .value_kind:     by_value
      - .offset:         48
        .size:           8
        .value_kind:     by_value
      - .address_space:  global
        .offset:         56
        .size:           8
        .value_kind:     global_buffer
      - .offset:         64
        .size:           8
        .value_kind:     by_value
      - .offset:         72
        .size:           8
        .value_kind:     by_value
      - .offset:         80
        .size:           4
        .value_kind:     by_value
      - .address_space:  global
        .offset:         88
        .size:           8
        .value_kind:     global_buffer
      - .offset:         96
        .size:           8
        .value_kind:     by_value
      - .offset:         104
        .size:           8
        .value_kind:     by_value
      - .address_space:  global
        .offset:         112
        .size:           8
        .value_kind:     global_buffer
      - .offset:         120
        .size:           8
        .value_kind:     by_value
      - .offset:         128
        .size:           8
        .value_kind:     by_value
      - .offset:         136
        .size:           4
        .value_kind:     by_value
    .group_segment_fixed_size: 2048
    .kernarg_segment_align: 8
    .kernarg_segment_size: 140
    .language:       OpenCL C
    .language_version:
      - 2
      - 0
    .max_flat_workgroup_size: 256
    .name:           _ZN12_GLOBAL__N_127rocblas_gemm_batched_kernelIfLi16ELi16ELi32ELi32ELi8ELi32ELi8ELi8ELi32ELc84ELc78EKPK16rocblas_bfloat16KPKfKPfEEvlllT_PT11_llSC_llSA_PT12_llPT13_lli
    .private_segment_fixed_size: 0
    .sgpr_count:     38
    .sgpr_spill_count: 0
    .symbol:         _ZN12_GLOBAL__N_127rocblas_gemm_batched_kernelIfLi16ELi16ELi32ELi32ELi8ELi32ELi8ELi8ELi32ELc84ELc78EKPK16rocblas_bfloat16KPKfKPfEEvlllT_PT11_llSC_llSA_PT12_llPT13_lli.kd
    .uniform_work_group_size: 1
    .uses_dynamic_stack: false
    .vgpr_count:     62
    .vgpr_spill_count: 0
    .wavefront_size: 32
  - .args:
      - .offset:         0
        .size:           8
        .value_kind:     by_value
      - .offset:         8
        .size:           8
        .value_kind:     by_value
      - .offset:         16
        .size:           8
        .value_kind:     by_value
      - .offset:         24
        .size:           4
        .value_kind:     by_value
      - .address_space:  global
        .offset:         32
        .size:           8
        .value_kind:     global_buffer
      - .offset:         40
        .size:           8
        .value_kind:     by_value
      - .offset:         48
        .size:           8
        .value_kind:     by_value
      - .address_space:  global
        .offset:         56
        .size:           8
        .value_kind:     global_buffer
      - .offset:         64
        .size:           8
        .value_kind:     by_value
      - .offset:         72
        .size:           8
        .value_kind:     by_value
      - .offset:         80
        .size:           4
        .value_kind:     by_value
      - .address_space:  global
        .offset:         88
        .size:           8
        .value_kind:     global_buffer
      - .offset:         96
        .size:           8
        .value_kind:     by_value
      - .offset:         104
        .size:           8
        .value_kind:     by_value
      - .address_space:  global
        .offset:         112
        .size:           8
        .value_kind:     global_buffer
      - .offset:         120
        .size:           8
        .value_kind:     by_value
      - .offset:         128
        .size:           8
        .value_kind:     by_value
      - .offset:         136
        .size:           4
        .value_kind:     by_value
    .group_segment_fixed_size: 2048
    .kernarg_segment_align: 8
    .kernarg_segment_size: 140
    .language:       OpenCL C
    .language_version:
      - 2
      - 0
    .max_flat_workgroup_size: 256
    .name:           _ZN12_GLOBAL__N_127rocblas_gemm_batched_kernelIfLi16ELi16ELi32ELi32ELi8ELi32ELi8ELi8ELi32ELc78ELc84EKPK16rocblas_bfloat16KPKfKPfEEvlllT_PT11_llSC_llSA_PT12_llPT13_lli
    .private_segment_fixed_size: 0
    .sgpr_count:     40
    .sgpr_spill_count: 0
    .symbol:         _ZN12_GLOBAL__N_127rocblas_gemm_batched_kernelIfLi16ELi16ELi32ELi32ELi8ELi32ELi8ELi8ELi32ELc78ELc84EKPK16rocblas_bfloat16KPKfKPfEEvlllT_PT11_llSC_llSA_PT12_llPT13_lli.kd
    .uniform_work_group_size: 1
    .uses_dynamic_stack: false
    .vgpr_count:     62
    .vgpr_spill_count: 0
    .wavefront_size: 32
  - .args:
      - .offset:         0
        .size:           8
        .value_kind:     by_value
      - .offset:         8
        .size:           8
        .value_kind:     by_value
      - .offset:         16
        .size:           8
        .value_kind:     by_value
      - .offset:         24
        .size:           4
        .value_kind:     by_value
      - .address_space:  global
        .offset:         32
        .size:           8
        .value_kind:     global_buffer
      - .offset:         40
        .size:           8
        .value_kind:     by_value
      - .offset:         48
        .size:           8
        .value_kind:     by_value
      - .address_space:  global
        .offset:         56
        .size:           8
        .value_kind:     global_buffer
      - .offset:         64
        .size:           8
        .value_kind:     by_value
      - .offset:         72
        .size:           8
        .value_kind:     by_value
      - .offset:         80
        .size:           4
        .value_kind:     by_value
      - .address_space:  global
        .offset:         88
        .size:           8
        .value_kind:     global_buffer
      - .offset:         96
        .size:           8
        .value_kind:     by_value
      - .offset:         104
        .size:           8
        .value_kind:     by_value
      - .address_space:  global
        .offset:         112
        .size:           8
        .value_kind:     global_buffer
      - .offset:         120
        .size:           8
        .value_kind:     by_value
      - .offset:         128
        .size:           8
        .value_kind:     by_value
      - .offset:         136
        .size:           4
        .value_kind:     by_value
    .group_segment_fixed_size: 2048
    .kernarg_segment_align: 8
    .kernarg_segment_size: 140
    .language:       OpenCL C
    .language_version:
      - 2
      - 0
    .max_flat_workgroup_size: 256
    .name:           _ZN12_GLOBAL__N_127rocblas_gemm_batched_kernelIfLi16ELi16ELi32ELi32ELi8ELi32ELi8ELi8ELi32ELc84ELc84EKPK16rocblas_bfloat16KPKfKPfEEvlllT_PT11_llSC_llSA_PT12_llPT13_lli
    .private_segment_fixed_size: 0
    .sgpr_count:     38
    .sgpr_spill_count: 0
    .symbol:         _ZN12_GLOBAL__N_127rocblas_gemm_batched_kernelIfLi16ELi16ELi32ELi32ELi8ELi32ELi8ELi8ELi32ELc84ELc84EKPK16rocblas_bfloat16KPKfKPfEEvlllT_PT11_llSC_llSA_PT12_llPT13_lli.kd
    .uniform_work_group_size: 1
    .uses_dynamic_stack: false
    .vgpr_count:     62
    .vgpr_spill_count: 0
    .wavefront_size: 32
  - .args:
      - .offset:         0
        .size:           8
        .value_kind:     by_value
      - .offset:         8
        .size:           8
        .value_kind:     by_value
      - .offset:         16
        .size:           8
        .value_kind:     by_value
      - .offset:         24
        .size:           4
        .value_kind:     by_value
      - .address_space:  global
        .offset:         32
        .size:           8
        .value_kind:     global_buffer
      - .offset:         40
        .size:           8
        .value_kind:     by_value
      - .offset:         48
        .size:           8
        .value_kind:     by_value
      - .address_space:  global
        .offset:         56
        .size:           8
        .value_kind:     global_buffer
      - .offset:         64
        .size:           8
        .value_kind:     by_value
      - .offset:         72
        .size:           8
        .value_kind:     by_value
      - .offset:         80
        .size:           4
        .value_kind:     by_value
      - .address_space:  global
        .offset:         88
        .size:           8
        .value_kind:     global_buffer
      - .offset:         96
        .size:           8
        .value_kind:     by_value
      - .offset:         104
        .size:           8
        .value_kind:     by_value
      - .address_space:  global
        .offset:         112
        .size:           8
        .value_kind:     global_buffer
      - .offset:         120
        .size:           8
        .value_kind:     by_value
      - .offset:         128
        .size:           8
        .value_kind:     by_value
      - .offset:         136
        .size:           4
        .value_kind:     by_value
    .group_segment_fixed_size: 2048
    .kernarg_segment_align: 8
    .kernarg_segment_size: 140
    .language:       OpenCL C
    .language_version:
      - 2
      - 0
    .max_flat_workgroup_size: 256
    .name:           _ZN12_GLOBAL__N_127rocblas_gemm_batched_kernelIfLi16ELi16ELi32ELi32ELi8ELi32ELi8ELi8ELi32ELc67ELc67EKPK16rocblas_bfloat16KPKfKPfEEvlllT_PT11_llSC_llSA_PT12_llPT13_lli
    .private_segment_fixed_size: 0
    .sgpr_count:     38
    .sgpr_spill_count: 0
    .symbol:         _ZN12_GLOBAL__N_127rocblas_gemm_batched_kernelIfLi16ELi16ELi32ELi32ELi8ELi32ELi8ELi8ELi32ELc67ELc67EKPK16rocblas_bfloat16KPKfKPfEEvlllT_PT11_llSC_llSA_PT12_llPT13_lli.kd
    .uniform_work_group_size: 1
    .uses_dynamic_stack: false
    .vgpr_count:     62
    .vgpr_spill_count: 0
    .wavefront_size: 32
  - .args:
      - .offset:         0
        .size:           8
        .value_kind:     by_value
      - .offset:         8
        .size:           8
        .value_kind:     by_value
      - .offset:         16
        .size:           8
        .value_kind:     by_value
      - .offset:         24
        .size:           4
        .value_kind:     by_value
      - .address_space:  global
        .offset:         32
        .size:           8
        .value_kind:     global_buffer
      - .offset:         40
        .size:           8
        .value_kind:     by_value
      - .offset:         48
        .size:           8
        .value_kind:     by_value
      - .address_space:  global
        .offset:         56
        .size:           8
        .value_kind:     global_buffer
      - .offset:         64
        .size:           8
        .value_kind:     by_value
      - .offset:         72
        .size:           8
        .value_kind:     by_value
      - .offset:         80
        .size:           4
        .value_kind:     by_value
      - .address_space:  global
        .offset:         88
        .size:           8
        .value_kind:     global_buffer
      - .offset:         96
        .size:           8
        .value_kind:     by_value
      - .offset:         104
        .size:           8
        .value_kind:     by_value
      - .address_space:  global
        .offset:         112
        .size:           8
        .value_kind:     global_buffer
      - .offset:         120
        .size:           8
        .value_kind:     by_value
      - .offset:         128
        .size:           8
        .value_kind:     by_value
      - .offset:         136
        .size:           4
        .value_kind:     by_value
    .group_segment_fixed_size: 2048
    .kernarg_segment_align: 8
    .kernarg_segment_size: 140
    .language:       OpenCL C
    .language_version:
      - 2
      - 0
    .max_flat_workgroup_size: 256
    .name:           _ZN12_GLOBAL__N_127rocblas_gemm_batched_kernelIfLi16ELi16ELi32ELi32ELi8ELi32ELi8ELi8ELi32ELc67ELc78EKPK16rocblas_bfloat16KPKfKPfEEvlllT_PT11_llSC_llSA_PT12_llPT13_lli
    .private_segment_fixed_size: 0
    .sgpr_count:     38
    .sgpr_spill_count: 0
    .symbol:         _ZN12_GLOBAL__N_127rocblas_gemm_batched_kernelIfLi16ELi16ELi32ELi32ELi8ELi32ELi8ELi8ELi32ELc67ELc78EKPK16rocblas_bfloat16KPKfKPfEEvlllT_PT11_llSC_llSA_PT12_llPT13_lli.kd
    .uniform_work_group_size: 1
    .uses_dynamic_stack: false
    .vgpr_count:     62
    .vgpr_spill_count: 0
    .wavefront_size: 32
  - .args:
      - .offset:         0
        .size:           8
        .value_kind:     by_value
      - .offset:         8
        .size:           8
        .value_kind:     by_value
      - .offset:         16
        .size:           8
        .value_kind:     by_value
      - .offset:         24
        .size:           4
        .value_kind:     by_value
      - .address_space:  global
        .offset:         32
        .size:           8
        .value_kind:     global_buffer
      - .offset:         40
        .size:           8
        .value_kind:     by_value
      - .offset:         48
        .size:           8
        .value_kind:     by_value
      - .address_space:  global
        .offset:         56
        .size:           8
        .value_kind:     global_buffer
      - .offset:         64
        .size:           8
        .value_kind:     by_value
      - .offset:         72
        .size:           8
        .value_kind:     by_value
      - .offset:         80
        .size:           4
        .value_kind:     by_value
      - .address_space:  global
        .offset:         88
        .size:           8
        .value_kind:     global_buffer
      - .offset:         96
        .size:           8
        .value_kind:     by_value
      - .offset:         104
        .size:           8
        .value_kind:     by_value
      - .address_space:  global
        .offset:         112
        .size:           8
        .value_kind:     global_buffer
      - .offset:         120
        .size:           8
        .value_kind:     by_value
      - .offset:         128
        .size:           8
        .value_kind:     by_value
      - .offset:         136
        .size:           4
        .value_kind:     by_value
    .group_segment_fixed_size: 2048
    .kernarg_segment_align: 8
    .kernarg_segment_size: 140
    .language:       OpenCL C
    .language_version:
      - 2
      - 0
    .max_flat_workgroup_size: 256
    .name:           _ZN12_GLOBAL__N_127rocblas_gemm_batched_kernelIfLi16ELi16ELi32ELi32ELi8ELi32ELi8ELi8ELi32ELc67ELc84EKPK16rocblas_bfloat16KPKfKPfEEvlllT_PT11_llSC_llSA_PT12_llPT13_lli
    .private_segment_fixed_size: 0
    .sgpr_count:     38
    .sgpr_spill_count: 0
    .symbol:         _ZN12_GLOBAL__N_127rocblas_gemm_batched_kernelIfLi16ELi16ELi32ELi32ELi8ELi32ELi8ELi8ELi32ELc67ELc84EKPK16rocblas_bfloat16KPKfKPfEEvlllT_PT11_llSC_llSA_PT12_llPT13_lli.kd
    .uniform_work_group_size: 1
    .uses_dynamic_stack: false
    .vgpr_count:     62
    .vgpr_spill_count: 0
    .wavefront_size: 32
  - .args:
      - .offset:         0
        .size:           8
        .value_kind:     by_value
      - .offset:         8
        .size:           8
        .value_kind:     by_value
      - .offset:         16
        .size:           8
        .value_kind:     by_value
      - .offset:         24
        .size:           4
        .value_kind:     by_value
      - .address_space:  global
        .offset:         32
        .size:           8
        .value_kind:     global_buffer
      - .offset:         40
        .size:           8
        .value_kind:     by_value
      - .offset:         48
        .size:           8
        .value_kind:     by_value
      - .address_space:  global
        .offset:         56
        .size:           8
        .value_kind:     global_buffer
      - .offset:         64
        .size:           8
        .value_kind:     by_value
      - .offset:         72
        .size:           8
        .value_kind:     by_value
      - .offset:         80
        .size:           4
        .value_kind:     by_value
      - .address_space:  global
        .offset:         88
        .size:           8
        .value_kind:     global_buffer
      - .offset:         96
        .size:           8
        .value_kind:     by_value
      - .offset:         104
        .size:           8
        .value_kind:     by_value
      - .address_space:  global
        .offset:         112
        .size:           8
        .value_kind:     global_buffer
      - .offset:         120
        .size:           8
        .value_kind:     by_value
      - .offset:         128
        .size:           8
        .value_kind:     by_value
      - .offset:         136
        .size:           4
        .value_kind:     by_value
    .group_segment_fixed_size: 2048
    .kernarg_segment_align: 8
    .kernarg_segment_size: 140
    .language:       OpenCL C
    .language_version:
      - 2
      - 0
    .max_flat_workgroup_size: 256
    .name:           _ZN12_GLOBAL__N_127rocblas_gemm_batched_kernelIfLi16ELi16ELi32ELi32ELi8ELi32ELi8ELi8ELi32ELc78ELc67EKPK16rocblas_bfloat16KPKfKPfEEvlllT_PT11_llSC_llSA_PT12_llPT13_lli
    .private_segment_fixed_size: 0
    .sgpr_count:     40
    .sgpr_spill_count: 0
    .symbol:         _ZN12_GLOBAL__N_127rocblas_gemm_batched_kernelIfLi16ELi16ELi32ELi32ELi8ELi32ELi8ELi8ELi32ELc78ELc67EKPK16rocblas_bfloat16KPKfKPfEEvlllT_PT11_llSC_llSA_PT12_llPT13_lli.kd
    .uniform_work_group_size: 1
    .uses_dynamic_stack: false
    .vgpr_count:     62
    .vgpr_spill_count: 0
    .wavefront_size: 32
  - .args:
      - .offset:         0
        .size:           8
        .value_kind:     by_value
      - .offset:         8
        .size:           8
        .value_kind:     by_value
      - .offset:         16
        .size:           8
        .value_kind:     by_value
      - .offset:         24
        .size:           4
        .value_kind:     by_value
      - .address_space:  global
        .offset:         32
        .size:           8
        .value_kind:     global_buffer
      - .offset:         40
        .size:           8
        .value_kind:     by_value
      - .offset:         48
        .size:           8
        .value_kind:     by_value
      - .address_space:  global
        .offset:         56
        .size:           8
        .value_kind:     global_buffer
      - .offset:         64
        .size:           8
        .value_kind:     by_value
      - .offset:         72
        .size:           8
        .value_kind:     by_value
      - .offset:         80
        .size:           4
        .value_kind:     by_value
      - .address_space:  global
        .offset:         88
        .size:           8
        .value_kind:     global_buffer
      - .offset:         96
        .size:           8
        .value_kind:     by_value
      - .offset:         104
        .size:           8
        .value_kind:     by_value
      - .address_space:  global
        .offset:         112
        .size:           8
        .value_kind:     global_buffer
      - .offset:         120
        .size:           8
        .value_kind:     by_value
      - .offset:         128
        .size:           8
        .value_kind:     by_value
      - .offset:         136
        .size:           4
        .value_kind:     by_value
    .group_segment_fixed_size: 2048
    .kernarg_segment_align: 8
    .kernarg_segment_size: 140
    .language:       OpenCL C
    .language_version:
      - 2
      - 0
    .max_flat_workgroup_size: 256
    .name:           _ZN12_GLOBAL__N_127rocblas_gemm_batched_kernelIfLi16ELi16ELi32ELi32ELi8ELi32ELi8ELi8ELi32ELc84ELc67EKPK16rocblas_bfloat16KPKfKPfEEvlllT_PT11_llSC_llSA_PT12_llPT13_lli
    .private_segment_fixed_size: 0
    .sgpr_count:     38
    .sgpr_spill_count: 0
    .symbol:         _ZN12_GLOBAL__N_127rocblas_gemm_batched_kernelIfLi16ELi16ELi32ELi32ELi8ELi32ELi8ELi8ELi32ELc84ELc67EKPK16rocblas_bfloat16KPKfKPfEEvlllT_PT11_llSC_llSA_PT12_llPT13_lli.kd
    .uniform_work_group_size: 1
    .uses_dynamic_stack: false
    .vgpr_count:     62
    .vgpr_spill_count: 0
    .wavefront_size: 32
  - .args:
      - .offset:         0
        .size:           8
        .value_kind:     by_value
      - .offset:         8
        .size:           8
        .value_kind:     by_value
      - .offset:         16
        .size:           8
        .value_kind:     by_value
      - .offset:         24
        .size:           4
        .value_kind:     by_value
      - .address_space:  global
        .offset:         32
        .size:           8
        .value_kind:     global_buffer
      - .offset:         40
        .size:           8
        .value_kind:     by_value
      - .offset:         48
        .size:           8
        .value_kind:     by_value
      - .address_space:  global
        .offset:         56
        .size:           8
        .value_kind:     global_buffer
      - .offset:         64
        .size:           8
        .value_kind:     by_value
      - .offset:         72
        .size:           8
        .value_kind:     by_value
      - .offset:         80
        .size:           4
        .value_kind:     by_value
      - .address_space:  global
        .offset:         88
        .size:           8
        .value_kind:     global_buffer
      - .offset:         96
        .size:           8
        .value_kind:     by_value
      - .offset:         104
        .size:           8
        .value_kind:     by_value
      - .address_space:  global
        .offset:         112
        .size:           8
        .value_kind:     global_buffer
      - .offset:         120
        .size:           8
        .value_kind:     by_value
      - .offset:         128
        .size:           8
        .value_kind:     by_value
      - .offset:         136
        .size:           4
        .value_kind:     by_value
    .group_segment_fixed_size: 2048
    .kernarg_segment_align: 8
    .kernarg_segment_size: 140
    .language:       OpenCL C
    .language_version:
      - 2
      - 0
    .max_flat_workgroup_size: 256
    .name:           _ZN12_GLOBAL__N_135rocblas_gemm_batched_general_kernelIfLi16ELi16ELi32ELi32ELi8ELi32ELi8ELi8ELi32ELc78ELc78EKPK16rocblas_bfloat16KPKfKPfEEvlllT_PT11_llSC_llSA_PT12_llPT13_lli
    .private_segment_fixed_size: 0
    .sgpr_count:     46
    .sgpr_spill_count: 0
    .symbol:         _ZN12_GLOBAL__N_135rocblas_gemm_batched_general_kernelIfLi16ELi16ELi32ELi32ELi8ELi32ELi8ELi8ELi32ELc78ELc78EKPK16rocblas_bfloat16KPKfKPfEEvlllT_PT11_llSC_llSA_PT12_llPT13_lli.kd
    .uniform_work_group_size: 1
    .uses_dynamic_stack: false
    .vgpr_count:     56
    .vgpr_spill_count: 0
    .wavefront_size: 32
  - .args:
      - .offset:         0
        .size:           8
        .value_kind:     by_value
      - .offset:         8
        .size:           8
        .value_kind:     by_value
      - .offset:         16
        .size:           8
        .value_kind:     by_value
      - .offset:         24
        .size:           4
        .value_kind:     by_value
      - .address_space:  global
        .offset:         32
        .size:           8
        .value_kind:     global_buffer
      - .offset:         40
        .size:           8
        .value_kind:     by_value
      - .offset:         48
        .size:           8
        .value_kind:     by_value
      - .address_space:  global
        .offset:         56
        .size:           8
        .value_kind:     global_buffer
      - .offset:         64
        .size:           8
        .value_kind:     by_value
      - .offset:         72
        .size:           8
        .value_kind:     by_value
      - .offset:         80
        .size:           4
        .value_kind:     by_value
      - .address_space:  global
        .offset:         88
        .size:           8
        .value_kind:     global_buffer
      - .offset:         96
        .size:           8
        .value_kind:     by_value
      - .offset:         104
        .size:           8
        .value_kind:     by_value
      - .address_space:  global
        .offset:         112
        .size:           8
        .value_kind:     global_buffer
      - .offset:         120
        .size:           8
        .value_kind:     by_value
      - .offset:         128
        .size:           8
        .value_kind:     by_value
      - .offset:         136
        .size:           4
        .value_kind:     by_value
    .group_segment_fixed_size: 2048
    .kernarg_segment_align: 8
    .kernarg_segment_size: 140
    .language:       OpenCL C
    .language_version:
      - 2
      - 0
    .max_flat_workgroup_size: 256
    .name:           _ZN12_GLOBAL__N_135rocblas_gemm_batched_general_kernelIfLi16ELi16ELi32ELi32ELi8ELi32ELi8ELi8ELi32ELc84ELc78EKPK16rocblas_bfloat16KPKfKPfEEvlllT_PT11_llSC_llSA_PT12_llPT13_lli
    .private_segment_fixed_size: 0
    .sgpr_count:     46
    .sgpr_spill_count: 0
    .symbol:         _ZN12_GLOBAL__N_135rocblas_gemm_batched_general_kernelIfLi16ELi16ELi32ELi32ELi8ELi32ELi8ELi8ELi32ELc84ELc78EKPK16rocblas_bfloat16KPKfKPfEEvlllT_PT11_llSC_llSA_PT12_llPT13_lli.kd
    .uniform_work_group_size: 1
    .uses_dynamic_stack: false
    .vgpr_count:     56
    .vgpr_spill_count: 0
    .wavefront_size: 32
  - .args:
      - .offset:         0
        .size:           8
        .value_kind:     by_value
      - .offset:         8
        .size:           8
        .value_kind:     by_value
      - .offset:         16
        .size:           8
        .value_kind:     by_value
      - .offset:         24
        .size:           4
        .value_kind:     by_value
      - .address_space:  global
        .offset:         32
        .size:           8
        .value_kind:     global_buffer
      - .offset:         40
        .size:           8
        .value_kind:     by_value
      - .offset:         48
        .size:           8
        .value_kind:     by_value
      - .address_space:  global
        .offset:         56
        .size:           8
        .value_kind:     global_buffer
      - .offset:         64
        .size:           8
        .value_kind:     by_value
      - .offset:         72
        .size:           8
        .value_kind:     by_value
      - .offset:         80
        .size:           4
        .value_kind:     by_value
      - .address_space:  global
        .offset:         88
        .size:           8
        .value_kind:     global_buffer
      - .offset:         96
        .size:           8
        .value_kind:     by_value
      - .offset:         104
        .size:           8
        .value_kind:     by_value
      - .address_space:  global
        .offset:         112
        .size:           8
        .value_kind:     global_buffer
      - .offset:         120
        .size:           8
        .value_kind:     by_value
      - .offset:         128
        .size:           8
        .value_kind:     by_value
      - .offset:         136
        .size:           4
        .value_kind:     by_value
    .group_segment_fixed_size: 2048
    .kernarg_segment_align: 8
    .kernarg_segment_size: 140
    .language:       OpenCL C
    .language_version:
      - 2
      - 0
    .max_flat_workgroup_size: 256
    .name:           _ZN12_GLOBAL__N_135rocblas_gemm_batched_general_kernelIfLi16ELi16ELi32ELi32ELi8ELi32ELi8ELi8ELi32ELc78ELc84EKPK16rocblas_bfloat16KPKfKPfEEvlllT_PT11_llSC_llSA_PT12_llPT13_lli
    .private_segment_fixed_size: 0
    .sgpr_count:     48
    .sgpr_spill_count: 0
    .symbol:         _ZN12_GLOBAL__N_135rocblas_gemm_batched_general_kernelIfLi16ELi16ELi32ELi32ELi8ELi32ELi8ELi8ELi32ELc78ELc84EKPK16rocblas_bfloat16KPKfKPfEEvlllT_PT11_llSC_llSA_PT12_llPT13_lli.kd
    .uniform_work_group_size: 1
    .uses_dynamic_stack: false
    .vgpr_count:     56
    .vgpr_spill_count: 0
    .wavefront_size: 32
  - .args:
      - .offset:         0
        .size:           8
        .value_kind:     by_value
      - .offset:         8
        .size:           8
        .value_kind:     by_value
      - .offset:         16
        .size:           8
        .value_kind:     by_value
      - .offset:         24
        .size:           4
        .value_kind:     by_value
      - .address_space:  global
        .offset:         32
        .size:           8
        .value_kind:     global_buffer
      - .offset:         40
        .size:           8
        .value_kind:     by_value
      - .offset:         48
        .size:           8
        .value_kind:     by_value
      - .address_space:  global
        .offset:         56
        .size:           8
        .value_kind:     global_buffer
      - .offset:         64
        .size:           8
        .value_kind:     by_value
      - .offset:         72
        .size:           8
        .value_kind:     by_value
      - .offset:         80
        .size:           4
        .value_kind:     by_value
      - .address_space:  global
        .offset:         88
        .size:           8
        .value_kind:     global_buffer
      - .offset:         96
        .size:           8
        .value_kind:     by_value
      - .offset:         104
        .size:           8
        .value_kind:     by_value
      - .address_space:  global
        .offset:         112
        .size:           8
        .value_kind:     global_buffer
      - .offset:         120
        .size:           8
        .value_kind:     by_value
      - .offset:         128
        .size:           8
        .value_kind:     by_value
      - .offset:         136
        .size:           4
        .value_kind:     by_value
    .group_segment_fixed_size: 2048
    .kernarg_segment_align: 8
    .kernarg_segment_size: 140
    .language:       OpenCL C
    .language_version:
      - 2
      - 0
    .max_flat_workgroup_size: 256
    .name:           _ZN12_GLOBAL__N_135rocblas_gemm_batched_general_kernelIfLi16ELi16ELi32ELi32ELi8ELi32ELi8ELi8ELi32ELc84ELc84EKPK16rocblas_bfloat16KPKfKPfEEvlllT_PT11_llSC_llSA_PT12_llPT13_lli
    .private_segment_fixed_size: 0
    .sgpr_count:     44
    .sgpr_spill_count: 0
    .symbol:         _ZN12_GLOBAL__N_135rocblas_gemm_batched_general_kernelIfLi16ELi16ELi32ELi32ELi8ELi32ELi8ELi8ELi32ELc84ELc84EKPK16rocblas_bfloat16KPKfKPfEEvlllT_PT11_llSC_llSA_PT12_llPT13_lli.kd
    .uniform_work_group_size: 1
    .uses_dynamic_stack: false
    .vgpr_count:     56
    .vgpr_spill_count: 0
    .wavefront_size: 32
  - .args:
      - .offset:         0
        .size:           8
        .value_kind:     by_value
      - .offset:         8
        .size:           8
        .value_kind:     by_value
      - .offset:         16
        .size:           8
        .value_kind:     by_value
      - .offset:         24
        .size:           4
        .value_kind:     by_value
      - .address_space:  global
        .offset:         32
        .size:           8
        .value_kind:     global_buffer
      - .offset:         40
        .size:           8
        .value_kind:     by_value
      - .offset:         48
        .size:           8
        .value_kind:     by_value
      - .address_space:  global
        .offset:         56
        .size:           8
        .value_kind:     global_buffer
      - .offset:         64
        .size:           8
        .value_kind:     by_value
      - .offset:         72
        .size:           8
        .value_kind:     by_value
      - .offset:         80
        .size:           4
        .value_kind:     by_value
      - .address_space:  global
        .offset:         88
        .size:           8
        .value_kind:     global_buffer
      - .offset:         96
        .size:           8
        .value_kind:     by_value
      - .offset:         104
        .size:           8
        .value_kind:     by_value
      - .address_space:  global
        .offset:         112
        .size:           8
        .value_kind:     global_buffer
      - .offset:         120
        .size:           8
        .value_kind:     by_value
      - .offset:         128
        .size:           8
        .value_kind:     by_value
      - .offset:         136
        .size:           4
        .value_kind:     by_value
    .group_segment_fixed_size: 2048
    .kernarg_segment_align: 8
    .kernarg_segment_size: 140
    .language:       OpenCL C
    .language_version:
      - 2
      - 0
    .max_flat_workgroup_size: 256
    .name:           _ZN12_GLOBAL__N_135rocblas_gemm_batched_general_kernelIfLi16ELi16ELi32ELi32ELi8ELi32ELi8ELi8ELi32ELc67ELc67EKPK16rocblas_bfloat16KPKfKPfEEvlllT_PT11_llSC_llSA_PT12_llPT13_lli
    .private_segment_fixed_size: 0
    .sgpr_count:     44
    .sgpr_spill_count: 0
    .symbol:         _ZN12_GLOBAL__N_135rocblas_gemm_batched_general_kernelIfLi16ELi16ELi32ELi32ELi8ELi32ELi8ELi8ELi32ELc67ELc67EKPK16rocblas_bfloat16KPKfKPfEEvlllT_PT11_llSC_llSA_PT12_llPT13_lli.kd
    .uniform_work_group_size: 1
    .uses_dynamic_stack: false
    .vgpr_count:     56
    .vgpr_spill_count: 0
    .wavefront_size: 32
  - .args:
      - .offset:         0
        .size:           8
        .value_kind:     by_value
      - .offset:         8
        .size:           8
        .value_kind:     by_value
      - .offset:         16
        .size:           8
        .value_kind:     by_value
      - .offset:         24
        .size:           4
        .value_kind:     by_value
      - .address_space:  global
        .offset:         32
        .size:           8
        .value_kind:     global_buffer
      - .offset:         40
        .size:           8
        .value_kind:     by_value
      - .offset:         48
        .size:           8
        .value_kind:     by_value
      - .address_space:  global
        .offset:         56
        .size:           8
        .value_kind:     global_buffer
      - .offset:         64
        .size:           8
        .value_kind:     by_value
      - .offset:         72
        .size:           8
        .value_kind:     by_value
      - .offset:         80
        .size:           4
        .value_kind:     by_value
      - .address_space:  global
        .offset:         88
        .size:           8
        .value_kind:     global_buffer
      - .offset:         96
        .size:           8
        .value_kind:     by_value
      - .offset:         104
        .size:           8
        .value_kind:     by_value
      - .address_space:  global
        .offset:         112
        .size:           8
        .value_kind:     global_buffer
      - .offset:         120
        .size:           8
        .value_kind:     by_value
      - .offset:         128
        .size:           8
        .value_kind:     by_value
      - .offset:         136
        .size:           4
        .value_kind:     by_value
    .group_segment_fixed_size: 2048
    .kernarg_segment_align: 8
    .kernarg_segment_size: 140
    .language:       OpenCL C
    .language_version:
      - 2
      - 0
    .max_flat_workgroup_size: 256
    .name:           _ZN12_GLOBAL__N_135rocblas_gemm_batched_general_kernelIfLi16ELi16ELi32ELi32ELi8ELi32ELi8ELi8ELi32ELc67ELc78EKPK16rocblas_bfloat16KPKfKPfEEvlllT_PT11_llSC_llSA_PT12_llPT13_lli
    .private_segment_fixed_size: 0
    .sgpr_count:     46
    .sgpr_spill_count: 0
    .symbol:         _ZN12_GLOBAL__N_135rocblas_gemm_batched_general_kernelIfLi16ELi16ELi32ELi32ELi8ELi32ELi8ELi8ELi32ELc67ELc78EKPK16rocblas_bfloat16KPKfKPfEEvlllT_PT11_llSC_llSA_PT12_llPT13_lli.kd
    .uniform_work_group_size: 1
    .uses_dynamic_stack: false
    .vgpr_count:     56
    .vgpr_spill_count: 0
    .wavefront_size: 32
  - .args:
      - .offset:         0
        .size:           8
        .value_kind:     by_value
      - .offset:         8
        .size:           8
        .value_kind:     by_value
      - .offset:         16
        .size:           8
        .value_kind:     by_value
      - .offset:         24
        .size:           4
        .value_kind:     by_value
      - .address_space:  global
        .offset:         32
        .size:           8
        .value_kind:     global_buffer
      - .offset:         40
        .size:           8
        .value_kind:     by_value
      - .offset:         48
        .size:           8
        .value_kind:     by_value
      - .address_space:  global
        .offset:         56
        .size:           8
        .value_kind:     global_buffer
      - .offset:         64
        .size:           8
        .value_kind:     by_value
      - .offset:         72
        .size:           8
        .value_kind:     by_value
      - .offset:         80
        .size:           4
        .value_kind:     by_value
      - .address_space:  global
        .offset:         88
        .size:           8
        .value_kind:     global_buffer
      - .offset:         96
        .size:           8
        .value_kind:     by_value
      - .offset:         104
        .size:           8
        .value_kind:     by_value
      - .address_space:  global
        .offset:         112
        .size:           8
        .value_kind:     global_buffer
      - .offset:         120
        .size:           8
        .value_kind:     by_value
      - .offset:         128
        .size:           8
        .value_kind:     by_value
      - .offset:         136
        .size:           4
        .value_kind:     by_value
    .group_segment_fixed_size: 2048
    .kernarg_segment_align: 8
    .kernarg_segment_size: 140
    .language:       OpenCL C
    .language_version:
      - 2
      - 0
    .max_flat_workgroup_size: 256
    .name:           _ZN12_GLOBAL__N_135rocblas_gemm_batched_general_kernelIfLi16ELi16ELi32ELi32ELi8ELi32ELi8ELi8ELi32ELc67ELc84EKPK16rocblas_bfloat16KPKfKPfEEvlllT_PT11_llSC_llSA_PT12_llPT13_lli
    .private_segment_fixed_size: 0
    .sgpr_count:     44
    .sgpr_spill_count: 0
    .symbol:         _ZN12_GLOBAL__N_135rocblas_gemm_batched_general_kernelIfLi16ELi16ELi32ELi32ELi8ELi32ELi8ELi8ELi32ELc67ELc84EKPK16rocblas_bfloat16KPKfKPfEEvlllT_PT11_llSC_llSA_PT12_llPT13_lli.kd
    .uniform_work_group_size: 1
    .uses_dynamic_stack: false
    .vgpr_count:     56
    .vgpr_spill_count: 0
    .wavefront_size: 32
  - .args:
      - .offset:         0
        .size:           8
        .value_kind:     by_value
      - .offset:         8
        .size:           8
        .value_kind:     by_value
      - .offset:         16
        .size:           8
        .value_kind:     by_value
      - .offset:         24
        .size:           4
        .value_kind:     by_value
      - .address_space:  global
        .offset:         32
        .size:           8
        .value_kind:     global_buffer
      - .offset:         40
        .size:           8
        .value_kind:     by_value
      - .offset:         48
        .size:           8
        .value_kind:     by_value
      - .address_space:  global
        .offset:         56
        .size:           8
        .value_kind:     global_buffer
      - .offset:         64
        .size:           8
        .value_kind:     by_value
      - .offset:         72
        .size:           8
        .value_kind:     by_value
      - .offset:         80
        .size:           4
        .value_kind:     by_value
      - .address_space:  global
        .offset:         88
        .size:           8
        .value_kind:     global_buffer
      - .offset:         96
        .size:           8
        .value_kind:     by_value
      - .offset:         104
        .size:           8
        .value_kind:     by_value
      - .address_space:  global
        .offset:         112
        .size:           8
        .value_kind:     global_buffer
      - .offset:         120
        .size:           8
        .value_kind:     by_value
      - .offset:         128
        .size:           8
        .value_kind:     by_value
      - .offset:         136
        .size:           4
        .value_kind:     by_value
    .group_segment_fixed_size: 2048
    .kernarg_segment_align: 8
    .kernarg_segment_size: 140
    .language:       OpenCL C
    .language_version:
      - 2
      - 0
    .max_flat_workgroup_size: 256
    .name:           _ZN12_GLOBAL__N_135rocblas_gemm_batched_general_kernelIfLi16ELi16ELi32ELi32ELi8ELi32ELi8ELi8ELi32ELc78ELc67EKPK16rocblas_bfloat16KPKfKPfEEvlllT_PT11_llSC_llSA_PT12_llPT13_lli
    .private_segment_fixed_size: 0
    .sgpr_count:     48
    .sgpr_spill_count: 0
    .symbol:         _ZN12_GLOBAL__N_135rocblas_gemm_batched_general_kernelIfLi16ELi16ELi32ELi32ELi8ELi32ELi8ELi8ELi32ELc78ELc67EKPK16rocblas_bfloat16KPKfKPfEEvlllT_PT11_llSC_llSA_PT12_llPT13_lli.kd
    .uniform_work_group_size: 1
    .uses_dynamic_stack: false
    .vgpr_count:     56
    .vgpr_spill_count: 0
    .wavefront_size: 32
  - .args:
      - .offset:         0
        .size:           8
        .value_kind:     by_value
      - .offset:         8
        .size:           8
        .value_kind:     by_value
      - .offset:         16
        .size:           8
        .value_kind:     by_value
      - .offset:         24
        .size:           4
        .value_kind:     by_value
      - .address_space:  global
        .offset:         32
        .size:           8
        .value_kind:     global_buffer
      - .offset:         40
        .size:           8
        .value_kind:     by_value
      - .offset:         48
        .size:           8
        .value_kind:     by_value
      - .address_space:  global
        .offset:         56
        .size:           8
        .value_kind:     global_buffer
      - .offset:         64
        .size:           8
        .value_kind:     by_value
      - .offset:         72
        .size:           8
        .value_kind:     by_value
      - .offset:         80
        .size:           4
        .value_kind:     by_value
      - .address_space:  global
        .offset:         88
        .size:           8
        .value_kind:     global_buffer
      - .offset:         96
        .size:           8
        .value_kind:     by_value
      - .offset:         104
        .size:           8
        .value_kind:     by_value
      - .address_space:  global
        .offset:         112
        .size:           8
        .value_kind:     global_buffer
      - .offset:         120
        .size:           8
        .value_kind:     by_value
      - .offset:         128
        .size:           8
        .value_kind:     by_value
      - .offset:         136
        .size:           4
        .value_kind:     by_value
    .group_segment_fixed_size: 2048
    .kernarg_segment_align: 8
    .kernarg_segment_size: 140
    .language:       OpenCL C
    .language_version:
      - 2
      - 0
    .max_flat_workgroup_size: 256
    .name:           _ZN12_GLOBAL__N_135rocblas_gemm_batched_general_kernelIfLi16ELi16ELi32ELi32ELi8ELi32ELi8ELi8ELi32ELc84ELc67EKPK16rocblas_bfloat16KPKfKPfEEvlllT_PT11_llSC_llSA_PT12_llPT13_lli
    .private_segment_fixed_size: 0
    .sgpr_count:     44
    .sgpr_spill_count: 0
    .symbol:         _ZN12_GLOBAL__N_135rocblas_gemm_batched_general_kernelIfLi16ELi16ELi32ELi32ELi8ELi32ELi8ELi8ELi32ELc84ELc67EKPK16rocblas_bfloat16KPKfKPfEEvlllT_PT11_llSC_llSA_PT12_llPT13_lli.kd
    .uniform_work_group_size: 1
    .uses_dynamic_stack: false
    .vgpr_count:     56
    .vgpr_spill_count: 0
    .wavefront_size: 32
  - .args:
      - .offset:         0
        .size:           4
        .value_kind:     by_value
      - .offset:         4
        .size:           4
        .value_kind:     by_value
      - .offset:         8
        .size:           4
        .value_kind:     by_value
      - .address_space:  global
        .offset:         16
        .size:           8
        .value_kind:     global_buffer
      - .offset:         24
        .size:           8
        .value_kind:     by_value
      - .offset:         32
        .size:           8
        .value_kind:     by_value
      - .offset:         40
        .size:           8
        .value_kind:     by_value
      - .address_space:  global
        .offset:         48
        .size:           8
        .value_kind:     global_buffer
      - .offset:         56
        .size:           8
        .value_kind:     by_value
      - .offset:         64
        .size:           8
        .value_kind:     by_value
      - .offset:         72
        .size:           8
        .value_kind:     by_value
      - .offset:         80
        .size:           4
        .value_kind:     by_value
    .group_segment_fixed_size: 0
    .kernarg_segment_align: 8
    .kernarg_segment_size: 84
    .language:       OpenCL C
    .language_version:
      - 2
      - 0
    .max_flat_workgroup_size: 1024
    .name:           _ZN12_GLOBAL__N_120gemm_ex_scale_kernelILi32ELi32EiPKPKiPKPiEEviiT1_T2_lllT3_llli
    .private_segment_fixed_size: 0
    .sgpr_count:     25
    .sgpr_spill_count: 0
    .symbol:         _ZN12_GLOBAL__N_120gemm_ex_scale_kernelILi32ELi32EiPKPKiPKPiEEviiT1_T2_lllT3_llli.kd
    .uniform_work_group_size: 1
    .uses_dynamic_stack: false
    .vgpr_count:     10
    .vgpr_spill_count: 0
    .wavefront_size: 32
  - .args:
      - .offset:         0
        .size:           8
        .value_kind:     by_value
      - .offset:         8
        .size:           8
        .value_kind:     by_value
      - .offset:         16
        .size:           8
        .value_kind:     by_value
      - .offset:         24
        .size:           4
        .value_kind:     by_value
      - .address_space:  global
        .offset:         32
        .size:           8
        .value_kind:     global_buffer
      - .offset:         40
        .size:           8
        .value_kind:     by_value
      - .offset:         48
        .size:           8
        .value_kind:     by_value
      - .address_space:  global
        .offset:         56
        .size:           8
        .value_kind:     global_buffer
      - .offset:         64
        .size:           8
        .value_kind:     by_value
      - .offset:         72
        .size:           8
        .value_kind:     by_value
      - .offset:         80
        .size:           4
        .value_kind:     by_value
      - .address_space:  global
        .offset:         88
        .size:           8
        .value_kind:     global_buffer
      - .offset:         96
        .size:           8
        .value_kind:     by_value
      - .offset:         104
        .size:           8
        .value_kind:     by_value
      - .address_space:  global
        .offset:         112
        .size:           8
        .value_kind:     global_buffer
      - .offset:         120
        .size:           8
        .value_kind:     by_value
      - .offset:         128
        .size:           8
        .value_kind:     by_value
      - .offset:         136
        .size:           4
        .value_kind:     by_value
    .group_segment_fixed_size: 2048
    .kernarg_segment_align: 8
    .kernarg_segment_size: 140
    .language:       OpenCL C
    .language_version:
      - 2
      - 0
    .max_flat_workgroup_size: 256
    .name:           _ZN12_GLOBAL__N_127rocblas_gemm_batched_kernelIiLi16ELi16ELi64ELi64ELi4ELi64ELi4ELi4ELi64ELc78ELc78EKPKaKPKiKPiEEvlllT_PT11_llSB_llS9_PT12_llPT13_lli
    .private_segment_fixed_size: 0
    .sgpr_count:     40
    .sgpr_spill_count: 0
    .symbol:         _ZN12_GLOBAL__N_127rocblas_gemm_batched_kernelIiLi16ELi16ELi64ELi64ELi4ELi64ELi4ELi4ELi64ELc78ELc78EKPKaKPKiKPiEEvlllT_PT11_llSB_llS9_PT12_llPT13_lli.kd
    .uniform_work_group_size: 1
    .uses_dynamic_stack: false
    .vgpr_count:     70
    .vgpr_spill_count: 0
    .wavefront_size: 32
  - .args:
      - .offset:         0
        .size:           8
        .value_kind:     by_value
      - .offset:         8
        .size:           8
        .value_kind:     by_value
      - .offset:         16
        .size:           8
        .value_kind:     by_value
      - .offset:         24
        .size:           4
        .value_kind:     by_value
      - .address_space:  global
        .offset:         32
        .size:           8
        .value_kind:     global_buffer
      - .offset:         40
        .size:           8
        .value_kind:     by_value
      - .offset:         48
        .size:           8
        .value_kind:     by_value
      - .address_space:  global
        .offset:         56
        .size:           8
        .value_kind:     global_buffer
      - .offset:         64
        .size:           8
        .value_kind:     by_value
      - .offset:         72
        .size:           8
        .value_kind:     by_value
      - .offset:         80
        .size:           4
        .value_kind:     by_value
      - .address_space:  global
        .offset:         88
        .size:           8
        .value_kind:     global_buffer
      - .offset:         96
        .size:           8
        .value_kind:     by_value
      - .offset:         104
        .size:           8
        .value_kind:     by_value
      - .address_space:  global
        .offset:         112
        .size:           8
        .value_kind:     global_buffer
      - .offset:         120
        .size:           8
        .value_kind:     by_value
      - .offset:         128
        .size:           8
        .value_kind:     by_value
      - .offset:         136
        .size:           4
        .value_kind:     by_value
    .group_segment_fixed_size: 2048
    .kernarg_segment_align: 8
    .kernarg_segment_size: 140
    .language:       OpenCL C
    .language_version:
      - 2
      - 0
    .max_flat_workgroup_size: 256
    .name:           _ZN12_GLOBAL__N_127rocblas_gemm_batched_kernelIiLi16ELi16ELi64ELi64ELi4ELi64ELi4ELi4ELi64ELc84ELc78EKPKaKPKiKPiEEvlllT_PT11_llSB_llS9_PT12_llPT13_lli
    .private_segment_fixed_size: 0
    .sgpr_count:     40
    .sgpr_spill_count: 0
    .symbol:         _ZN12_GLOBAL__N_127rocblas_gemm_batched_kernelIiLi16ELi16ELi64ELi64ELi4ELi64ELi4ELi4ELi64ELc84ELc78EKPKaKPKiKPiEEvlllT_PT11_llSB_llS9_PT12_llPT13_lli.kd
    .uniform_work_group_size: 1
    .uses_dynamic_stack: false
    .vgpr_count:     70
    .vgpr_spill_count: 0
    .wavefront_size: 32
  - .args:
      - .offset:         0
        .size:           8
        .value_kind:     by_value
      - .offset:         8
        .size:           8
        .value_kind:     by_value
      - .offset:         16
        .size:           8
        .value_kind:     by_value
      - .offset:         24
        .size:           4
        .value_kind:     by_value
      - .address_space:  global
        .offset:         32
        .size:           8
        .value_kind:     global_buffer
      - .offset:         40
        .size:           8
        .value_kind:     by_value
      - .offset:         48
        .size:           8
        .value_kind:     by_value
      - .address_space:  global
        .offset:         56
        .size:           8
        .value_kind:     global_buffer
      - .offset:         64
        .size:           8
        .value_kind:     by_value
      - .offset:         72
        .size:           8
        .value_kind:     by_value
      - .offset:         80
        .size:           4
        .value_kind:     by_value
      - .address_space:  global
        .offset:         88
        .size:           8
        .value_kind:     global_buffer
      - .offset:         96
        .size:           8
        .value_kind:     by_value
      - .offset:         104
        .size:           8
        .value_kind:     by_value
      - .address_space:  global
        .offset:         112
        .size:           8
        .value_kind:     global_buffer
      - .offset:         120
        .size:           8
        .value_kind:     by_value
      - .offset:         128
        .size:           8
        .value_kind:     by_value
      - .offset:         136
        .size:           4
        .value_kind:     by_value
    .group_segment_fixed_size: 2048
    .kernarg_segment_align: 8
    .kernarg_segment_size: 140
    .language:       OpenCL C
    .language_version:
      - 2
      - 0
    .max_flat_workgroup_size: 256
    .name:           _ZN12_GLOBAL__N_127rocblas_gemm_batched_kernelIiLi16ELi16ELi64ELi64ELi4ELi64ELi4ELi4ELi64ELc78ELc84EKPKaKPKiKPiEEvlllT_PT11_llSB_llS9_PT12_llPT13_lli
    .private_segment_fixed_size: 0
    .sgpr_count:     40
    .sgpr_spill_count: 0
    .symbol:         _ZN12_GLOBAL__N_127rocblas_gemm_batched_kernelIiLi16ELi16ELi64ELi64ELi4ELi64ELi4ELi4ELi64ELc78ELc84EKPKaKPKiKPiEEvlllT_PT11_llSB_llS9_PT12_llPT13_lli.kd
    .uniform_work_group_size: 1
    .uses_dynamic_stack: false
    .vgpr_count:     70
    .vgpr_spill_count: 0
    .wavefront_size: 32
  - .args:
      - .offset:         0
        .size:           8
        .value_kind:     by_value
      - .offset:         8
        .size:           8
        .value_kind:     by_value
      - .offset:         16
        .size:           8
        .value_kind:     by_value
      - .offset:         24
        .size:           4
        .value_kind:     by_value
      - .address_space:  global
        .offset:         32
        .size:           8
        .value_kind:     global_buffer
      - .offset:         40
        .size:           8
        .value_kind:     by_value
      - .offset:         48
        .size:           8
        .value_kind:     by_value
      - .address_space:  global
        .offset:         56
        .size:           8
        .value_kind:     global_buffer
      - .offset:         64
        .size:           8
        .value_kind:     by_value
      - .offset:         72
        .size:           8
        .value_kind:     by_value
      - .offset:         80
        .size:           4
        .value_kind:     by_value
      - .address_space:  global
        .offset:         88
        .size:           8
        .value_kind:     global_buffer
      - .offset:         96
        .size:           8
        .value_kind:     by_value
      - .offset:         104
        .size:           8
        .value_kind:     by_value
      - .address_space:  global
        .offset:         112
        .size:           8
        .value_kind:     global_buffer
      - .offset:         120
        .size:           8
        .value_kind:     by_value
      - .offset:         128
        .size:           8
        .value_kind:     by_value
      - .offset:         136
        .size:           4
        .value_kind:     by_value
    .group_segment_fixed_size: 2048
    .kernarg_segment_align: 8
    .kernarg_segment_size: 140
    .language:       OpenCL C
    .language_version:
      - 2
      - 0
    .max_flat_workgroup_size: 256
    .name:           _ZN12_GLOBAL__N_127rocblas_gemm_batched_kernelIiLi16ELi16ELi64ELi64ELi4ELi64ELi4ELi4ELi64ELc84ELc84EKPKaKPKiKPiEEvlllT_PT11_llSB_llS9_PT12_llPT13_lli
    .private_segment_fixed_size: 0
    .sgpr_count:     40
    .sgpr_spill_count: 0
    .symbol:         _ZN12_GLOBAL__N_127rocblas_gemm_batched_kernelIiLi16ELi16ELi64ELi64ELi4ELi64ELi4ELi4ELi64ELc84ELc84EKPKaKPKiKPiEEvlllT_PT11_llSB_llS9_PT12_llPT13_lli.kd
    .uniform_work_group_size: 1
    .uses_dynamic_stack: false
    .vgpr_count:     70
    .vgpr_spill_count: 0
    .wavefront_size: 32
  - .args:
      - .offset:         0
        .size:           8
        .value_kind:     by_value
      - .offset:         8
        .size:           8
        .value_kind:     by_value
      - .offset:         16
        .size:           8
        .value_kind:     by_value
      - .offset:         24
        .size:           4
        .value_kind:     by_value
      - .address_space:  global
        .offset:         32
        .size:           8
        .value_kind:     global_buffer
      - .offset:         40
        .size:           8
        .value_kind:     by_value
      - .offset:         48
        .size:           8
        .value_kind:     by_value
      - .address_space:  global
        .offset:         56
        .size:           8
        .value_kind:     global_buffer
      - .offset:         64
        .size:           8
        .value_kind:     by_value
      - .offset:         72
        .size:           8
        .value_kind:     by_value
      - .offset:         80
        .size:           4
        .value_kind:     by_value
      - .address_space:  global
        .offset:         88
        .size:           8
        .value_kind:     global_buffer
      - .offset:         96
        .size:           8
        .value_kind:     by_value
      - .offset:         104
        .size:           8
        .value_kind:     by_value
      - .address_space:  global
        .offset:         112
        .size:           8
        .value_kind:     global_buffer
      - .offset:         120
        .size:           8
        .value_kind:     by_value
      - .offset:         128
        .size:           8
        .value_kind:     by_value
      - .offset:         136
        .size:           4
        .value_kind:     by_value
    .group_segment_fixed_size: 2048
    .kernarg_segment_align: 8
    .kernarg_segment_size: 140
    .language:       OpenCL C
    .language_version:
      - 2
      - 0
    .max_flat_workgroup_size: 256
    .name:           _ZN12_GLOBAL__N_127rocblas_gemm_batched_kernelIiLi16ELi16ELi64ELi64ELi4ELi64ELi4ELi4ELi64ELc67ELc67EKPKaKPKiKPiEEvlllT_PT11_llSB_llS9_PT12_llPT13_lli
    .private_segment_fixed_size: 0
    .sgpr_count:     40
    .sgpr_spill_count: 0
    .symbol:         _ZN12_GLOBAL__N_127rocblas_gemm_batched_kernelIiLi16ELi16ELi64ELi64ELi4ELi64ELi4ELi4ELi64ELc67ELc67EKPKaKPKiKPiEEvlllT_PT11_llSB_llS9_PT12_llPT13_lli.kd
    .uniform_work_group_size: 1
    .uses_dynamic_stack: false
    .vgpr_count:     70
    .vgpr_spill_count: 0
    .wavefront_size: 32
  - .args:
      - .offset:         0
        .size:           8
        .value_kind:     by_value
      - .offset:         8
        .size:           8
        .value_kind:     by_value
      - .offset:         16
        .size:           8
        .value_kind:     by_value
      - .offset:         24
        .size:           4
        .value_kind:     by_value
      - .address_space:  global
        .offset:         32
        .size:           8
        .value_kind:     global_buffer
      - .offset:         40
        .size:           8
        .value_kind:     by_value
      - .offset:         48
        .size:           8
        .value_kind:     by_value
      - .address_space:  global
        .offset:         56
        .size:           8
        .value_kind:     global_buffer
      - .offset:         64
        .size:           8
        .value_kind:     by_value
      - .offset:         72
        .size:           8
        .value_kind:     by_value
      - .offset:         80
        .size:           4
        .value_kind:     by_value
      - .address_space:  global
        .offset:         88
        .size:           8
        .value_kind:     global_buffer
      - .offset:         96
        .size:           8
        .value_kind:     by_value
      - .offset:         104
        .size:           8
        .value_kind:     by_value
      - .address_space:  global
        .offset:         112
        .size:           8
        .value_kind:     global_buffer
      - .offset:         120
        .size:           8
        .value_kind:     by_value
      - .offset:         128
        .size:           8
        .value_kind:     by_value
      - .offset:         136
        .size:           4
        .value_kind:     by_value
    .group_segment_fixed_size: 2048
    .kernarg_segment_align: 8
    .kernarg_segment_size: 140
    .language:       OpenCL C
    .language_version:
      - 2
      - 0
    .max_flat_workgroup_size: 256
    .name:           _ZN12_GLOBAL__N_127rocblas_gemm_batched_kernelIiLi16ELi16ELi64ELi64ELi4ELi64ELi4ELi4ELi64ELc67ELc78EKPKaKPKiKPiEEvlllT_PT11_llSB_llS9_PT12_llPT13_lli
    .private_segment_fixed_size: 0
    .sgpr_count:     40
    .sgpr_spill_count: 0
    .symbol:         _ZN12_GLOBAL__N_127rocblas_gemm_batched_kernelIiLi16ELi16ELi64ELi64ELi4ELi64ELi4ELi4ELi64ELc67ELc78EKPKaKPKiKPiEEvlllT_PT11_llSB_llS9_PT12_llPT13_lli.kd
    .uniform_work_group_size: 1
    .uses_dynamic_stack: false
    .vgpr_count:     70
    .vgpr_spill_count: 0
    .wavefront_size: 32
  - .args:
      - .offset:         0
        .size:           8
        .value_kind:     by_value
      - .offset:         8
        .size:           8
        .value_kind:     by_value
      - .offset:         16
        .size:           8
        .value_kind:     by_value
      - .offset:         24
        .size:           4
        .value_kind:     by_value
      - .address_space:  global
        .offset:         32
        .size:           8
        .value_kind:     global_buffer
      - .offset:         40
        .size:           8
        .value_kind:     by_value
      - .offset:         48
        .size:           8
        .value_kind:     by_value
      - .address_space:  global
        .offset:         56
        .size:           8
        .value_kind:     global_buffer
      - .offset:         64
        .size:           8
        .value_kind:     by_value
      - .offset:         72
        .size:           8
        .value_kind:     by_value
      - .offset:         80
        .size:           4
        .value_kind:     by_value
      - .address_space:  global
        .offset:         88
        .size:           8
        .value_kind:     global_buffer
      - .offset:         96
        .size:           8
        .value_kind:     by_value
      - .offset:         104
        .size:           8
        .value_kind:     by_value
      - .address_space:  global
        .offset:         112
        .size:           8
        .value_kind:     global_buffer
      - .offset:         120
        .size:           8
        .value_kind:     by_value
      - .offset:         128
        .size:           8
        .value_kind:     by_value
      - .offset:         136
        .size:           4
        .value_kind:     by_value
    .group_segment_fixed_size: 2048
    .kernarg_segment_align: 8
    .kernarg_segment_size: 140
    .language:       OpenCL C
    .language_version:
      - 2
      - 0
    .max_flat_workgroup_size: 256
    .name:           _ZN12_GLOBAL__N_127rocblas_gemm_batched_kernelIiLi16ELi16ELi64ELi64ELi4ELi64ELi4ELi4ELi64ELc67ELc84EKPKaKPKiKPiEEvlllT_PT11_llSB_llS9_PT12_llPT13_lli
    .private_segment_fixed_size: 0
    .sgpr_count:     40
    .sgpr_spill_count: 0
    .symbol:         _ZN12_GLOBAL__N_127rocblas_gemm_batched_kernelIiLi16ELi16ELi64ELi64ELi4ELi64ELi4ELi4ELi64ELc67ELc84EKPKaKPKiKPiEEvlllT_PT11_llSB_llS9_PT12_llPT13_lli.kd
    .uniform_work_group_size: 1
    .uses_dynamic_stack: false
    .vgpr_count:     70
    .vgpr_spill_count: 0
    .wavefront_size: 32
  - .args:
      - .offset:         0
        .size:           8
        .value_kind:     by_value
      - .offset:         8
        .size:           8
        .value_kind:     by_value
      - .offset:         16
        .size:           8
        .value_kind:     by_value
      - .offset:         24
        .size:           4
        .value_kind:     by_value
      - .address_space:  global
        .offset:         32
        .size:           8
        .value_kind:     global_buffer
      - .offset:         40
        .size:           8
        .value_kind:     by_value
      - .offset:         48
        .size:           8
        .value_kind:     by_value
      - .address_space:  global
        .offset:         56
        .size:           8
        .value_kind:     global_buffer
      - .offset:         64
        .size:           8
        .value_kind:     by_value
      - .offset:         72
        .size:           8
        .value_kind:     by_value
      - .offset:         80
        .size:           4
        .value_kind:     by_value
      - .address_space:  global
        .offset:         88
        .size:           8
        .value_kind:     global_buffer
      - .offset:         96
        .size:           8
        .value_kind:     by_value
      - .offset:         104
        .size:           8
        .value_kind:     by_value
      - .address_space:  global
        .offset:         112
        .size:           8
        .value_kind:     global_buffer
      - .offset:         120
        .size:           8
        .value_kind:     by_value
      - .offset:         128
        .size:           8
        .value_kind:     by_value
      - .offset:         136
        .size:           4
        .value_kind:     by_value
    .group_segment_fixed_size: 2048
    .kernarg_segment_align: 8
    .kernarg_segment_size: 140
    .language:       OpenCL C
    .language_version:
      - 2
      - 0
    .max_flat_workgroup_size: 256
    .name:           _ZN12_GLOBAL__N_127rocblas_gemm_batched_kernelIiLi16ELi16ELi64ELi64ELi4ELi64ELi4ELi4ELi64ELc78ELc67EKPKaKPKiKPiEEvlllT_PT11_llSB_llS9_PT12_llPT13_lli
    .private_segment_fixed_size: 0
    .sgpr_count:     40
    .sgpr_spill_count: 0
    .symbol:         _ZN12_GLOBAL__N_127rocblas_gemm_batched_kernelIiLi16ELi16ELi64ELi64ELi4ELi64ELi4ELi4ELi64ELc78ELc67EKPKaKPKiKPiEEvlllT_PT11_llSB_llS9_PT12_llPT13_lli.kd
    .uniform_work_group_size: 1
    .uses_dynamic_stack: false
    .vgpr_count:     70
    .vgpr_spill_count: 0
    .wavefront_size: 32
  - .args:
      - .offset:         0
        .size:           8
        .value_kind:     by_value
      - .offset:         8
        .size:           8
        .value_kind:     by_value
      - .offset:         16
        .size:           8
        .value_kind:     by_value
      - .offset:         24
        .size:           4
        .value_kind:     by_value
      - .address_space:  global
        .offset:         32
        .size:           8
        .value_kind:     global_buffer
      - .offset:         40
        .size:           8
        .value_kind:     by_value
      - .offset:         48
        .size:           8
        .value_kind:     by_value
      - .address_space:  global
        .offset:         56
        .size:           8
        .value_kind:     global_buffer
      - .offset:         64
        .size:           8
        .value_kind:     by_value
      - .offset:         72
        .size:           8
        .value_kind:     by_value
      - .offset:         80
        .size:           4
        .value_kind:     by_value
      - .address_space:  global
        .offset:         88
        .size:           8
        .value_kind:     global_buffer
      - .offset:         96
        .size:           8
        .value_kind:     by_value
      - .offset:         104
        .size:           8
        .value_kind:     by_value
      - .address_space:  global
        .offset:         112
        .size:           8
        .value_kind:     global_buffer
      - .offset:         120
        .size:           8
        .value_kind:     by_value
      - .offset:         128
        .size:           8
        .value_kind:     by_value
      - .offset:         136
        .size:           4
        .value_kind:     by_value
    .group_segment_fixed_size: 2048
    .kernarg_segment_align: 8
    .kernarg_segment_size: 140
    .language:       OpenCL C
    .language_version:
      - 2
      - 0
    .max_flat_workgroup_size: 256
    .name:           _ZN12_GLOBAL__N_127rocblas_gemm_batched_kernelIiLi16ELi16ELi64ELi64ELi4ELi64ELi4ELi4ELi64ELc84ELc67EKPKaKPKiKPiEEvlllT_PT11_llSB_llS9_PT12_llPT13_lli
    .private_segment_fixed_size: 0
    .sgpr_count:     40
    .sgpr_spill_count: 0
    .symbol:         _ZN12_GLOBAL__N_127rocblas_gemm_batched_kernelIiLi16ELi16ELi64ELi64ELi4ELi64ELi4ELi4ELi64ELc84ELc67EKPKaKPKiKPiEEvlllT_PT11_llSB_llS9_PT12_llPT13_lli.kd
    .uniform_work_group_size: 1
    .uses_dynamic_stack: false
    .vgpr_count:     70
    .vgpr_spill_count: 0
    .wavefront_size: 32
  - .args:
      - .offset:         0
        .size:           8
        .value_kind:     by_value
      - .offset:         8
        .size:           8
        .value_kind:     by_value
      - .offset:         16
        .size:           8
        .value_kind:     by_value
      - .offset:         24
        .size:           4
        .value_kind:     by_value
      - .address_space:  global
        .offset:         32
        .size:           8
        .value_kind:     global_buffer
      - .offset:         40
        .size:           8
        .value_kind:     by_value
      - .offset:         48
        .size:           8
        .value_kind:     by_value
      - .address_space:  global
        .offset:         56
        .size:           8
        .value_kind:     global_buffer
      - .offset:         64
        .size:           8
        .value_kind:     by_value
      - .offset:         72
        .size:           8
        .value_kind:     by_value
      - .offset:         80
        .size:           4
        .value_kind:     by_value
      - .address_space:  global
        .offset:         88
        .size:           8
        .value_kind:     global_buffer
      - .offset:         96
        .size:           8
        .value_kind:     by_value
      - .offset:         104
        .size:           8
        .value_kind:     by_value
      - .address_space:  global
        .offset:         112
        .size:           8
        .value_kind:     global_buffer
      - .offset:         120
        .size:           8
        .value_kind:     by_value
      - .offset:         128
        .size:           8
        .value_kind:     by_value
      - .offset:         136
        .size:           4
        .value_kind:     by_value
    .group_segment_fixed_size: 2048
    .kernarg_segment_align: 8
    .kernarg_segment_size: 140
    .language:       OpenCL C
    .language_version:
      - 2
      - 0
    .max_flat_workgroup_size: 256
    .name:           _ZN12_GLOBAL__N_127rocblas_gemm_batched_kernelIiLi16ELi16ELi32ELi32ELi8ELi32ELi8ELi8ELi32ELc78ELc78EKPKaKPKiKPiEEvlllT_PT11_llSB_llS9_PT12_llPT13_lli
    .private_segment_fixed_size: 0
    .sgpr_count:     38
    .sgpr_spill_count: 0
    .symbol:         _ZN12_GLOBAL__N_127rocblas_gemm_batched_kernelIiLi16ELi16ELi32ELi32ELi8ELi32ELi8ELi8ELi32ELc78ELc78EKPKaKPKiKPiEEvlllT_PT11_llSB_llS9_PT12_llPT13_lli.kd
    .uniform_work_group_size: 1
    .uses_dynamic_stack: false
    .vgpr_count:     46
    .vgpr_spill_count: 0
    .wavefront_size: 32
  - .args:
      - .offset:         0
        .size:           8
        .value_kind:     by_value
      - .offset:         8
        .size:           8
        .value_kind:     by_value
      - .offset:         16
        .size:           8
        .value_kind:     by_value
      - .offset:         24
        .size:           4
        .value_kind:     by_value
      - .address_space:  global
        .offset:         32
        .size:           8
        .value_kind:     global_buffer
      - .offset:         40
        .size:           8
        .value_kind:     by_value
      - .offset:         48
        .size:           8
        .value_kind:     by_value
      - .address_space:  global
        .offset:         56
        .size:           8
        .value_kind:     global_buffer
      - .offset:         64
        .size:           8
        .value_kind:     by_value
      - .offset:         72
        .size:           8
        .value_kind:     by_value
      - .offset:         80
        .size:           4
        .value_kind:     by_value
      - .address_space:  global
        .offset:         88
        .size:           8
        .value_kind:     global_buffer
      - .offset:         96
        .size:           8
        .value_kind:     by_value
      - .offset:         104
        .size:           8
        .value_kind:     by_value
      - .address_space:  global
        .offset:         112
        .size:           8
        .value_kind:     global_buffer
      - .offset:         120
        .size:           8
        .value_kind:     by_value
      - .offset:         128
        .size:           8
        .value_kind:     by_value
      - .offset:         136
        .size:           4
        .value_kind:     by_value
    .group_segment_fixed_size: 2048
    .kernarg_segment_align: 8
    .kernarg_segment_size: 140
    .language:       OpenCL C
    .language_version:
      - 2
      - 0
    .max_flat_workgroup_size: 256
    .name:           _ZN12_GLOBAL__N_127rocblas_gemm_batched_kernelIiLi16ELi16ELi32ELi32ELi8ELi32ELi8ELi8ELi32ELc84ELc78EKPKaKPKiKPiEEvlllT_PT11_llSB_llS9_PT12_llPT13_lli
    .private_segment_fixed_size: 0
    .sgpr_count:     40
    .sgpr_spill_count: 0
    .symbol:         _ZN12_GLOBAL__N_127rocblas_gemm_batched_kernelIiLi16ELi16ELi32ELi32ELi8ELi32ELi8ELi8ELi32ELc84ELc78EKPKaKPKiKPiEEvlllT_PT11_llSB_llS9_PT12_llPT13_lli.kd
    .uniform_work_group_size: 1
    .uses_dynamic_stack: false
    .vgpr_count:     46
    .vgpr_spill_count: 0
    .wavefront_size: 32
  - .args:
      - .offset:         0
        .size:           8
        .value_kind:     by_value
      - .offset:         8
        .size:           8
        .value_kind:     by_value
      - .offset:         16
        .size:           8
        .value_kind:     by_value
      - .offset:         24
        .size:           4
        .value_kind:     by_value
      - .address_space:  global
        .offset:         32
        .size:           8
        .value_kind:     global_buffer
      - .offset:         40
        .size:           8
        .value_kind:     by_value
      - .offset:         48
        .size:           8
        .value_kind:     by_value
      - .address_space:  global
        .offset:         56
        .size:           8
        .value_kind:     global_buffer
      - .offset:         64
        .size:           8
        .value_kind:     by_value
      - .offset:         72
        .size:           8
        .value_kind:     by_value
      - .offset:         80
        .size:           4
        .value_kind:     by_value
      - .address_space:  global
        .offset:         88
        .size:           8
        .value_kind:     global_buffer
      - .offset:         96
        .size:           8
        .value_kind:     by_value
      - .offset:         104
        .size:           8
        .value_kind:     by_value
      - .address_space:  global
        .offset:         112
        .size:           8
        .value_kind:     global_buffer
      - .offset:         120
        .size:           8
        .value_kind:     by_value
      - .offset:         128
        .size:           8
        .value_kind:     by_value
      - .offset:         136
        .size:           4
        .value_kind:     by_value
    .group_segment_fixed_size: 2048
    .kernarg_segment_align: 8
    .kernarg_segment_size: 140
    .language:       OpenCL C
    .language_version:
      - 2
      - 0
    .max_flat_workgroup_size: 256
    .name:           _ZN12_GLOBAL__N_127rocblas_gemm_batched_kernelIiLi16ELi16ELi32ELi32ELi8ELi32ELi8ELi8ELi32ELc78ELc84EKPKaKPKiKPiEEvlllT_PT11_llSB_llS9_PT12_llPT13_lli
    .private_segment_fixed_size: 0
    .sgpr_count:     40
    .sgpr_spill_count: 0
    .symbol:         _ZN12_GLOBAL__N_127rocblas_gemm_batched_kernelIiLi16ELi16ELi32ELi32ELi8ELi32ELi8ELi8ELi32ELc78ELc84EKPKaKPKiKPiEEvlllT_PT11_llSB_llS9_PT12_llPT13_lli.kd
    .uniform_work_group_size: 1
    .uses_dynamic_stack: false
    .vgpr_count:     46
    .vgpr_spill_count: 0
    .wavefront_size: 32
  - .args:
      - .offset:         0
        .size:           8
        .value_kind:     by_value
      - .offset:         8
        .size:           8
        .value_kind:     by_value
      - .offset:         16
        .size:           8
        .value_kind:     by_value
      - .offset:         24
        .size:           4
        .value_kind:     by_value
      - .address_space:  global
        .offset:         32
        .size:           8
        .value_kind:     global_buffer
      - .offset:         40
        .size:           8
        .value_kind:     by_value
      - .offset:         48
        .size:           8
        .value_kind:     by_value
      - .address_space:  global
        .offset:         56
        .size:           8
        .value_kind:     global_buffer
      - .offset:         64
        .size:           8
        .value_kind:     by_value
      - .offset:         72
        .size:           8
        .value_kind:     by_value
      - .offset:         80
        .size:           4
        .value_kind:     by_value
      - .address_space:  global
        .offset:         88
        .size:           8
        .value_kind:     global_buffer
      - .offset:         96
        .size:           8
        .value_kind:     by_value
      - .offset:         104
        .size:           8
        .value_kind:     by_value
      - .address_space:  global
        .offset:         112
        .size:           8
        .value_kind:     global_buffer
      - .offset:         120
        .size:           8
        .value_kind:     by_value
      - .offset:         128
        .size:           8
        .value_kind:     by_value
      - .offset:         136
        .size:           4
        .value_kind:     by_value
    .group_segment_fixed_size: 2048
    .kernarg_segment_align: 8
    .kernarg_segment_size: 140
    .language:       OpenCL C
    .language_version:
      - 2
      - 0
    .max_flat_workgroup_size: 256
    .name:           _ZN12_GLOBAL__N_127rocblas_gemm_batched_kernelIiLi16ELi16ELi32ELi32ELi8ELi32ELi8ELi8ELi32ELc84ELc84EKPKaKPKiKPiEEvlllT_PT11_llSB_llS9_PT12_llPT13_lli
    .private_segment_fixed_size: 0
    .sgpr_count:     40
    .sgpr_spill_count: 0
    .symbol:         _ZN12_GLOBAL__N_127rocblas_gemm_batched_kernelIiLi16ELi16ELi32ELi32ELi8ELi32ELi8ELi8ELi32ELc84ELc84EKPKaKPKiKPiEEvlllT_PT11_llSB_llS9_PT12_llPT13_lli.kd
    .uniform_work_group_size: 1
    .uses_dynamic_stack: false
    .vgpr_count:     46
    .vgpr_spill_count: 0
    .wavefront_size: 32
  - .args:
      - .offset:         0
        .size:           8
        .value_kind:     by_value
      - .offset:         8
        .size:           8
        .value_kind:     by_value
      - .offset:         16
        .size:           8
        .value_kind:     by_value
      - .offset:         24
        .size:           4
        .value_kind:     by_value
      - .address_space:  global
        .offset:         32
        .size:           8
        .value_kind:     global_buffer
      - .offset:         40
        .size:           8
        .value_kind:     by_value
      - .offset:         48
        .size:           8
        .value_kind:     by_value
      - .address_space:  global
        .offset:         56
        .size:           8
        .value_kind:     global_buffer
      - .offset:         64
        .size:           8
        .value_kind:     by_value
      - .offset:         72
        .size:           8
        .value_kind:     by_value
      - .offset:         80
        .size:           4
        .value_kind:     by_value
      - .address_space:  global
        .offset:         88
        .size:           8
        .value_kind:     global_buffer
      - .offset:         96
        .size:           8
        .value_kind:     by_value
      - .offset:         104
        .size:           8
        .value_kind:     by_value
      - .address_space:  global
        .offset:         112
        .size:           8
        .value_kind:     global_buffer
      - .offset:         120
        .size:           8
        .value_kind:     by_value
      - .offset:         128
        .size:           8
        .value_kind:     by_value
      - .offset:         136
        .size:           4
        .value_kind:     by_value
    .group_segment_fixed_size: 2048
    .kernarg_segment_align: 8
    .kernarg_segment_size: 140
    .language:       OpenCL C
    .language_version:
      - 2
      - 0
    .max_flat_workgroup_size: 256
    .name:           _ZN12_GLOBAL__N_127rocblas_gemm_batched_kernelIiLi16ELi16ELi32ELi32ELi8ELi32ELi8ELi8ELi32ELc67ELc67EKPKaKPKiKPiEEvlllT_PT11_llSB_llS9_PT12_llPT13_lli
    .private_segment_fixed_size: 0
    .sgpr_count:     40
    .sgpr_spill_count: 0
    .symbol:         _ZN12_GLOBAL__N_127rocblas_gemm_batched_kernelIiLi16ELi16ELi32ELi32ELi8ELi32ELi8ELi8ELi32ELc67ELc67EKPKaKPKiKPiEEvlllT_PT11_llSB_llS9_PT12_llPT13_lli.kd
    .uniform_work_group_size: 1
    .uses_dynamic_stack: false
    .vgpr_count:     46
    .vgpr_spill_count: 0
    .wavefront_size: 32
  - .args:
      - .offset:         0
        .size:           8
        .value_kind:     by_value
      - .offset:         8
        .size:           8
        .value_kind:     by_value
      - .offset:         16
        .size:           8
        .value_kind:     by_value
      - .offset:         24
        .size:           4
        .value_kind:     by_value
      - .address_space:  global
        .offset:         32
        .size:           8
        .value_kind:     global_buffer
      - .offset:         40
        .size:           8
        .value_kind:     by_value
      - .offset:         48
        .size:           8
        .value_kind:     by_value
      - .address_space:  global
        .offset:         56
        .size:           8
        .value_kind:     global_buffer
      - .offset:         64
        .size:           8
        .value_kind:     by_value
      - .offset:         72
        .size:           8
        .value_kind:     by_value
      - .offset:         80
        .size:           4
        .value_kind:     by_value
      - .address_space:  global
        .offset:         88
        .size:           8
        .value_kind:     global_buffer
      - .offset:         96
        .size:           8
        .value_kind:     by_value
      - .offset:         104
        .size:           8
        .value_kind:     by_value
      - .address_space:  global
        .offset:         112
        .size:           8
        .value_kind:     global_buffer
      - .offset:         120
        .size:           8
        .value_kind:     by_value
      - .offset:         128
        .size:           8
        .value_kind:     by_value
      - .offset:         136
        .size:           4
        .value_kind:     by_value
    .group_segment_fixed_size: 2048
    .kernarg_segment_align: 8
    .kernarg_segment_size: 140
    .language:       OpenCL C
    .language_version:
      - 2
      - 0
    .max_flat_workgroup_size: 256
    .name:           _ZN12_GLOBAL__N_127rocblas_gemm_batched_kernelIiLi16ELi16ELi32ELi32ELi8ELi32ELi8ELi8ELi32ELc67ELc78EKPKaKPKiKPiEEvlllT_PT11_llSB_llS9_PT12_llPT13_lli
    .private_segment_fixed_size: 0
    .sgpr_count:     40
    .sgpr_spill_count: 0
    .symbol:         _ZN12_GLOBAL__N_127rocblas_gemm_batched_kernelIiLi16ELi16ELi32ELi32ELi8ELi32ELi8ELi8ELi32ELc67ELc78EKPKaKPKiKPiEEvlllT_PT11_llSB_llS9_PT12_llPT13_lli.kd
    .uniform_work_group_size: 1
    .uses_dynamic_stack: false
    .vgpr_count:     46
    .vgpr_spill_count: 0
    .wavefront_size: 32
  - .args:
      - .offset:         0
        .size:           8
        .value_kind:     by_value
      - .offset:         8
        .size:           8
        .value_kind:     by_value
      - .offset:         16
        .size:           8
        .value_kind:     by_value
      - .offset:         24
        .size:           4
        .value_kind:     by_value
      - .address_space:  global
        .offset:         32
        .size:           8
        .value_kind:     global_buffer
      - .offset:         40
        .size:           8
        .value_kind:     by_value
      - .offset:         48
        .size:           8
        .value_kind:     by_value
      - .address_space:  global
        .offset:         56
        .size:           8
        .value_kind:     global_buffer
      - .offset:         64
        .size:           8
        .value_kind:     by_value
      - .offset:         72
        .size:           8
        .value_kind:     by_value
      - .offset:         80
        .size:           4
        .value_kind:     by_value
      - .address_space:  global
        .offset:         88
        .size:           8
        .value_kind:     global_buffer
      - .offset:         96
        .size:           8
        .value_kind:     by_value
      - .offset:         104
        .size:           8
        .value_kind:     by_value
      - .address_space:  global
        .offset:         112
        .size:           8
        .value_kind:     global_buffer
      - .offset:         120
        .size:           8
        .value_kind:     by_value
      - .offset:         128
        .size:           8
        .value_kind:     by_value
      - .offset:         136
        .size:           4
        .value_kind:     by_value
    .group_segment_fixed_size: 2048
    .kernarg_segment_align: 8
    .kernarg_segment_size: 140
    .language:       OpenCL C
    .language_version:
      - 2
      - 0
    .max_flat_workgroup_size: 256
    .name:           _ZN12_GLOBAL__N_127rocblas_gemm_batched_kernelIiLi16ELi16ELi32ELi32ELi8ELi32ELi8ELi8ELi32ELc67ELc84EKPKaKPKiKPiEEvlllT_PT11_llSB_llS9_PT12_llPT13_lli
    .private_segment_fixed_size: 0
    .sgpr_count:     40
    .sgpr_spill_count: 0
    .symbol:         _ZN12_GLOBAL__N_127rocblas_gemm_batched_kernelIiLi16ELi16ELi32ELi32ELi8ELi32ELi8ELi8ELi32ELc67ELc84EKPKaKPKiKPiEEvlllT_PT11_llSB_llS9_PT12_llPT13_lli.kd
    .uniform_work_group_size: 1
    .uses_dynamic_stack: false
    .vgpr_count:     46
    .vgpr_spill_count: 0
    .wavefront_size: 32
  - .args:
      - .offset:         0
        .size:           8
        .value_kind:     by_value
      - .offset:         8
        .size:           8
        .value_kind:     by_value
      - .offset:         16
        .size:           8
        .value_kind:     by_value
      - .offset:         24
        .size:           4
        .value_kind:     by_value
      - .address_space:  global
        .offset:         32
        .size:           8
        .value_kind:     global_buffer
      - .offset:         40
        .size:           8
        .value_kind:     by_value
      - .offset:         48
        .size:           8
        .value_kind:     by_value
      - .address_space:  global
        .offset:         56
        .size:           8
        .value_kind:     global_buffer
      - .offset:         64
        .size:           8
        .value_kind:     by_value
      - .offset:         72
        .size:           8
        .value_kind:     by_value
      - .offset:         80
        .size:           4
        .value_kind:     by_value
      - .address_space:  global
        .offset:         88
        .size:           8
        .value_kind:     global_buffer
      - .offset:         96
        .size:           8
        .value_kind:     by_value
      - .offset:         104
        .size:           8
        .value_kind:     by_value
      - .address_space:  global
        .offset:         112
        .size:           8
        .value_kind:     global_buffer
      - .offset:         120
        .size:           8
        .value_kind:     by_value
      - .offset:         128
        .size:           8
        .value_kind:     by_value
      - .offset:         136
        .size:           4
        .value_kind:     by_value
    .group_segment_fixed_size: 2048
    .kernarg_segment_align: 8
    .kernarg_segment_size: 140
    .language:       OpenCL C
    .language_version:
      - 2
      - 0
    .max_flat_workgroup_size: 256
    .name:           _ZN12_GLOBAL__N_127rocblas_gemm_batched_kernelIiLi16ELi16ELi32ELi32ELi8ELi32ELi8ELi8ELi32ELc78ELc67EKPKaKPKiKPiEEvlllT_PT11_llSB_llS9_PT12_llPT13_lli
    .private_segment_fixed_size: 0
    .sgpr_count:     40
    .sgpr_spill_count: 0
    .symbol:         _ZN12_GLOBAL__N_127rocblas_gemm_batched_kernelIiLi16ELi16ELi32ELi32ELi8ELi32ELi8ELi8ELi32ELc78ELc67EKPKaKPKiKPiEEvlllT_PT11_llSB_llS9_PT12_llPT13_lli.kd
    .uniform_work_group_size: 1
    .uses_dynamic_stack: false
    .vgpr_count:     46
    .vgpr_spill_count: 0
    .wavefront_size: 32
  - .args:
      - .offset:         0
        .size:           8
        .value_kind:     by_value
      - .offset:         8
        .size:           8
        .value_kind:     by_value
      - .offset:         16
        .size:           8
        .value_kind:     by_value
      - .offset:         24
        .size:           4
        .value_kind:     by_value
      - .address_space:  global
        .offset:         32
        .size:           8
        .value_kind:     global_buffer
      - .offset:         40
        .size:           8
        .value_kind:     by_value
      - .offset:         48
        .size:           8
        .value_kind:     by_value
      - .address_space:  global
        .offset:         56
        .size:           8
        .value_kind:     global_buffer
      - .offset:         64
        .size:           8
        .value_kind:     by_value
      - .offset:         72
        .size:           8
        .value_kind:     by_value
      - .offset:         80
        .size:           4
        .value_kind:     by_value
      - .address_space:  global
        .offset:         88
        .size:           8
        .value_kind:     global_buffer
      - .offset:         96
        .size:           8
        .value_kind:     by_value
      - .offset:         104
        .size:           8
        .value_kind:     by_value
      - .address_space:  global
        .offset:         112
        .size:           8
        .value_kind:     global_buffer
      - .offset:         120
        .size:           8
        .value_kind:     by_value
      - .offset:         128
        .size:           8
        .value_kind:     by_value
      - .offset:         136
        .size:           4
        .value_kind:     by_value
    .group_segment_fixed_size: 2048
    .kernarg_segment_align: 8
    .kernarg_segment_size: 140
    .language:       OpenCL C
    .language_version:
      - 2
      - 0
    .max_flat_workgroup_size: 256
    .name:           _ZN12_GLOBAL__N_127rocblas_gemm_batched_kernelIiLi16ELi16ELi32ELi32ELi8ELi32ELi8ELi8ELi32ELc84ELc67EKPKaKPKiKPiEEvlllT_PT11_llSB_llS9_PT12_llPT13_lli
    .private_segment_fixed_size: 0
    .sgpr_count:     40
    .sgpr_spill_count: 0
    .symbol:         _ZN12_GLOBAL__N_127rocblas_gemm_batched_kernelIiLi16ELi16ELi32ELi32ELi8ELi32ELi8ELi8ELi32ELc84ELc67EKPKaKPKiKPiEEvlllT_PT11_llSB_llS9_PT12_llPT13_lli.kd
    .uniform_work_group_size: 1
    .uses_dynamic_stack: false
    .vgpr_count:     46
    .vgpr_spill_count: 0
    .wavefront_size: 32
  - .args:
      - .offset:         0
        .size:           8
        .value_kind:     by_value
      - .offset:         8
        .size:           8
        .value_kind:     by_value
      - .offset:         16
        .size:           8
        .value_kind:     by_value
      - .offset:         24
        .size:           4
        .value_kind:     by_value
      - .address_space:  global
        .offset:         32
        .size:           8
        .value_kind:     global_buffer
      - .offset:         40
        .size:           8
        .value_kind:     by_value
      - .offset:         48
        .size:           8
        .value_kind:     by_value
      - .address_space:  global
        .offset:         56
        .size:           8
        .value_kind:     global_buffer
      - .offset:         64
        .size:           8
        .value_kind:     by_value
      - .offset:         72
        .size:           8
        .value_kind:     by_value
      - .offset:         80
        .size:           4
        .value_kind:     by_value
      - .address_space:  global
        .offset:         88
        .size:           8
        .value_kind:     global_buffer
      - .offset:         96
        .size:           8
        .value_kind:     by_value
      - .offset:         104
        .size:           8
        .value_kind:     by_value
      - .address_space:  global
        .offset:         112
        .size:           8
        .value_kind:     global_buffer
      - .offset:         120
        .size:           8
        .value_kind:     by_value
      - .offset:         128
        .size:           8
        .value_kind:     by_value
      - .offset:         136
        .size:           4
        .value_kind:     by_value
    .group_segment_fixed_size: 2048
    .kernarg_segment_align: 8
    .kernarg_segment_size: 140
    .language:       OpenCL C
    .language_version:
      - 2
      - 0
    .max_flat_workgroup_size: 256
    .name:           _ZN12_GLOBAL__N_135rocblas_gemm_batched_general_kernelIiLi16ELi16ELi32ELi32ELi8ELi32ELi8ELi8ELi32ELc78ELc78EKPKaKPKiKPiEEvlllT_PT11_llSB_llS9_PT12_llPT13_lli
    .private_segment_fixed_size: 0
    .sgpr_count:     44
    .sgpr_spill_count: 0
    .symbol:         _ZN12_GLOBAL__N_135rocblas_gemm_batched_general_kernelIiLi16ELi16ELi32ELi32ELi8ELi32ELi8ELi8ELi32ELc78ELc78EKPKaKPKiKPiEEvlllT_PT11_llSB_llS9_PT12_llPT13_lli.kd
    .uniform_work_group_size: 1
    .uses_dynamic_stack: false
    .vgpr_count:     52
    .vgpr_spill_count: 0
    .wavefront_size: 32
  - .args:
      - .offset:         0
        .size:           8
        .value_kind:     by_value
      - .offset:         8
        .size:           8
        .value_kind:     by_value
      - .offset:         16
        .size:           8
        .value_kind:     by_value
      - .offset:         24
        .size:           4
        .value_kind:     by_value
      - .address_space:  global
        .offset:         32
        .size:           8
        .value_kind:     global_buffer
      - .offset:         40
        .size:           8
        .value_kind:     by_value
      - .offset:         48
        .size:           8
        .value_kind:     by_value
      - .address_space:  global
        .offset:         56
        .size:           8
        .value_kind:     global_buffer
      - .offset:         64
        .size:           8
        .value_kind:     by_value
      - .offset:         72
        .size:           8
        .value_kind:     by_value
      - .offset:         80
        .size:           4
        .value_kind:     by_value
      - .address_space:  global
        .offset:         88
        .size:           8
        .value_kind:     global_buffer
      - .offset:         96
        .size:           8
        .value_kind:     by_value
      - .offset:         104
        .size:           8
        .value_kind:     by_value
      - .address_space:  global
        .offset:         112
        .size:           8
        .value_kind:     global_buffer
      - .offset:         120
        .size:           8
        .value_kind:     by_value
      - .offset:         128
        .size:           8
        .value_kind:     by_value
      - .offset:         136
        .size:           4
        .value_kind:     by_value
    .group_segment_fixed_size: 2048
    .kernarg_segment_align: 8
    .kernarg_segment_size: 140
    .language:       OpenCL C
    .language_version:
      - 2
      - 0
    .max_flat_workgroup_size: 256
    .name:           _ZN12_GLOBAL__N_135rocblas_gemm_batched_general_kernelIiLi16ELi16ELi32ELi32ELi8ELi32ELi8ELi8ELi32ELc84ELc78EKPKaKPKiKPiEEvlllT_PT11_llSB_llS9_PT12_llPT13_lli
    .private_segment_fixed_size: 0
    .sgpr_count:     44
    .sgpr_spill_count: 0
    .symbol:         _ZN12_GLOBAL__N_135rocblas_gemm_batched_general_kernelIiLi16ELi16ELi32ELi32ELi8ELi32ELi8ELi8ELi32ELc84ELc78EKPKaKPKiKPiEEvlllT_PT11_llSB_llS9_PT12_llPT13_lli.kd
    .uniform_work_group_size: 1
    .uses_dynamic_stack: false
    .vgpr_count:     52
    .vgpr_spill_count: 0
    .wavefront_size: 32
  - .args:
      - .offset:         0
        .size:           8
        .value_kind:     by_value
      - .offset:         8
        .size:           8
        .value_kind:     by_value
      - .offset:         16
        .size:           8
        .value_kind:     by_value
      - .offset:         24
        .size:           4
        .value_kind:     by_value
      - .address_space:  global
        .offset:         32
        .size:           8
        .value_kind:     global_buffer
      - .offset:         40
        .size:           8
        .value_kind:     by_value
      - .offset:         48
        .size:           8
        .value_kind:     by_value
      - .address_space:  global
        .offset:         56
        .size:           8
        .value_kind:     global_buffer
      - .offset:         64
        .size:           8
        .value_kind:     by_value
      - .offset:         72
        .size:           8
        .value_kind:     by_value
      - .offset:         80
        .size:           4
        .value_kind:     by_value
      - .address_space:  global
        .offset:         88
        .size:           8
        .value_kind:     global_buffer
      - .offset:         96
        .size:           8
        .value_kind:     by_value
      - .offset:         104
        .size:           8
        .value_kind:     by_value
      - .address_space:  global
        .offset:         112
        .size:           8
        .value_kind:     global_buffer
      - .offset:         120
        .size:           8
        .value_kind:     by_value
      - .offset:         128
        .size:           8
        .value_kind:     by_value
      - .offset:         136
        .size:           4
        .value_kind:     by_value
    .group_segment_fixed_size: 2048
    .kernarg_segment_align: 8
    .kernarg_segment_size: 140
    .language:       OpenCL C
    .language_version:
      - 2
      - 0
    .max_flat_workgroup_size: 256
    .name:           _ZN12_GLOBAL__N_135rocblas_gemm_batched_general_kernelIiLi16ELi16ELi32ELi32ELi8ELi32ELi8ELi8ELi32ELc78ELc84EKPKaKPKiKPiEEvlllT_PT11_llSB_llS9_PT12_llPT13_lli
    .private_segment_fixed_size: 0
    .sgpr_count:     44
    .sgpr_spill_count: 0
    .symbol:         _ZN12_GLOBAL__N_135rocblas_gemm_batched_general_kernelIiLi16ELi16ELi32ELi32ELi8ELi32ELi8ELi8ELi32ELc78ELc84EKPKaKPKiKPiEEvlllT_PT11_llSB_llS9_PT12_llPT13_lli.kd
    .uniform_work_group_size: 1
    .uses_dynamic_stack: false
    .vgpr_count:     52
    .vgpr_spill_count: 0
    .wavefront_size: 32
  - .args:
      - .offset:         0
        .size:           8
        .value_kind:     by_value
      - .offset:         8
        .size:           8
        .value_kind:     by_value
      - .offset:         16
        .size:           8
        .value_kind:     by_value
      - .offset:         24
        .size:           4
        .value_kind:     by_value
      - .address_space:  global
        .offset:         32
        .size:           8
        .value_kind:     global_buffer
      - .offset:         40
        .size:           8
        .value_kind:     by_value
      - .offset:         48
        .size:           8
        .value_kind:     by_value
      - .address_space:  global
        .offset:         56
        .size:           8
        .value_kind:     global_buffer
      - .offset:         64
        .size:           8
        .value_kind:     by_value
      - .offset:         72
        .size:           8
        .value_kind:     by_value
      - .offset:         80
        .size:           4
        .value_kind:     by_value
      - .address_space:  global
        .offset:         88
        .size:           8
        .value_kind:     global_buffer
      - .offset:         96
        .size:           8
        .value_kind:     by_value
      - .offset:         104
        .size:           8
        .value_kind:     by_value
      - .address_space:  global
        .offset:         112
        .size:           8
        .value_kind:     global_buffer
      - .offset:         120
        .size:           8
        .value_kind:     by_value
      - .offset:         128
        .size:           8
        .value_kind:     by_value
      - .offset:         136
        .size:           4
        .value_kind:     by_value
    .group_segment_fixed_size: 2048
    .kernarg_segment_align: 8
    .kernarg_segment_size: 140
    .language:       OpenCL C
    .language_version:
      - 2
      - 0
    .max_flat_workgroup_size: 256
    .name:           _ZN12_GLOBAL__N_135rocblas_gemm_batched_general_kernelIiLi16ELi16ELi32ELi32ELi8ELi32ELi8ELi8ELi32ELc84ELc84EKPKaKPKiKPiEEvlllT_PT11_llSB_llS9_PT12_llPT13_lli
    .private_segment_fixed_size: 0
    .sgpr_count:     46
    .sgpr_spill_count: 0
    .symbol:         _ZN12_GLOBAL__N_135rocblas_gemm_batched_general_kernelIiLi16ELi16ELi32ELi32ELi8ELi32ELi8ELi8ELi32ELc84ELc84EKPKaKPKiKPiEEvlllT_PT11_llSB_llS9_PT12_llPT13_lli.kd
    .uniform_work_group_size: 1
    .uses_dynamic_stack: false
    .vgpr_count:     52
    .vgpr_spill_count: 0
    .wavefront_size: 32
  - .args:
      - .offset:         0
        .size:           8
        .value_kind:     by_value
      - .offset:         8
        .size:           8
        .value_kind:     by_value
      - .offset:         16
        .size:           8
        .value_kind:     by_value
      - .offset:         24
        .size:           4
        .value_kind:     by_value
      - .address_space:  global
        .offset:         32
        .size:           8
        .value_kind:     global_buffer
      - .offset:         40
        .size:           8
        .value_kind:     by_value
      - .offset:         48
        .size:           8
        .value_kind:     by_value
      - .address_space:  global
        .offset:         56
        .size:           8
        .value_kind:     global_buffer
      - .offset:         64
        .size:           8
        .value_kind:     by_value
      - .offset:         72
        .size:           8
        .value_kind:     by_value
      - .offset:         80
        .size:           4
        .value_kind:     by_value
      - .address_space:  global
        .offset:         88
        .size:           8
        .value_kind:     global_buffer
      - .offset:         96
        .size:           8
        .value_kind:     by_value
      - .offset:         104
        .size:           8
        .value_kind:     by_value
      - .address_space:  global
        .offset:         112
        .size:           8
        .value_kind:     global_buffer
      - .offset:         120
        .size:           8
        .value_kind:     by_value
      - .offset:         128
        .size:           8
        .value_kind:     by_value
      - .offset:         136
        .size:           4
        .value_kind:     by_value
    .group_segment_fixed_size: 2048
    .kernarg_segment_align: 8
    .kernarg_segment_size: 140
    .language:       OpenCL C
    .language_version:
      - 2
      - 0
    .max_flat_workgroup_size: 256
    .name:           _ZN12_GLOBAL__N_135rocblas_gemm_batched_general_kernelIiLi16ELi16ELi32ELi32ELi8ELi32ELi8ELi8ELi32ELc67ELc67EKPKaKPKiKPiEEvlllT_PT11_llSB_llS9_PT12_llPT13_lli
    .private_segment_fixed_size: 0
    .sgpr_count:     46
    .sgpr_spill_count: 0
    .symbol:         _ZN12_GLOBAL__N_135rocblas_gemm_batched_general_kernelIiLi16ELi16ELi32ELi32ELi8ELi32ELi8ELi8ELi32ELc67ELc67EKPKaKPKiKPiEEvlllT_PT11_llSB_llS9_PT12_llPT13_lli.kd
    .uniform_work_group_size: 1
    .uses_dynamic_stack: false
    .vgpr_count:     52
    .vgpr_spill_count: 0
    .wavefront_size: 32
  - .args:
      - .offset:         0
        .size:           8
        .value_kind:     by_value
      - .offset:         8
        .size:           8
        .value_kind:     by_value
      - .offset:         16
        .size:           8
        .value_kind:     by_value
      - .offset:         24
        .size:           4
        .value_kind:     by_value
      - .address_space:  global
        .offset:         32
        .size:           8
        .value_kind:     global_buffer
      - .offset:         40
        .size:           8
        .value_kind:     by_value
      - .offset:         48
        .size:           8
        .value_kind:     by_value
      - .address_space:  global
        .offset:         56
        .size:           8
        .value_kind:     global_buffer
      - .offset:         64
        .size:           8
        .value_kind:     by_value
      - .offset:         72
        .size:           8
        .value_kind:     by_value
      - .offset:         80
        .size:           4
        .value_kind:     by_value
      - .address_space:  global
        .offset:         88
        .size:           8
        .value_kind:     global_buffer
      - .offset:         96
        .size:           8
        .value_kind:     by_value
      - .offset:         104
        .size:           8
        .value_kind:     by_value
      - .address_space:  global
        .offset:         112
        .size:           8
        .value_kind:     global_buffer
      - .offset:         120
        .size:           8
        .value_kind:     by_value
      - .offset:         128
        .size:           8
        .value_kind:     by_value
      - .offset:         136
        .size:           4
        .value_kind:     by_value
    .group_segment_fixed_size: 2048
    .kernarg_segment_align: 8
    .kernarg_segment_size: 140
    .language:       OpenCL C
    .language_version:
      - 2
      - 0
    .max_flat_workgroup_size: 256
    .name:           _ZN12_GLOBAL__N_135rocblas_gemm_batched_general_kernelIiLi16ELi16ELi32ELi32ELi8ELi32ELi8ELi8ELi32ELc67ELc78EKPKaKPKiKPiEEvlllT_PT11_llSB_llS9_PT12_llPT13_lli
    .private_segment_fixed_size: 0
    .sgpr_count:     44
    .sgpr_spill_count: 0
    .symbol:         _ZN12_GLOBAL__N_135rocblas_gemm_batched_general_kernelIiLi16ELi16ELi32ELi32ELi8ELi32ELi8ELi8ELi32ELc67ELc78EKPKaKPKiKPiEEvlllT_PT11_llSB_llS9_PT12_llPT13_lli.kd
    .uniform_work_group_size: 1
    .uses_dynamic_stack: false
    .vgpr_count:     52
    .vgpr_spill_count: 0
    .wavefront_size: 32
  - .args:
      - .offset:         0
        .size:           8
        .value_kind:     by_value
      - .offset:         8
        .size:           8
        .value_kind:     by_value
      - .offset:         16
        .size:           8
        .value_kind:     by_value
      - .offset:         24
        .size:           4
        .value_kind:     by_value
      - .address_space:  global
        .offset:         32
        .size:           8
        .value_kind:     global_buffer
      - .offset:         40
        .size:           8
        .value_kind:     by_value
      - .offset:         48
        .size:           8
        .value_kind:     by_value
      - .address_space:  global
        .offset:         56
        .size:           8
        .value_kind:     global_buffer
      - .offset:         64
        .size:           8
        .value_kind:     by_value
      - .offset:         72
        .size:           8
        .value_kind:     by_value
      - .offset:         80
        .size:           4
        .value_kind:     by_value
      - .address_space:  global
        .offset:         88
        .size:           8
        .value_kind:     global_buffer
      - .offset:         96
        .size:           8
        .value_kind:     by_value
      - .offset:         104
        .size:           8
        .value_kind:     by_value
      - .address_space:  global
        .offset:         112
        .size:           8
        .value_kind:     global_buffer
      - .offset:         120
        .size:           8
        .value_kind:     by_value
      - .offset:         128
        .size:           8
        .value_kind:     by_value
      - .offset:         136
        .size:           4
        .value_kind:     by_value
    .group_segment_fixed_size: 2048
    .kernarg_segment_align: 8
    .kernarg_segment_size: 140
    .language:       OpenCL C
    .language_version:
      - 2
      - 0
    .max_flat_workgroup_size: 256
    .name:           _ZN12_GLOBAL__N_135rocblas_gemm_batched_general_kernelIiLi16ELi16ELi32ELi32ELi8ELi32ELi8ELi8ELi32ELc67ELc84EKPKaKPKiKPiEEvlllT_PT11_llSB_llS9_PT12_llPT13_lli
    .private_segment_fixed_size: 0
    .sgpr_count:     46
    .sgpr_spill_count: 0
    .symbol:         _ZN12_GLOBAL__N_135rocblas_gemm_batched_general_kernelIiLi16ELi16ELi32ELi32ELi8ELi32ELi8ELi8ELi32ELc67ELc84EKPKaKPKiKPiEEvlllT_PT11_llSB_llS9_PT12_llPT13_lli.kd
    .uniform_work_group_size: 1
    .uses_dynamic_stack: false
    .vgpr_count:     52
    .vgpr_spill_count: 0
    .wavefront_size: 32
  - .args:
      - .offset:         0
        .size:           8
        .value_kind:     by_value
      - .offset:         8
        .size:           8
        .value_kind:     by_value
      - .offset:         16
        .size:           8
        .value_kind:     by_value
      - .offset:         24
        .size:           4
        .value_kind:     by_value
      - .address_space:  global
        .offset:         32
        .size:           8
        .value_kind:     global_buffer
      - .offset:         40
        .size:           8
        .value_kind:     by_value
      - .offset:         48
        .size:           8
        .value_kind:     by_value
      - .address_space:  global
        .offset:         56
        .size:           8
        .value_kind:     global_buffer
      - .offset:         64
        .size:           8
        .value_kind:     by_value
      - .offset:         72
        .size:           8
        .value_kind:     by_value
      - .offset:         80
        .size:           4
        .value_kind:     by_value
      - .address_space:  global
        .offset:         88
        .size:           8
        .value_kind:     global_buffer
      - .offset:         96
        .size:           8
        .value_kind:     by_value
      - .offset:         104
        .size:           8
        .value_kind:     by_value
      - .address_space:  global
        .offset:         112
        .size:           8
        .value_kind:     global_buffer
      - .offset:         120
        .size:           8
        .value_kind:     by_value
      - .offset:         128
        .size:           8
        .value_kind:     by_value
      - .offset:         136
        .size:           4
        .value_kind:     by_value
    .group_segment_fixed_size: 2048
    .kernarg_segment_align: 8
    .kernarg_segment_size: 140
    .language:       OpenCL C
    .language_version:
      - 2
      - 0
    .max_flat_workgroup_size: 256
    .name:           _ZN12_GLOBAL__N_135rocblas_gemm_batched_general_kernelIiLi16ELi16ELi32ELi32ELi8ELi32ELi8ELi8ELi32ELc78ELc67EKPKaKPKiKPiEEvlllT_PT11_llSB_llS9_PT12_llPT13_lli
    .private_segment_fixed_size: 0
    .sgpr_count:     44
    .sgpr_spill_count: 0
    .symbol:         _ZN12_GLOBAL__N_135rocblas_gemm_batched_general_kernelIiLi16ELi16ELi32ELi32ELi8ELi32ELi8ELi8ELi32ELc78ELc67EKPKaKPKiKPiEEvlllT_PT11_llSB_llS9_PT12_llPT13_lli.kd
    .uniform_work_group_size: 1
    .uses_dynamic_stack: false
    .vgpr_count:     52
    .vgpr_spill_count: 0
    .wavefront_size: 32
  - .args:
      - .offset:         0
        .size:           8
        .value_kind:     by_value
      - .offset:         8
        .size:           8
        .value_kind:     by_value
      - .offset:         16
        .size:           8
        .value_kind:     by_value
      - .offset:         24
        .size:           4
        .value_kind:     by_value
      - .address_space:  global
        .offset:         32
        .size:           8
        .value_kind:     global_buffer
      - .offset:         40
        .size:           8
        .value_kind:     by_value
      - .offset:         48
        .size:           8
        .value_kind:     by_value
      - .address_space:  global
        .offset:         56
        .size:           8
        .value_kind:     global_buffer
      - .offset:         64
        .size:           8
        .value_kind:     by_value
      - .offset:         72
        .size:           8
        .value_kind:     by_value
      - .offset:         80
        .size:           4
        .value_kind:     by_value
      - .address_space:  global
        .offset:         88
        .size:           8
        .value_kind:     global_buffer
      - .offset:         96
        .size:           8
        .value_kind:     by_value
      - .offset:         104
        .size:           8
        .value_kind:     by_value
      - .address_space:  global
        .offset:         112
        .size:           8
        .value_kind:     global_buffer
      - .offset:         120
        .size:           8
        .value_kind:     by_value
      - .offset:         128
        .size:           8
        .value_kind:     by_value
      - .offset:         136
        .size:           4
        .value_kind:     by_value
    .group_segment_fixed_size: 2048
    .kernarg_segment_align: 8
    .kernarg_segment_size: 140
    .language:       OpenCL C
    .language_version:
      - 2
      - 0
    .max_flat_workgroup_size: 256
    .name:           _ZN12_GLOBAL__N_135rocblas_gemm_batched_general_kernelIiLi16ELi16ELi32ELi32ELi8ELi32ELi8ELi8ELi32ELc84ELc67EKPKaKPKiKPiEEvlllT_PT11_llSB_llS9_PT12_llPT13_lli
    .private_segment_fixed_size: 0
    .sgpr_count:     46
    .sgpr_spill_count: 0
    .symbol:         _ZN12_GLOBAL__N_135rocblas_gemm_batched_general_kernelIiLi16ELi16ELi32ELi32ELi8ELi32ELi8ELi8ELi32ELc84ELc67EKPKaKPKiKPiEEvlllT_PT11_llSB_llS9_PT12_llPT13_lli.kd
    .uniform_work_group_size: 1
    .uses_dynamic_stack: false
    .vgpr_count:     52
    .vgpr_spill_count: 0
    .wavefront_size: 32
  - .args:
      - .offset:         0
        .size:           4
        .value_kind:     by_value
      - .offset:         4
        .size:           4
        .value_kind:     by_value
      - .offset:         8
        .size:           8
        .value_kind:     by_value
      - .address_space:  global
        .offset:         16
        .size:           8
        .value_kind:     global_buffer
      - .offset:         24
        .size:           8
        .value_kind:     by_value
      - .offset:         32
        .size:           8
        .value_kind:     by_value
      - .offset:         40
        .size:           8
        .value_kind:     by_value
      - .address_space:  global
        .offset:         48
        .size:           8
        .value_kind:     global_buffer
      - .offset:         56
        .size:           8
        .value_kind:     by_value
      - .offset:         64
        .size:           8
        .value_kind:     by_value
      - .offset:         72
        .size:           8
        .value_kind:     by_value
      - .offset:         80
        .size:           4
        .value_kind:     by_value
    .group_segment_fixed_size: 0
    .kernarg_segment_align: 8
    .kernarg_segment_size: 84
    .language:       OpenCL C
    .language_version:
      - 2
      - 0
    .max_flat_workgroup_size: 1024
    .name:           _ZN12_GLOBAL__N_120gemm_ex_scale_kernelILi32ELi32E19rocblas_complex_numIfEPKPKS2_PKPS2_EEviiT1_T2_lllT3_llli
    .private_segment_fixed_size: 0
    .sgpr_count:     28
    .sgpr_spill_count: 0
    .symbol:         _ZN12_GLOBAL__N_120gemm_ex_scale_kernelILi32ELi32E19rocblas_complex_numIfEPKPKS2_PKPS2_EEviiT1_T2_lllT3_llli.kd
    .uniform_work_group_size: 1
    .uses_dynamic_stack: false
    .vgpr_count:     16
    .vgpr_spill_count: 0
    .wavefront_size: 32
  - .args:
      - .offset:         0
        .size:           8
        .value_kind:     by_value
      - .offset:         8
        .size:           8
        .value_kind:     by_value
      - .offset:         16
        .size:           8
        .value_kind:     by_value
      - .offset:         24
        .size:           8
        .value_kind:     by_value
      - .address_space:  global
        .offset:         32
        .size:           8
        .value_kind:     global_buffer
      - .offset:         40
        .size:           8
        .value_kind:     by_value
      - .offset:         48
        .size:           8
        .value_kind:     by_value
      - .address_space:  global
        .offset:         56
        .size:           8
        .value_kind:     global_buffer
      - .offset:         64
        .size:           8
        .value_kind:     by_value
      - .offset:         72
        .size:           8
        .value_kind:     by_value
      - .offset:         80
        .size:           8
        .value_kind:     by_value
      - .address_space:  global
        .offset:         88
        .size:           8
        .value_kind:     global_buffer
      - .offset:         96
        .size:           8
        .value_kind:     by_value
      - .offset:         104
        .size:           8
        .value_kind:     by_value
      - .address_space:  global
        .offset:         112
        .size:           8
        .value_kind:     global_buffer
      - .offset:         120
        .size:           8
        .value_kind:     by_value
      - .offset:         128
        .size:           8
        .value_kind:     by_value
      - .offset:         136
        .size:           4
        .value_kind:     by_value
    .group_segment_fixed_size: 4096
    .kernarg_segment_align: 8
    .kernarg_segment_size: 140
    .language:       OpenCL C
    .language_version:
      - 2
      - 0
    .max_flat_workgroup_size: 256
    .name:           _ZN12_GLOBAL__N_127rocblas_gemm_batched_kernelI19rocblas_complex_numIfELi16ELi16ELi64ELi64ELi4ELi64ELi4ELi4ELi64ELc78ELc78EKPKS2_S5_KPS2_EEvlllT_PT11_llSA_llS8_PT12_llPT13_lli
    .private_segment_fixed_size: 0
    .sgpr_count:     46
    .sgpr_spill_count: 0
    .symbol:         _ZN12_GLOBAL__N_127rocblas_gemm_batched_kernelI19rocblas_complex_numIfELi16ELi16ELi64ELi64ELi4ELi64ELi4ELi4ELi64ELc78ELc78EKPKS2_S5_KPS2_EEvlllT_PT11_llSA_llS8_PT12_llPT13_lli.kd
    .uniform_work_group_size: 1
    .uses_dynamic_stack: false
    .vgpr_count:     198
    .vgpr_spill_count: 0
    .wavefront_size: 32
  - .args:
      - .offset:         0
        .size:           8
        .value_kind:     by_value
      - .offset:         8
        .size:           8
        .value_kind:     by_value
      - .offset:         16
        .size:           8
        .value_kind:     by_value
      - .offset:         24
        .size:           8
        .value_kind:     by_value
      - .address_space:  global
        .offset:         32
        .size:           8
        .value_kind:     global_buffer
      - .offset:         40
        .size:           8
        .value_kind:     by_value
      - .offset:         48
        .size:           8
        .value_kind:     by_value
      - .address_space:  global
        .offset:         56
        .size:           8
        .value_kind:     global_buffer
      - .offset:         64
        .size:           8
        .value_kind:     by_value
      - .offset:         72
        .size:           8
        .value_kind:     by_value
      - .offset:         80
        .size:           8
        .value_kind:     by_value
      - .address_space:  global
        .offset:         88
        .size:           8
        .value_kind:     global_buffer
      - .offset:         96
        .size:           8
        .value_kind:     by_value
      - .offset:         104
        .size:           8
        .value_kind:     by_value
      - .address_space:  global
        .offset:         112
        .size:           8
        .value_kind:     global_buffer
      - .offset:         120
        .size:           8
        .value_kind:     by_value
      - .offset:         128
        .size:           8
        .value_kind:     by_value
      - .offset:         136
        .size:           4
        .value_kind:     by_value
    .group_segment_fixed_size: 4096
    .kernarg_segment_align: 8
    .kernarg_segment_size: 140
    .language:       OpenCL C
    .language_version:
      - 2
      - 0
    .max_flat_workgroup_size: 256
    .name:           _ZN12_GLOBAL__N_127rocblas_gemm_batched_kernelI19rocblas_complex_numIfELi16ELi16ELi64ELi64ELi4ELi64ELi4ELi4ELi64ELc84ELc78EKPKS2_S5_KPS2_EEvlllT_PT11_llSA_llS8_PT12_llPT13_lli
    .private_segment_fixed_size: 0
    .sgpr_count:     44
    .sgpr_spill_count: 0
    .symbol:         _ZN12_GLOBAL__N_127rocblas_gemm_batched_kernelI19rocblas_complex_numIfELi16ELi16ELi64ELi64ELi4ELi64ELi4ELi4ELi64ELc84ELc78EKPKS2_S5_KPS2_EEvlllT_PT11_llSA_llS8_PT12_llPT13_lli.kd
    .uniform_work_group_size: 1
    .uses_dynamic_stack: false
    .vgpr_count:     198
    .vgpr_spill_count: 0
    .wavefront_size: 32
  - .args:
      - .offset:         0
        .size:           8
        .value_kind:     by_value
      - .offset:         8
        .size:           8
        .value_kind:     by_value
      - .offset:         16
        .size:           8
        .value_kind:     by_value
      - .offset:         24
        .size:           8
        .value_kind:     by_value
      - .address_space:  global
        .offset:         32
        .size:           8
        .value_kind:     global_buffer
      - .offset:         40
        .size:           8
        .value_kind:     by_value
      - .offset:         48
        .size:           8
        .value_kind:     by_value
      - .address_space:  global
        .offset:         56
        .size:           8
        .value_kind:     global_buffer
      - .offset:         64
        .size:           8
        .value_kind:     by_value
      - .offset:         72
        .size:           8
        .value_kind:     by_value
      - .offset:         80
        .size:           8
        .value_kind:     by_value
      - .address_space:  global
        .offset:         88
        .size:           8
        .value_kind:     global_buffer
      - .offset:         96
        .size:           8
        .value_kind:     by_value
      - .offset:         104
        .size:           8
        .value_kind:     by_value
      - .address_space:  global
        .offset:         112
        .size:           8
        .value_kind:     global_buffer
      - .offset:         120
        .size:           8
        .value_kind:     by_value
      - .offset:         128
        .size:           8
        .value_kind:     by_value
      - .offset:         136
        .size:           4
        .value_kind:     by_value
    .group_segment_fixed_size: 4096
    .kernarg_segment_align: 8
    .kernarg_segment_size: 140
    .language:       OpenCL C
    .language_version:
      - 2
      - 0
    .max_flat_workgroup_size: 256
    .name:           _ZN12_GLOBAL__N_127rocblas_gemm_batched_kernelI19rocblas_complex_numIfELi16ELi16ELi64ELi64ELi4ELi64ELi4ELi4ELi64ELc78ELc84EKPKS2_S5_KPS2_EEvlllT_PT11_llSA_llS8_PT12_llPT13_lli
    .private_segment_fixed_size: 0
    .sgpr_count:     48
    .sgpr_spill_count: 0
    .symbol:         _ZN12_GLOBAL__N_127rocblas_gemm_batched_kernelI19rocblas_complex_numIfELi16ELi16ELi64ELi64ELi4ELi64ELi4ELi4ELi64ELc78ELc84EKPKS2_S5_KPS2_EEvlllT_PT11_llSA_llS8_PT12_llPT13_lli.kd
    .uniform_work_group_size: 1
    .uses_dynamic_stack: false
    .vgpr_count:     198
    .vgpr_spill_count: 0
    .wavefront_size: 32
  - .args:
      - .offset:         0
        .size:           8
        .value_kind:     by_value
      - .offset:         8
        .size:           8
        .value_kind:     by_value
      - .offset:         16
        .size:           8
        .value_kind:     by_value
      - .offset:         24
        .size:           8
        .value_kind:     by_value
      - .address_space:  global
        .offset:         32
        .size:           8
        .value_kind:     global_buffer
      - .offset:         40
        .size:           8
        .value_kind:     by_value
      - .offset:         48
        .size:           8
        .value_kind:     by_value
      - .address_space:  global
        .offset:         56
        .size:           8
        .value_kind:     global_buffer
      - .offset:         64
        .size:           8
        .value_kind:     by_value
      - .offset:         72
        .size:           8
        .value_kind:     by_value
      - .offset:         80
        .size:           8
        .value_kind:     by_value
      - .address_space:  global
        .offset:         88
        .size:           8
        .value_kind:     global_buffer
      - .offset:         96
        .size:           8
        .value_kind:     by_value
      - .offset:         104
        .size:           8
        .value_kind:     by_value
      - .address_space:  global
        .offset:         112
        .size:           8
        .value_kind:     global_buffer
      - .offset:         120
        .size:           8
        .value_kind:     by_value
      - .offset:         128
        .size:           8
        .value_kind:     by_value
      - .offset:         136
        .size:           4
        .value_kind:     by_value
    .group_segment_fixed_size: 4096
    .kernarg_segment_align: 8
    .kernarg_segment_size: 140
    .language:       OpenCL C
    .language_version:
      - 2
      - 0
    .max_flat_workgroup_size: 256
    .name:           _ZN12_GLOBAL__N_127rocblas_gemm_batched_kernelI19rocblas_complex_numIfELi16ELi16ELi64ELi64ELi4ELi64ELi4ELi4ELi64ELc84ELc84EKPKS2_S5_KPS2_EEvlllT_PT11_llSA_llS8_PT12_llPT13_lli
    .private_segment_fixed_size: 0
    .sgpr_count:     46
    .sgpr_spill_count: 0
    .symbol:         _ZN12_GLOBAL__N_127rocblas_gemm_batched_kernelI19rocblas_complex_numIfELi16ELi16ELi64ELi64ELi4ELi64ELi4ELi4ELi64ELc84ELc84EKPKS2_S5_KPS2_EEvlllT_PT11_llSA_llS8_PT12_llPT13_lli.kd
    .uniform_work_group_size: 1
    .uses_dynamic_stack: false
    .vgpr_count:     198
    .vgpr_spill_count: 0
    .wavefront_size: 32
  - .args:
      - .offset:         0
        .size:           8
        .value_kind:     by_value
      - .offset:         8
        .size:           8
        .value_kind:     by_value
      - .offset:         16
        .size:           8
        .value_kind:     by_value
      - .offset:         24
        .size:           8
        .value_kind:     by_value
      - .address_space:  global
        .offset:         32
        .size:           8
        .value_kind:     global_buffer
      - .offset:         40
        .size:           8
        .value_kind:     by_value
      - .offset:         48
        .size:           8
        .value_kind:     by_value
      - .address_space:  global
        .offset:         56
        .size:           8
        .value_kind:     global_buffer
      - .offset:         64
        .size:           8
        .value_kind:     by_value
      - .offset:         72
        .size:           8
        .value_kind:     by_value
      - .offset:         80
        .size:           8
        .value_kind:     by_value
      - .address_space:  global
        .offset:         88
        .size:           8
        .value_kind:     global_buffer
      - .offset:         96
        .size:           8
        .value_kind:     by_value
      - .offset:         104
        .size:           8
        .value_kind:     by_value
      - .address_space:  global
        .offset:         112
        .size:           8
        .value_kind:     global_buffer
      - .offset:         120
        .size:           8
        .value_kind:     by_value
      - .offset:         128
        .size:           8
        .value_kind:     by_value
      - .offset:         136
        .size:           4
        .value_kind:     by_value
    .group_segment_fixed_size: 4096
    .kernarg_segment_align: 8
    .kernarg_segment_size: 140
    .language:       OpenCL C
    .language_version:
      - 2
      - 0
    .max_flat_workgroup_size: 256
    .name:           _ZN12_GLOBAL__N_127rocblas_gemm_batched_kernelI19rocblas_complex_numIfELi16ELi16ELi64ELi64ELi4ELi64ELi4ELi4ELi64ELc67ELc67EKPKS2_S5_KPS2_EEvlllT_PT11_llSA_llS8_PT12_llPT13_lli
    .private_segment_fixed_size: 0
    .sgpr_count:     46
    .sgpr_spill_count: 0
    .symbol:         _ZN12_GLOBAL__N_127rocblas_gemm_batched_kernelI19rocblas_complex_numIfELi16ELi16ELi64ELi64ELi4ELi64ELi4ELi4ELi64ELc67ELc67EKPKS2_S5_KPS2_EEvlllT_PT11_llSA_llS8_PT12_llPT13_lli.kd
    .uniform_work_group_size: 1
    .uses_dynamic_stack: false
    .vgpr_count:     198
    .vgpr_spill_count: 0
    .wavefront_size: 32
  - .args:
      - .offset:         0
        .size:           8
        .value_kind:     by_value
      - .offset:         8
        .size:           8
        .value_kind:     by_value
      - .offset:         16
        .size:           8
        .value_kind:     by_value
      - .offset:         24
        .size:           8
        .value_kind:     by_value
      - .address_space:  global
        .offset:         32
        .size:           8
        .value_kind:     global_buffer
      - .offset:         40
        .size:           8
        .value_kind:     by_value
      - .offset:         48
        .size:           8
        .value_kind:     by_value
      - .address_space:  global
        .offset:         56
        .size:           8
        .value_kind:     global_buffer
      - .offset:         64
        .size:           8
        .value_kind:     by_value
      - .offset:         72
        .size:           8
        .value_kind:     by_value
      - .offset:         80
        .size:           8
        .value_kind:     by_value
      - .address_space:  global
        .offset:         88
        .size:           8
        .value_kind:     global_buffer
      - .offset:         96
        .size:           8
        .value_kind:     by_value
      - .offset:         104
        .size:           8
        .value_kind:     by_value
      - .address_space:  global
        .offset:         112
        .size:           8
        .value_kind:     global_buffer
      - .offset:         120
        .size:           8
        .value_kind:     by_value
      - .offset:         128
        .size:           8
        .value_kind:     by_value
      - .offset:         136
        .size:           4
        .value_kind:     by_value
    .group_segment_fixed_size: 4096
    .kernarg_segment_align: 8
    .kernarg_segment_size: 140
    .language:       OpenCL C
    .language_version:
      - 2
      - 0
    .max_flat_workgroup_size: 256
    .name:           _ZN12_GLOBAL__N_127rocblas_gemm_batched_kernelI19rocblas_complex_numIfELi16ELi16ELi64ELi64ELi4ELi64ELi4ELi4ELi64ELc67ELc78EKPKS2_S5_KPS2_EEvlllT_PT11_llSA_llS8_PT12_llPT13_lli
    .private_segment_fixed_size: 0
    .sgpr_count:     44
    .sgpr_spill_count: 0
    .symbol:         _ZN12_GLOBAL__N_127rocblas_gemm_batched_kernelI19rocblas_complex_numIfELi16ELi16ELi64ELi64ELi4ELi64ELi4ELi4ELi64ELc67ELc78EKPKS2_S5_KPS2_EEvlllT_PT11_llSA_llS8_PT12_llPT13_lli.kd
    .uniform_work_group_size: 1
    .uses_dynamic_stack: false
    .vgpr_count:     198
    .vgpr_spill_count: 0
    .wavefront_size: 32
  - .args:
      - .offset:         0
        .size:           8
        .value_kind:     by_value
      - .offset:         8
        .size:           8
        .value_kind:     by_value
      - .offset:         16
        .size:           8
        .value_kind:     by_value
      - .offset:         24
        .size:           8
        .value_kind:     by_value
      - .address_space:  global
        .offset:         32
        .size:           8
        .value_kind:     global_buffer
      - .offset:         40
        .size:           8
        .value_kind:     by_value
      - .offset:         48
        .size:           8
        .value_kind:     by_value
      - .address_space:  global
        .offset:         56
        .size:           8
        .value_kind:     global_buffer
      - .offset:         64
        .size:           8
        .value_kind:     by_value
      - .offset:         72
        .size:           8
        .value_kind:     by_value
      - .offset:         80
        .size:           8
        .value_kind:     by_value
      - .address_space:  global
        .offset:         88
        .size:           8
        .value_kind:     global_buffer
      - .offset:         96
        .size:           8
        .value_kind:     by_value
      - .offset:         104
        .size:           8
        .value_kind:     by_value
      - .address_space:  global
        .offset:         112
        .size:           8
        .value_kind:     global_buffer
      - .offset:         120
        .size:           8
        .value_kind:     by_value
      - .offset:         128
        .size:           8
        .value_kind:     by_value
      - .offset:         136
        .size:           4
        .value_kind:     by_value
    .group_segment_fixed_size: 4096
    .kernarg_segment_align: 8
    .kernarg_segment_size: 140
    .language:       OpenCL C
    .language_version:
      - 2
      - 0
    .max_flat_workgroup_size: 256
    .name:           _ZN12_GLOBAL__N_127rocblas_gemm_batched_kernelI19rocblas_complex_numIfELi16ELi16ELi64ELi64ELi4ELi64ELi4ELi4ELi64ELc67ELc84EKPKS2_S5_KPS2_EEvlllT_PT11_llSA_llS8_PT12_llPT13_lli
    .private_segment_fixed_size: 0
    .sgpr_count:     46
    .sgpr_spill_count: 0
    .symbol:         _ZN12_GLOBAL__N_127rocblas_gemm_batched_kernelI19rocblas_complex_numIfELi16ELi16ELi64ELi64ELi4ELi64ELi4ELi4ELi64ELc67ELc84EKPKS2_S5_KPS2_EEvlllT_PT11_llSA_llS8_PT12_llPT13_lli.kd
    .uniform_work_group_size: 1
    .uses_dynamic_stack: false
    .vgpr_count:     198
    .vgpr_spill_count: 0
    .wavefront_size: 32
  - .args:
      - .offset:         0
        .size:           8
        .value_kind:     by_value
      - .offset:         8
        .size:           8
        .value_kind:     by_value
      - .offset:         16
        .size:           8
        .value_kind:     by_value
      - .offset:         24
        .size:           8
        .value_kind:     by_value
      - .address_space:  global
        .offset:         32
        .size:           8
        .value_kind:     global_buffer
      - .offset:         40
        .size:           8
        .value_kind:     by_value
      - .offset:         48
        .size:           8
        .value_kind:     by_value
      - .address_space:  global
        .offset:         56
        .size:           8
        .value_kind:     global_buffer
      - .offset:         64
        .size:           8
        .value_kind:     by_value
      - .offset:         72
        .size:           8
        .value_kind:     by_value
      - .offset:         80
        .size:           8
        .value_kind:     by_value
      - .address_space:  global
        .offset:         88
        .size:           8
        .value_kind:     global_buffer
      - .offset:         96
        .size:           8
        .value_kind:     by_value
      - .offset:         104
        .size:           8
        .value_kind:     by_value
      - .address_space:  global
        .offset:         112
        .size:           8
        .value_kind:     global_buffer
      - .offset:         120
        .size:           8
        .value_kind:     by_value
      - .offset:         128
        .size:           8
        .value_kind:     by_value
      - .offset:         136
        .size:           4
        .value_kind:     by_value
    .group_segment_fixed_size: 4096
    .kernarg_segment_align: 8
    .kernarg_segment_size: 140
    .language:       OpenCL C
    .language_version:
      - 2
      - 0
    .max_flat_workgroup_size: 256
    .name:           _ZN12_GLOBAL__N_127rocblas_gemm_batched_kernelI19rocblas_complex_numIfELi16ELi16ELi64ELi64ELi4ELi64ELi4ELi4ELi64ELc78ELc67EKPKS2_S5_KPS2_EEvlllT_PT11_llSA_llS8_PT12_llPT13_lli
    .private_segment_fixed_size: 0
    .sgpr_count:     48
    .sgpr_spill_count: 0
    .symbol:         _ZN12_GLOBAL__N_127rocblas_gemm_batched_kernelI19rocblas_complex_numIfELi16ELi16ELi64ELi64ELi4ELi64ELi4ELi4ELi64ELc78ELc67EKPKS2_S5_KPS2_EEvlllT_PT11_llSA_llS8_PT12_llPT13_lli.kd
    .uniform_work_group_size: 1
    .uses_dynamic_stack: false
    .vgpr_count:     198
    .vgpr_spill_count: 0
    .wavefront_size: 32
  - .args:
      - .offset:         0
        .size:           8
        .value_kind:     by_value
      - .offset:         8
        .size:           8
        .value_kind:     by_value
      - .offset:         16
        .size:           8
        .value_kind:     by_value
      - .offset:         24
        .size:           8
        .value_kind:     by_value
      - .address_space:  global
        .offset:         32
        .size:           8
        .value_kind:     global_buffer
      - .offset:         40
        .size:           8
        .value_kind:     by_value
      - .offset:         48
        .size:           8
        .value_kind:     by_value
      - .address_space:  global
        .offset:         56
        .size:           8
        .value_kind:     global_buffer
      - .offset:         64
        .size:           8
        .value_kind:     by_value
      - .offset:         72
        .size:           8
        .value_kind:     by_value
      - .offset:         80
        .size:           8
        .value_kind:     by_value
      - .address_space:  global
        .offset:         88
        .size:           8
        .value_kind:     global_buffer
      - .offset:         96
        .size:           8
        .value_kind:     by_value
      - .offset:         104
        .size:           8
        .value_kind:     by_value
      - .address_space:  global
        .offset:         112
        .size:           8
        .value_kind:     global_buffer
      - .offset:         120
        .size:           8
        .value_kind:     by_value
      - .offset:         128
        .size:           8
        .value_kind:     by_value
      - .offset:         136
        .size:           4
        .value_kind:     by_value
    .group_segment_fixed_size: 4096
    .kernarg_segment_align: 8
    .kernarg_segment_size: 140
    .language:       OpenCL C
    .language_version:
      - 2
      - 0
    .max_flat_workgroup_size: 256
    .name:           _ZN12_GLOBAL__N_127rocblas_gemm_batched_kernelI19rocblas_complex_numIfELi16ELi16ELi64ELi64ELi4ELi64ELi4ELi4ELi64ELc84ELc67EKPKS2_S5_KPS2_EEvlllT_PT11_llSA_llS8_PT12_llPT13_lli
    .private_segment_fixed_size: 0
    .sgpr_count:     46
    .sgpr_spill_count: 0
    .symbol:         _ZN12_GLOBAL__N_127rocblas_gemm_batched_kernelI19rocblas_complex_numIfELi16ELi16ELi64ELi64ELi4ELi64ELi4ELi4ELi64ELc84ELc67EKPKS2_S5_KPS2_EEvlllT_PT11_llSA_llS8_PT12_llPT13_lli.kd
    .uniform_work_group_size: 1
    .uses_dynamic_stack: false
    .vgpr_count:     198
    .vgpr_spill_count: 0
    .wavefront_size: 32
  - .args:
      - .offset:         0
        .size:           8
        .value_kind:     by_value
      - .offset:         8
        .size:           8
        .value_kind:     by_value
      - .offset:         16
        .size:           8
        .value_kind:     by_value
      - .offset:         24
        .size:           8
        .value_kind:     by_value
      - .address_space:  global
        .offset:         32
        .size:           8
        .value_kind:     global_buffer
      - .offset:         40
        .size:           8
        .value_kind:     by_value
      - .offset:         48
        .size:           8
        .value_kind:     by_value
      - .address_space:  global
        .offset:         56
        .size:           8
        .value_kind:     global_buffer
      - .offset:         64
        .size:           8
        .value_kind:     by_value
      - .offset:         72
        .size:           8
        .value_kind:     by_value
      - .offset:         80
        .size:           8
        .value_kind:     by_value
      - .address_space:  global
        .offset:         88
        .size:           8
        .value_kind:     global_buffer
      - .offset:         96
        .size:           8
        .value_kind:     by_value
      - .offset:         104
        .size:           8
        .value_kind:     by_value
      - .address_space:  global
        .offset:         112
        .size:           8
        .value_kind:     global_buffer
      - .offset:         120
        .size:           8
        .value_kind:     by_value
      - .offset:         128
        .size:           8
        .value_kind:     by_value
      - .offset:         136
        .size:           4
        .value_kind:     by_value
    .group_segment_fixed_size: 4096
    .kernarg_segment_align: 8
    .kernarg_segment_size: 140
    .language:       OpenCL C
    .language_version:
      - 2
      - 0
    .max_flat_workgroup_size: 256
    .name:           _ZN12_GLOBAL__N_127rocblas_gemm_batched_kernelI19rocblas_complex_numIfELi16ELi16ELi32ELi32ELi8ELi32ELi8ELi8ELi32ELc78ELc78EKPKS2_S5_KPS2_EEvlllT_PT11_llSA_llS8_PT12_llPT13_lli
    .private_segment_fixed_size: 0
    .sgpr_count:     46
    .sgpr_spill_count: 0
    .symbol:         _ZN12_GLOBAL__N_127rocblas_gemm_batched_kernelI19rocblas_complex_numIfELi16ELi16ELi32ELi32ELi8ELi32ELi8ELi8ELi32ELc78ELc78EKPKS2_S5_KPS2_EEvlllT_PT11_llSA_llS8_PT12_llPT13_lli.kd
    .uniform_work_group_size: 1
    .uses_dynamic_stack: false
    .vgpr_count:     121
    .vgpr_spill_count: 0
    .wavefront_size: 32
  - .args:
      - .offset:         0
        .size:           8
        .value_kind:     by_value
      - .offset:         8
        .size:           8
        .value_kind:     by_value
      - .offset:         16
        .size:           8
        .value_kind:     by_value
      - .offset:         24
        .size:           8
        .value_kind:     by_value
      - .address_space:  global
        .offset:         32
        .size:           8
        .value_kind:     global_buffer
      - .offset:         40
        .size:           8
        .value_kind:     by_value
      - .offset:         48
        .size:           8
        .value_kind:     by_value
      - .address_space:  global
        .offset:         56
        .size:           8
        .value_kind:     global_buffer
      - .offset:         64
        .size:           8
        .value_kind:     by_value
      - .offset:         72
        .size:           8
        .value_kind:     by_value
      - .offset:         80
        .size:           8
        .value_kind:     by_value
      - .address_space:  global
        .offset:         88
        .size:           8
        .value_kind:     global_buffer
      - .offset:         96
        .size:           8
        .value_kind:     by_value
      - .offset:         104
        .size:           8
        .value_kind:     by_value
      - .address_space:  global
        .offset:         112
        .size:           8
        .value_kind:     global_buffer
      - .offset:         120
        .size:           8
        .value_kind:     by_value
      - .offset:         128
        .size:           8
        .value_kind:     by_value
      - .offset:         136
        .size:           4
        .value_kind:     by_value
    .group_segment_fixed_size: 4096
    .kernarg_segment_align: 8
    .kernarg_segment_size: 140
    .language:       OpenCL C
    .language_version:
      - 2
      - 0
    .max_flat_workgroup_size: 256
    .name:           _ZN12_GLOBAL__N_127rocblas_gemm_batched_kernelI19rocblas_complex_numIfELi16ELi16ELi32ELi32ELi8ELi32ELi8ELi8ELi32ELc84ELc78EKPKS2_S5_KPS2_EEvlllT_PT11_llSA_llS8_PT12_llPT13_lli
    .private_segment_fixed_size: 0
    .sgpr_count:     44
    .sgpr_spill_count: 0
    .symbol:         _ZN12_GLOBAL__N_127rocblas_gemm_batched_kernelI19rocblas_complex_numIfELi16ELi16ELi32ELi32ELi8ELi32ELi8ELi8ELi32ELc84ELc78EKPKS2_S5_KPS2_EEvlllT_PT11_llSA_llS8_PT12_llPT13_lli.kd
    .uniform_work_group_size: 1
    .uses_dynamic_stack: false
    .vgpr_count:     121
    .vgpr_spill_count: 0
    .wavefront_size: 32
  - .args:
      - .offset:         0
        .size:           8
        .value_kind:     by_value
      - .offset:         8
        .size:           8
        .value_kind:     by_value
      - .offset:         16
        .size:           8
        .value_kind:     by_value
      - .offset:         24
        .size:           8
        .value_kind:     by_value
      - .address_space:  global
        .offset:         32
        .size:           8
        .value_kind:     global_buffer
      - .offset:         40
        .size:           8
        .value_kind:     by_value
      - .offset:         48
        .size:           8
        .value_kind:     by_value
      - .address_space:  global
        .offset:         56
        .size:           8
        .value_kind:     global_buffer
      - .offset:         64
        .size:           8
        .value_kind:     by_value
      - .offset:         72
        .size:           8
        .value_kind:     by_value
      - .offset:         80
        .size:           8
        .value_kind:     by_value
      - .address_space:  global
        .offset:         88
        .size:           8
        .value_kind:     global_buffer
      - .offset:         96
        .size:           8
        .value_kind:     by_value
      - .offset:         104
        .size:           8
        .value_kind:     by_value
      - .address_space:  global
        .offset:         112
        .size:           8
        .value_kind:     global_buffer
      - .offset:         120
        .size:           8
        .value_kind:     by_value
      - .offset:         128
        .size:           8
        .value_kind:     by_value
      - .offset:         136
        .size:           4
        .value_kind:     by_value
    .group_segment_fixed_size: 4096
    .kernarg_segment_align: 8
    .kernarg_segment_size: 140
    .language:       OpenCL C
    .language_version:
      - 2
      - 0
    .max_flat_workgroup_size: 256
    .name:           _ZN12_GLOBAL__N_127rocblas_gemm_batched_kernelI19rocblas_complex_numIfELi16ELi16ELi32ELi32ELi8ELi32ELi8ELi8ELi32ELc78ELc84EKPKS2_S5_KPS2_EEvlllT_PT11_llSA_llS8_PT12_llPT13_lli
    .private_segment_fixed_size: 0
    .sgpr_count:     48
    .sgpr_spill_count: 0
    .symbol:         _ZN12_GLOBAL__N_127rocblas_gemm_batched_kernelI19rocblas_complex_numIfELi16ELi16ELi32ELi32ELi8ELi32ELi8ELi8ELi32ELc78ELc84EKPKS2_S5_KPS2_EEvlllT_PT11_llSA_llS8_PT12_llPT13_lli.kd
    .uniform_work_group_size: 1
    .uses_dynamic_stack: false
    .vgpr_count:     121
    .vgpr_spill_count: 0
    .wavefront_size: 32
  - .args:
      - .offset:         0
        .size:           8
        .value_kind:     by_value
      - .offset:         8
        .size:           8
        .value_kind:     by_value
      - .offset:         16
        .size:           8
        .value_kind:     by_value
      - .offset:         24
        .size:           8
        .value_kind:     by_value
      - .address_space:  global
        .offset:         32
        .size:           8
        .value_kind:     global_buffer
      - .offset:         40
        .size:           8
        .value_kind:     by_value
      - .offset:         48
        .size:           8
        .value_kind:     by_value
      - .address_space:  global
        .offset:         56
        .size:           8
        .value_kind:     global_buffer
      - .offset:         64
        .size:           8
        .value_kind:     by_value
      - .offset:         72
        .size:           8
        .value_kind:     by_value
      - .offset:         80
        .size:           8
        .value_kind:     by_value
      - .address_space:  global
        .offset:         88
        .size:           8
        .value_kind:     global_buffer
      - .offset:         96
        .size:           8
        .value_kind:     by_value
      - .offset:         104
        .size:           8
        .value_kind:     by_value
      - .address_space:  global
        .offset:         112
        .size:           8
        .value_kind:     global_buffer
      - .offset:         120
        .size:           8
        .value_kind:     by_value
      - .offset:         128
        .size:           8
        .value_kind:     by_value
      - .offset:         136
        .size:           4
        .value_kind:     by_value
    .group_segment_fixed_size: 4096
    .kernarg_segment_align: 8
    .kernarg_segment_size: 140
    .language:       OpenCL C
    .language_version:
      - 2
      - 0
    .max_flat_workgroup_size: 256
    .name:           _ZN12_GLOBAL__N_127rocblas_gemm_batched_kernelI19rocblas_complex_numIfELi16ELi16ELi32ELi32ELi8ELi32ELi8ELi8ELi32ELc84ELc84EKPKS2_S5_KPS2_EEvlllT_PT11_llSA_llS8_PT12_llPT13_lli
    .private_segment_fixed_size: 0
    .sgpr_count:     46
    .sgpr_spill_count: 0
    .symbol:         _ZN12_GLOBAL__N_127rocblas_gemm_batched_kernelI19rocblas_complex_numIfELi16ELi16ELi32ELi32ELi8ELi32ELi8ELi8ELi32ELc84ELc84EKPKS2_S5_KPS2_EEvlllT_PT11_llSA_llS8_PT12_llPT13_lli.kd
    .uniform_work_group_size: 1
    .uses_dynamic_stack: false
    .vgpr_count:     121
    .vgpr_spill_count: 0
    .wavefront_size: 32
  - .args:
      - .offset:         0
        .size:           8
        .value_kind:     by_value
      - .offset:         8
        .size:           8
        .value_kind:     by_value
      - .offset:         16
        .size:           8
        .value_kind:     by_value
      - .offset:         24
        .size:           8
        .value_kind:     by_value
      - .address_space:  global
        .offset:         32
        .size:           8
        .value_kind:     global_buffer
      - .offset:         40
        .size:           8
        .value_kind:     by_value
      - .offset:         48
        .size:           8
        .value_kind:     by_value
      - .address_space:  global
        .offset:         56
        .size:           8
        .value_kind:     global_buffer
      - .offset:         64
        .size:           8
        .value_kind:     by_value
      - .offset:         72
        .size:           8
        .value_kind:     by_value
      - .offset:         80
        .size:           8
        .value_kind:     by_value
      - .address_space:  global
        .offset:         88
        .size:           8
        .value_kind:     global_buffer
      - .offset:         96
        .size:           8
        .value_kind:     by_value
      - .offset:         104
        .size:           8
        .value_kind:     by_value
      - .address_space:  global
        .offset:         112
        .size:           8
        .value_kind:     global_buffer
      - .offset:         120
        .size:           8
        .value_kind:     by_value
      - .offset:         128
        .size:           8
        .value_kind:     by_value
      - .offset:         136
        .size:           4
        .value_kind:     by_value
    .group_segment_fixed_size: 4096
    .kernarg_segment_align: 8
    .kernarg_segment_size: 140
    .language:       OpenCL C
    .language_version:
      - 2
      - 0
    .max_flat_workgroup_size: 256
    .name:           _ZN12_GLOBAL__N_127rocblas_gemm_batched_kernelI19rocblas_complex_numIfELi16ELi16ELi32ELi32ELi8ELi32ELi8ELi8ELi32ELc67ELc67EKPKS2_S5_KPS2_EEvlllT_PT11_llSA_llS8_PT12_llPT13_lli
    .private_segment_fixed_size: 0
    .sgpr_count:     46
    .sgpr_spill_count: 0
    .symbol:         _ZN12_GLOBAL__N_127rocblas_gemm_batched_kernelI19rocblas_complex_numIfELi16ELi16ELi32ELi32ELi8ELi32ELi8ELi8ELi32ELc67ELc67EKPKS2_S5_KPS2_EEvlllT_PT11_llSA_llS8_PT12_llPT13_lli.kd
    .uniform_work_group_size: 1
    .uses_dynamic_stack: false
    .vgpr_count:     121
    .vgpr_spill_count: 0
    .wavefront_size: 32
  - .args:
      - .offset:         0
        .size:           8
        .value_kind:     by_value
      - .offset:         8
        .size:           8
        .value_kind:     by_value
      - .offset:         16
        .size:           8
        .value_kind:     by_value
      - .offset:         24
        .size:           8
        .value_kind:     by_value
      - .address_space:  global
        .offset:         32
        .size:           8
        .value_kind:     global_buffer
      - .offset:         40
        .size:           8
        .value_kind:     by_value
      - .offset:         48
        .size:           8
        .value_kind:     by_value
      - .address_space:  global
        .offset:         56
        .size:           8
        .value_kind:     global_buffer
      - .offset:         64
        .size:           8
        .value_kind:     by_value
      - .offset:         72
        .size:           8
        .value_kind:     by_value
      - .offset:         80
        .size:           8
        .value_kind:     by_value
      - .address_space:  global
        .offset:         88
        .size:           8
        .value_kind:     global_buffer
      - .offset:         96
        .size:           8
        .value_kind:     by_value
      - .offset:         104
        .size:           8
        .value_kind:     by_value
      - .address_space:  global
        .offset:         112
        .size:           8
        .value_kind:     global_buffer
      - .offset:         120
        .size:           8
        .value_kind:     by_value
      - .offset:         128
        .size:           8
        .value_kind:     by_value
      - .offset:         136
        .size:           4
        .value_kind:     by_value
    .group_segment_fixed_size: 4096
    .kernarg_segment_align: 8
    .kernarg_segment_size: 140
    .language:       OpenCL C
    .language_version:
      - 2
      - 0
    .max_flat_workgroup_size: 256
    .name:           _ZN12_GLOBAL__N_127rocblas_gemm_batched_kernelI19rocblas_complex_numIfELi16ELi16ELi32ELi32ELi8ELi32ELi8ELi8ELi32ELc67ELc78EKPKS2_S5_KPS2_EEvlllT_PT11_llSA_llS8_PT12_llPT13_lli
    .private_segment_fixed_size: 0
    .sgpr_count:     44
    .sgpr_spill_count: 0
    .symbol:         _ZN12_GLOBAL__N_127rocblas_gemm_batched_kernelI19rocblas_complex_numIfELi16ELi16ELi32ELi32ELi8ELi32ELi8ELi8ELi32ELc67ELc78EKPKS2_S5_KPS2_EEvlllT_PT11_llSA_llS8_PT12_llPT13_lli.kd
    .uniform_work_group_size: 1
    .uses_dynamic_stack: false
    .vgpr_count:     121
    .vgpr_spill_count: 0
    .wavefront_size: 32
  - .args:
      - .offset:         0
        .size:           8
        .value_kind:     by_value
      - .offset:         8
        .size:           8
        .value_kind:     by_value
      - .offset:         16
        .size:           8
        .value_kind:     by_value
      - .offset:         24
        .size:           8
        .value_kind:     by_value
      - .address_space:  global
        .offset:         32
        .size:           8
        .value_kind:     global_buffer
      - .offset:         40
        .size:           8
        .value_kind:     by_value
      - .offset:         48
        .size:           8
        .value_kind:     by_value
      - .address_space:  global
        .offset:         56
        .size:           8
        .value_kind:     global_buffer
      - .offset:         64
        .size:           8
        .value_kind:     by_value
      - .offset:         72
        .size:           8
        .value_kind:     by_value
      - .offset:         80
        .size:           8
        .value_kind:     by_value
      - .address_space:  global
        .offset:         88
        .size:           8
        .value_kind:     global_buffer
      - .offset:         96
        .size:           8
        .value_kind:     by_value
      - .offset:         104
        .size:           8
        .value_kind:     by_value
      - .address_space:  global
        .offset:         112
        .size:           8
        .value_kind:     global_buffer
      - .offset:         120
        .size:           8
        .value_kind:     by_value
      - .offset:         128
        .size:           8
        .value_kind:     by_value
      - .offset:         136
        .size:           4
        .value_kind:     by_value
    .group_segment_fixed_size: 4096
    .kernarg_segment_align: 8
    .kernarg_segment_size: 140
    .language:       OpenCL C
    .language_version:
      - 2
      - 0
    .max_flat_workgroup_size: 256
    .name:           _ZN12_GLOBAL__N_127rocblas_gemm_batched_kernelI19rocblas_complex_numIfELi16ELi16ELi32ELi32ELi8ELi32ELi8ELi8ELi32ELc67ELc84EKPKS2_S5_KPS2_EEvlllT_PT11_llSA_llS8_PT12_llPT13_lli
    .private_segment_fixed_size: 0
    .sgpr_count:     46
    .sgpr_spill_count: 0
    .symbol:         _ZN12_GLOBAL__N_127rocblas_gemm_batched_kernelI19rocblas_complex_numIfELi16ELi16ELi32ELi32ELi8ELi32ELi8ELi8ELi32ELc67ELc84EKPKS2_S5_KPS2_EEvlllT_PT11_llSA_llS8_PT12_llPT13_lli.kd
    .uniform_work_group_size: 1
    .uses_dynamic_stack: false
    .vgpr_count:     121
    .vgpr_spill_count: 0
    .wavefront_size: 32
  - .args:
      - .offset:         0
        .size:           8
        .value_kind:     by_value
      - .offset:         8
        .size:           8
        .value_kind:     by_value
      - .offset:         16
        .size:           8
        .value_kind:     by_value
      - .offset:         24
        .size:           8
        .value_kind:     by_value
      - .address_space:  global
        .offset:         32
        .size:           8
        .value_kind:     global_buffer
      - .offset:         40
        .size:           8
        .value_kind:     by_value
      - .offset:         48
        .size:           8
        .value_kind:     by_value
      - .address_space:  global
        .offset:         56
        .size:           8
        .value_kind:     global_buffer
      - .offset:         64
        .size:           8
        .value_kind:     by_value
      - .offset:         72
        .size:           8
        .value_kind:     by_value
      - .offset:         80
        .size:           8
        .value_kind:     by_value
      - .address_space:  global
        .offset:         88
        .size:           8
        .value_kind:     global_buffer
      - .offset:         96
        .size:           8
        .value_kind:     by_value
      - .offset:         104
        .size:           8
        .value_kind:     by_value
      - .address_space:  global
        .offset:         112
        .size:           8
        .value_kind:     global_buffer
      - .offset:         120
        .size:           8
        .value_kind:     by_value
      - .offset:         128
        .size:           8
        .value_kind:     by_value
      - .offset:         136
        .size:           4
        .value_kind:     by_value
    .group_segment_fixed_size: 4096
    .kernarg_segment_align: 8
    .kernarg_segment_size: 140
    .language:       OpenCL C
    .language_version:
      - 2
      - 0
    .max_flat_workgroup_size: 256
    .name:           _ZN12_GLOBAL__N_127rocblas_gemm_batched_kernelI19rocblas_complex_numIfELi16ELi16ELi32ELi32ELi8ELi32ELi8ELi8ELi32ELc78ELc67EKPKS2_S5_KPS2_EEvlllT_PT11_llSA_llS8_PT12_llPT13_lli
    .private_segment_fixed_size: 0
    .sgpr_count:     48
    .sgpr_spill_count: 0
    .symbol:         _ZN12_GLOBAL__N_127rocblas_gemm_batched_kernelI19rocblas_complex_numIfELi16ELi16ELi32ELi32ELi8ELi32ELi8ELi8ELi32ELc78ELc67EKPKS2_S5_KPS2_EEvlllT_PT11_llSA_llS8_PT12_llPT13_lli.kd
    .uniform_work_group_size: 1
    .uses_dynamic_stack: false
    .vgpr_count:     121
    .vgpr_spill_count: 0
    .wavefront_size: 32
  - .args:
      - .offset:         0
        .size:           8
        .value_kind:     by_value
      - .offset:         8
        .size:           8
        .value_kind:     by_value
      - .offset:         16
        .size:           8
        .value_kind:     by_value
      - .offset:         24
        .size:           8
        .value_kind:     by_value
      - .address_space:  global
        .offset:         32
        .size:           8
        .value_kind:     global_buffer
      - .offset:         40
        .size:           8
        .value_kind:     by_value
      - .offset:         48
        .size:           8
        .value_kind:     by_value
      - .address_space:  global
        .offset:         56
        .size:           8
        .value_kind:     global_buffer
      - .offset:         64
        .size:           8
        .value_kind:     by_value
      - .offset:         72
        .size:           8
        .value_kind:     by_value
      - .offset:         80
        .size:           8
        .value_kind:     by_value
      - .address_space:  global
        .offset:         88
        .size:           8
        .value_kind:     global_buffer
      - .offset:         96
        .size:           8
        .value_kind:     by_value
      - .offset:         104
        .size:           8
        .value_kind:     by_value
      - .address_space:  global
        .offset:         112
        .size:           8
        .value_kind:     global_buffer
      - .offset:         120
        .size:           8
        .value_kind:     by_value
      - .offset:         128
        .size:           8
        .value_kind:     by_value
      - .offset:         136
        .size:           4
        .value_kind:     by_value
    .group_segment_fixed_size: 4096
    .kernarg_segment_align: 8
    .kernarg_segment_size: 140
    .language:       OpenCL C
    .language_version:
      - 2
      - 0
    .max_flat_workgroup_size: 256
    .name:           _ZN12_GLOBAL__N_127rocblas_gemm_batched_kernelI19rocblas_complex_numIfELi16ELi16ELi32ELi32ELi8ELi32ELi8ELi8ELi32ELc84ELc67EKPKS2_S5_KPS2_EEvlllT_PT11_llSA_llS8_PT12_llPT13_lli
    .private_segment_fixed_size: 0
    .sgpr_count:     46
    .sgpr_spill_count: 0
    .symbol:         _ZN12_GLOBAL__N_127rocblas_gemm_batched_kernelI19rocblas_complex_numIfELi16ELi16ELi32ELi32ELi8ELi32ELi8ELi8ELi32ELc84ELc67EKPKS2_S5_KPS2_EEvlllT_PT11_llSA_llS8_PT12_llPT13_lli.kd
    .uniform_work_group_size: 1
    .uses_dynamic_stack: false
    .vgpr_count:     121
    .vgpr_spill_count: 0
    .wavefront_size: 32
  - .args:
      - .offset:         0
        .size:           8
        .value_kind:     by_value
      - .offset:         8
        .size:           8
        .value_kind:     by_value
      - .offset:         16
        .size:           8
        .value_kind:     by_value
      - .offset:         24
        .size:           8
        .value_kind:     by_value
      - .address_space:  global
        .offset:         32
        .size:           8
        .value_kind:     global_buffer
      - .offset:         40
        .size:           8
        .value_kind:     by_value
      - .offset:         48
        .size:           8
        .value_kind:     by_value
      - .address_space:  global
        .offset:         56
        .size:           8
        .value_kind:     global_buffer
      - .offset:         64
        .size:           8
        .value_kind:     by_value
      - .offset:         72
        .size:           8
        .value_kind:     by_value
      - .offset:         80
        .size:           8
        .value_kind:     by_value
      - .address_space:  global
        .offset:         88
        .size:           8
        .value_kind:     global_buffer
      - .offset:         96
        .size:           8
        .value_kind:     by_value
      - .offset:         104
        .size:           8
        .value_kind:     by_value
      - .address_space:  global
        .offset:         112
        .size:           8
        .value_kind:     global_buffer
      - .offset:         120
        .size:           8
        .value_kind:     by_value
      - .offset:         128
        .size:           8
        .value_kind:     by_value
      - .offset:         136
        .size:           4
        .value_kind:     by_value
    .group_segment_fixed_size: 4096
    .kernarg_segment_align: 8
    .kernarg_segment_size: 140
    .language:       OpenCL C
    .language_version:
      - 2
      - 0
    .max_flat_workgroup_size: 256
    .name:           _ZN12_GLOBAL__N_135rocblas_gemm_batched_general_kernelI19rocblas_complex_numIfELi16ELi16ELi32ELi32ELi8ELi32ELi8ELi8ELi32ELc78ELc78EKPKS2_S5_KPS2_EEvlllT_PT11_llSA_llS8_PT12_llPT13_lli
    .private_segment_fixed_size: 0
    .sgpr_count:     48
    .sgpr_spill_count: 0
    .symbol:         _ZN12_GLOBAL__N_135rocblas_gemm_batched_general_kernelI19rocblas_complex_numIfELi16ELi16ELi32ELi32ELi8ELi32ELi8ELi8ELi32ELc78ELc78EKPKS2_S5_KPS2_EEvlllT_PT11_llSA_llS8_PT12_llPT13_lli.kd
    .uniform_work_group_size: 1
    .uses_dynamic_stack: false
    .vgpr_count:     112
    .vgpr_spill_count: 0
    .wavefront_size: 32
  - .args:
      - .offset:         0
        .size:           8
        .value_kind:     by_value
      - .offset:         8
        .size:           8
        .value_kind:     by_value
      - .offset:         16
        .size:           8
        .value_kind:     by_value
      - .offset:         24
        .size:           8
        .value_kind:     by_value
      - .address_space:  global
        .offset:         32
        .size:           8
        .value_kind:     global_buffer
      - .offset:         40
        .size:           8
        .value_kind:     by_value
      - .offset:         48
        .size:           8
        .value_kind:     by_value
      - .address_space:  global
        .offset:         56
        .size:           8
        .value_kind:     global_buffer
      - .offset:         64
        .size:           8
        .value_kind:     by_value
      - .offset:         72
        .size:           8
        .value_kind:     by_value
      - .offset:         80
        .size:           8
        .value_kind:     by_value
      - .address_space:  global
        .offset:         88
        .size:           8
        .value_kind:     global_buffer
      - .offset:         96
        .size:           8
        .value_kind:     by_value
      - .offset:         104
        .size:           8
        .value_kind:     by_value
      - .address_space:  global
        .offset:         112
        .size:           8
        .value_kind:     global_buffer
      - .offset:         120
        .size:           8
        .value_kind:     by_value
      - .offset:         128
        .size:           8
        .value_kind:     by_value
      - .offset:         136
        .size:           4
        .value_kind:     by_value
    .group_segment_fixed_size: 4096
    .kernarg_segment_align: 8
    .kernarg_segment_size: 140
    .language:       OpenCL C
    .language_version:
      - 2
      - 0
    .max_flat_workgroup_size: 256
    .name:           _ZN12_GLOBAL__N_135rocblas_gemm_batched_general_kernelI19rocblas_complex_numIfELi16ELi16ELi32ELi32ELi8ELi32ELi8ELi8ELi32ELc84ELc78EKPKS2_S5_KPS2_EEvlllT_PT11_llSA_llS8_PT12_llPT13_lli
    .private_segment_fixed_size: 0
    .sgpr_count:     46
    .sgpr_spill_count: 0
    .symbol:         _ZN12_GLOBAL__N_135rocblas_gemm_batched_general_kernelI19rocblas_complex_numIfELi16ELi16ELi32ELi32ELi8ELi32ELi8ELi8ELi32ELc84ELc78EKPKS2_S5_KPS2_EEvlllT_PT11_llSA_llS8_PT12_llPT13_lli.kd
    .uniform_work_group_size: 1
    .uses_dynamic_stack: false
    .vgpr_count:     112
    .vgpr_spill_count: 0
    .wavefront_size: 32
  - .args:
      - .offset:         0
        .size:           8
        .value_kind:     by_value
      - .offset:         8
        .size:           8
        .value_kind:     by_value
      - .offset:         16
        .size:           8
        .value_kind:     by_value
      - .offset:         24
        .size:           8
        .value_kind:     by_value
      - .address_space:  global
        .offset:         32
        .size:           8
        .value_kind:     global_buffer
      - .offset:         40
        .size:           8
        .value_kind:     by_value
      - .offset:         48
        .size:           8
        .value_kind:     by_value
      - .address_space:  global
        .offset:         56
        .size:           8
        .value_kind:     global_buffer
      - .offset:         64
        .size:           8
        .value_kind:     by_value
      - .offset:         72
        .size:           8
        .value_kind:     by_value
      - .offset:         80
        .size:           8
        .value_kind:     by_value
      - .address_space:  global
        .offset:         88
        .size:           8
        .value_kind:     global_buffer
      - .offset:         96
        .size:           8
        .value_kind:     by_value
      - .offset:         104
        .size:           8
        .value_kind:     by_value
      - .address_space:  global
        .offset:         112
        .size:           8
        .value_kind:     global_buffer
      - .offset:         120
        .size:           8
        .value_kind:     by_value
      - .offset:         128
        .size:           8
        .value_kind:     by_value
      - .offset:         136
        .size:           4
        .value_kind:     by_value
    .group_segment_fixed_size: 4096
    .kernarg_segment_align: 8
    .kernarg_segment_size: 140
    .language:       OpenCL C
    .language_version:
      - 2
      - 0
    .max_flat_workgroup_size: 256
    .name:           _ZN12_GLOBAL__N_135rocblas_gemm_batched_general_kernelI19rocblas_complex_numIfELi16ELi16ELi32ELi32ELi8ELi32ELi8ELi8ELi32ELc78ELc84EKPKS2_S5_KPS2_EEvlllT_PT11_llSA_llS8_PT12_llPT13_lli
    .private_segment_fixed_size: 0
    .sgpr_count:     52
    .sgpr_spill_count: 0
    .symbol:         _ZN12_GLOBAL__N_135rocblas_gemm_batched_general_kernelI19rocblas_complex_numIfELi16ELi16ELi32ELi32ELi8ELi32ELi8ELi8ELi32ELc78ELc84EKPKS2_S5_KPS2_EEvlllT_PT11_llSA_llS8_PT12_llPT13_lli.kd
    .uniform_work_group_size: 1
    .uses_dynamic_stack: false
    .vgpr_count:     112
    .vgpr_spill_count: 0
    .wavefront_size: 32
  - .args:
      - .offset:         0
        .size:           8
        .value_kind:     by_value
      - .offset:         8
        .size:           8
        .value_kind:     by_value
      - .offset:         16
        .size:           8
        .value_kind:     by_value
      - .offset:         24
        .size:           8
        .value_kind:     by_value
      - .address_space:  global
        .offset:         32
        .size:           8
        .value_kind:     global_buffer
      - .offset:         40
        .size:           8
        .value_kind:     by_value
      - .offset:         48
        .size:           8
        .value_kind:     by_value
      - .address_space:  global
        .offset:         56
        .size:           8
        .value_kind:     global_buffer
      - .offset:         64
        .size:           8
        .value_kind:     by_value
      - .offset:         72
        .size:           8
        .value_kind:     by_value
      - .offset:         80
        .size:           8
        .value_kind:     by_value
      - .address_space:  global
        .offset:         88
        .size:           8
        .value_kind:     global_buffer
      - .offset:         96
        .size:           8
        .value_kind:     by_value
      - .offset:         104
        .size:           8
        .value_kind:     by_value
      - .address_space:  global
        .offset:         112
        .size:           8
        .value_kind:     global_buffer
      - .offset:         120
        .size:           8
        .value_kind:     by_value
      - .offset:         128
        .size:           8
        .value_kind:     by_value
      - .offset:         136
        .size:           4
        .value_kind:     by_value
    .group_segment_fixed_size: 4096
    .kernarg_segment_align: 8
    .kernarg_segment_size: 140
    .language:       OpenCL C
    .language_version:
      - 2
      - 0
    .max_flat_workgroup_size: 256
    .name:           _ZN12_GLOBAL__N_135rocblas_gemm_batched_general_kernelI19rocblas_complex_numIfELi16ELi16ELi32ELi32ELi8ELi32ELi8ELi8ELi32ELc84ELc84EKPKS2_S5_KPS2_EEvlllT_PT11_llSA_llS8_PT12_llPT13_lli
    .private_segment_fixed_size: 0
    .sgpr_count:     48
    .sgpr_spill_count: 0
    .symbol:         _ZN12_GLOBAL__N_135rocblas_gemm_batched_general_kernelI19rocblas_complex_numIfELi16ELi16ELi32ELi32ELi8ELi32ELi8ELi8ELi32ELc84ELc84EKPKS2_S5_KPS2_EEvlllT_PT11_llSA_llS8_PT12_llPT13_lli.kd
    .uniform_work_group_size: 1
    .uses_dynamic_stack: false
    .vgpr_count:     112
    .vgpr_spill_count: 0
    .wavefront_size: 32
  - .args:
      - .offset:         0
        .size:           8
        .value_kind:     by_value
      - .offset:         8
        .size:           8
        .value_kind:     by_value
      - .offset:         16
        .size:           8
        .value_kind:     by_value
      - .offset:         24
        .size:           8
        .value_kind:     by_value
      - .address_space:  global
        .offset:         32
        .size:           8
        .value_kind:     global_buffer
      - .offset:         40
        .size:           8
        .value_kind:     by_value
      - .offset:         48
        .size:           8
        .value_kind:     by_value
      - .address_space:  global
        .offset:         56
        .size:           8
        .value_kind:     global_buffer
      - .offset:         64
        .size:           8
        .value_kind:     by_value
      - .offset:         72
        .size:           8
        .value_kind:     by_value
      - .offset:         80
        .size:           8
        .value_kind:     by_value
      - .address_space:  global
        .offset:         88
        .size:           8
        .value_kind:     global_buffer
      - .offset:         96
        .size:           8
        .value_kind:     by_value
      - .offset:         104
        .size:           8
        .value_kind:     by_value
      - .address_space:  global
        .offset:         112
        .size:           8
        .value_kind:     global_buffer
      - .offset:         120
        .size:           8
        .value_kind:     by_value
      - .offset:         128
        .size:           8
        .value_kind:     by_value
      - .offset:         136
        .size:           4
        .value_kind:     by_value
    .group_segment_fixed_size: 4096
    .kernarg_segment_align: 8
    .kernarg_segment_size: 140
    .language:       OpenCL C
    .language_version:
      - 2
      - 0
    .max_flat_workgroup_size: 256
    .name:           _ZN12_GLOBAL__N_135rocblas_gemm_batched_general_kernelI19rocblas_complex_numIfELi16ELi16ELi32ELi32ELi8ELi32ELi8ELi8ELi32ELc67ELc67EKPKS2_S5_KPS2_EEvlllT_PT11_llSA_llS8_PT12_llPT13_lli
    .private_segment_fixed_size: 0
    .sgpr_count:     47
    .sgpr_spill_count: 0
    .symbol:         _ZN12_GLOBAL__N_135rocblas_gemm_batched_general_kernelI19rocblas_complex_numIfELi16ELi16ELi32ELi32ELi8ELi32ELi8ELi8ELi32ELc67ELc67EKPKS2_S5_KPS2_EEvlllT_PT11_llSA_llS8_PT12_llPT13_lli.kd
    .uniform_work_group_size: 1
    .uses_dynamic_stack: false
    .vgpr_count:     114
    .vgpr_spill_count: 0
    .wavefront_size: 32
  - .args:
      - .offset:         0
        .size:           8
        .value_kind:     by_value
      - .offset:         8
        .size:           8
        .value_kind:     by_value
      - .offset:         16
        .size:           8
        .value_kind:     by_value
      - .offset:         24
        .size:           8
        .value_kind:     by_value
      - .address_space:  global
        .offset:         32
        .size:           8
        .value_kind:     global_buffer
      - .offset:         40
        .size:           8
        .value_kind:     by_value
      - .offset:         48
        .size:           8
        .value_kind:     by_value
      - .address_space:  global
        .offset:         56
        .size:           8
        .value_kind:     global_buffer
      - .offset:         64
        .size:           8
        .value_kind:     by_value
      - .offset:         72
        .size:           8
        .value_kind:     by_value
      - .offset:         80
        .size:           8
        .value_kind:     by_value
      - .address_space:  global
        .offset:         88
        .size:           8
        .value_kind:     global_buffer
      - .offset:         96
        .size:           8
        .value_kind:     by_value
      - .offset:         104
        .size:           8
        .value_kind:     by_value
      - .address_space:  global
        .offset:         112
        .size:           8
        .value_kind:     global_buffer
      - .offset:         120
        .size:           8
        .value_kind:     by_value
      - .offset:         128
        .size:           8
        .value_kind:     by_value
      - .offset:         136
        .size:           4
        .value_kind:     by_value
    .group_segment_fixed_size: 4096
    .kernarg_segment_align: 8
    .kernarg_segment_size: 140
    .language:       OpenCL C
    .language_version:
      - 2
      - 0
    .max_flat_workgroup_size: 256
    .name:           _ZN12_GLOBAL__N_135rocblas_gemm_batched_general_kernelI19rocblas_complex_numIfELi16ELi16ELi32ELi32ELi8ELi32ELi8ELi8ELi32ELc67ELc78EKPKS2_S5_KPS2_EEvlllT_PT11_llSA_llS8_PT12_llPT13_lli
    .private_segment_fixed_size: 0
    .sgpr_count:     46
    .sgpr_spill_count: 0
    .symbol:         _ZN12_GLOBAL__N_135rocblas_gemm_batched_general_kernelI19rocblas_complex_numIfELi16ELi16ELi32ELi32ELi8ELi32ELi8ELi8ELi32ELc67ELc78EKPKS2_S5_KPS2_EEvlllT_PT11_llSA_llS8_PT12_llPT13_lli.kd
    .uniform_work_group_size: 1
    .uses_dynamic_stack: false
    .vgpr_count:     114
    .vgpr_spill_count: 0
    .wavefront_size: 32
  - .args:
      - .offset:         0
        .size:           8
        .value_kind:     by_value
      - .offset:         8
        .size:           8
        .value_kind:     by_value
      - .offset:         16
        .size:           8
        .value_kind:     by_value
      - .offset:         24
        .size:           8
        .value_kind:     by_value
      - .address_space:  global
        .offset:         32
        .size:           8
        .value_kind:     global_buffer
      - .offset:         40
        .size:           8
        .value_kind:     by_value
      - .offset:         48
        .size:           8
        .value_kind:     by_value
      - .address_space:  global
        .offset:         56
        .size:           8
        .value_kind:     global_buffer
      - .offset:         64
        .size:           8
        .value_kind:     by_value
      - .offset:         72
        .size:           8
        .value_kind:     by_value
      - .offset:         80
        .size:           8
        .value_kind:     by_value
      - .address_space:  global
        .offset:         88
        .size:           8
        .value_kind:     global_buffer
      - .offset:         96
        .size:           8
        .value_kind:     by_value
      - .offset:         104
        .size:           8
        .value_kind:     by_value
      - .address_space:  global
        .offset:         112
        .size:           8
        .value_kind:     global_buffer
      - .offset:         120
        .size:           8
        .value_kind:     by_value
      - .offset:         128
        .size:           8
        .value_kind:     by_value
      - .offset:         136
        .size:           4
        .value_kind:     by_value
    .group_segment_fixed_size: 4096
    .kernarg_segment_align: 8
    .kernarg_segment_size: 140
    .language:       OpenCL C
    .language_version:
      - 2
      - 0
    .max_flat_workgroup_size: 256
    .name:           _ZN12_GLOBAL__N_135rocblas_gemm_batched_general_kernelI19rocblas_complex_numIfELi16ELi16ELi32ELi32ELi8ELi32ELi8ELi8ELi32ELc67ELc84EKPKS2_S5_KPS2_EEvlllT_PT11_llSA_llS8_PT12_llPT13_lli
    .private_segment_fixed_size: 0
    .sgpr_count:     48
    .sgpr_spill_count: 0
    .symbol:         _ZN12_GLOBAL__N_135rocblas_gemm_batched_general_kernelI19rocblas_complex_numIfELi16ELi16ELi32ELi32ELi8ELi32ELi8ELi8ELi32ELc67ELc84EKPKS2_S5_KPS2_EEvlllT_PT11_llSA_llS8_PT12_llPT13_lli.kd
    .uniform_work_group_size: 1
    .uses_dynamic_stack: false
    .vgpr_count:     114
    .vgpr_spill_count: 0
    .wavefront_size: 32
  - .args:
      - .offset:         0
        .size:           8
        .value_kind:     by_value
      - .offset:         8
        .size:           8
        .value_kind:     by_value
      - .offset:         16
        .size:           8
        .value_kind:     by_value
      - .offset:         24
        .size:           8
        .value_kind:     by_value
      - .address_space:  global
        .offset:         32
        .size:           8
        .value_kind:     global_buffer
      - .offset:         40
        .size:           8
        .value_kind:     by_value
      - .offset:         48
        .size:           8
        .value_kind:     by_value
      - .address_space:  global
        .offset:         56
        .size:           8
        .value_kind:     global_buffer
      - .offset:         64
        .size:           8
        .value_kind:     by_value
      - .offset:         72
        .size:           8
        .value_kind:     by_value
      - .offset:         80
        .size:           8
        .value_kind:     by_value
      - .address_space:  global
        .offset:         88
        .size:           8
        .value_kind:     global_buffer
      - .offset:         96
        .size:           8
        .value_kind:     by_value
      - .offset:         104
        .size:           8
        .value_kind:     by_value
      - .address_space:  global
        .offset:         112
        .size:           8
        .value_kind:     global_buffer
      - .offset:         120
        .size:           8
        .value_kind:     by_value
      - .offset:         128
        .size:           8
        .value_kind:     by_value
      - .offset:         136
        .size:           4
        .value_kind:     by_value
    .group_segment_fixed_size: 4096
    .kernarg_segment_align: 8
    .kernarg_segment_size: 140
    .language:       OpenCL C
    .language_version:
      - 2
      - 0
    .max_flat_workgroup_size: 256
    .name:           _ZN12_GLOBAL__N_135rocblas_gemm_batched_general_kernelI19rocblas_complex_numIfELi16ELi16ELi32ELi32ELi8ELi32ELi8ELi8ELi32ELc78ELc67EKPKS2_S5_KPS2_EEvlllT_PT11_llSA_llS8_PT12_llPT13_lli
    .private_segment_fixed_size: 0
    .sgpr_count:     50
    .sgpr_spill_count: 0
    .symbol:         _ZN12_GLOBAL__N_135rocblas_gemm_batched_general_kernelI19rocblas_complex_numIfELi16ELi16ELi32ELi32ELi8ELi32ELi8ELi8ELi32ELc78ELc67EKPKS2_S5_KPS2_EEvlllT_PT11_llSA_llS8_PT12_llPT13_lli.kd
    .uniform_work_group_size: 1
    .uses_dynamic_stack: false
    .vgpr_count:     114
    .vgpr_spill_count: 0
    .wavefront_size: 32
  - .args:
      - .offset:         0
        .size:           8
        .value_kind:     by_value
      - .offset:         8
        .size:           8
        .value_kind:     by_value
      - .offset:         16
        .size:           8
        .value_kind:     by_value
      - .offset:         24
        .size:           8
        .value_kind:     by_value
      - .address_space:  global
        .offset:         32
        .size:           8
        .value_kind:     global_buffer
      - .offset:         40
        .size:           8
        .value_kind:     by_value
      - .offset:         48
        .size:           8
        .value_kind:     by_value
      - .address_space:  global
        .offset:         56
        .size:           8
        .value_kind:     global_buffer
      - .offset:         64
        .size:           8
        .value_kind:     by_value
      - .offset:         72
        .size:           8
        .value_kind:     by_value
      - .offset:         80
        .size:           8
        .value_kind:     by_value
      - .address_space:  global
        .offset:         88
        .size:           8
        .value_kind:     global_buffer
      - .offset:         96
        .size:           8
        .value_kind:     by_value
      - .offset:         104
        .size:           8
        .value_kind:     by_value
      - .address_space:  global
        .offset:         112
        .size:           8
        .value_kind:     global_buffer
      - .offset:         120
        .size:           8
        .value_kind:     by_value
      - .offset:         128
        .size:           8
        .value_kind:     by_value
      - .offset:         136
        .size:           4
        .value_kind:     by_value
    .group_segment_fixed_size: 4096
    .kernarg_segment_align: 8
    .kernarg_segment_size: 140
    .language:       OpenCL C
    .language_version:
      - 2
      - 0
    .max_flat_workgroup_size: 256
    .name:           _ZN12_GLOBAL__N_135rocblas_gemm_batched_general_kernelI19rocblas_complex_numIfELi16ELi16ELi32ELi32ELi8ELi32ELi8ELi8ELi32ELc84ELc67EKPKS2_S5_KPS2_EEvlllT_PT11_llSA_llS8_PT12_llPT13_lli
    .private_segment_fixed_size: 0
    .sgpr_count:     48
    .sgpr_spill_count: 0
    .symbol:         _ZN12_GLOBAL__N_135rocblas_gemm_batched_general_kernelI19rocblas_complex_numIfELi16ELi16ELi32ELi32ELi8ELi32ELi8ELi8ELi32ELc84ELc67EKPKS2_S5_KPS2_EEvlllT_PT11_llSA_llS8_PT12_llPT13_lli.kd
    .uniform_work_group_size: 1
    .uses_dynamic_stack: false
    .vgpr_count:     114
    .vgpr_spill_count: 0
    .wavefront_size: 32
  - .args:
      - .offset:         0
        .size:           4
        .value_kind:     by_value
      - .offset:         4
        .size:           4
        .value_kind:     by_value
      - .offset:         8
        .size:           16
        .value_kind:     by_value
      - .address_space:  global
        .offset:         24
        .size:           8
        .value_kind:     global_buffer
      - .offset:         32
        .size:           8
        .value_kind:     by_value
      - .offset:         40
        .size:           8
        .value_kind:     by_value
      - .offset:         48
        .size:           8
        .value_kind:     by_value
      - .address_space:  global
        .offset:         56
        .size:           8
        .value_kind:     global_buffer
      - .offset:         64
        .size:           8
        .value_kind:     by_value
      - .offset:         72
        .size:           8
        .value_kind:     by_value
      - .offset:         80
        .size:           8
        .value_kind:     by_value
      - .offset:         88
        .size:           4
        .value_kind:     by_value
    .group_segment_fixed_size: 0
    .kernarg_segment_align: 8
    .kernarg_segment_size: 92
    .language:       OpenCL C
    .language_version:
      - 2
      - 0
    .max_flat_workgroup_size: 1024
    .name:           _ZN12_GLOBAL__N_120gemm_ex_scale_kernelILi32ELi32E19rocblas_complex_numIdEPKPKS2_PKPS2_EEviiT1_T2_lllT3_llli
    .private_segment_fixed_size: 0
    .sgpr_count:     27
    .sgpr_spill_count: 0
    .symbol:         _ZN12_GLOBAL__N_120gemm_ex_scale_kernelILi32ELi32E19rocblas_complex_numIdEPKPKS2_PKPS2_EEviiT1_T2_lllT3_llli.kd
    .uniform_work_group_size: 1
    .uses_dynamic_stack: false
    .vgpr_count:     14
    .vgpr_spill_count: 0
    .wavefront_size: 32
  - .args:
      - .offset:         0
        .size:           8
        .value_kind:     by_value
      - .offset:         8
        .size:           8
        .value_kind:     by_value
      - .offset:         16
        .size:           8
        .value_kind:     by_value
      - .offset:         24
        .size:           16
        .value_kind:     by_value
      - .address_space:  global
        .offset:         40
        .size:           8
        .value_kind:     global_buffer
      - .offset:         48
        .size:           8
        .value_kind:     by_value
      - .offset:         56
        .size:           8
        .value_kind:     by_value
      - .address_space:  global
        .offset:         64
        .size:           8
        .value_kind:     global_buffer
      - .offset:         72
        .size:           8
        .value_kind:     by_value
      - .offset:         80
        .size:           8
        .value_kind:     by_value
      - .offset:         88
        .size:           16
        .value_kind:     by_value
      - .address_space:  global
        .offset:         104
        .size:           8
        .value_kind:     global_buffer
      - .offset:         112
        .size:           8
        .value_kind:     by_value
      - .offset:         120
        .size:           8
        .value_kind:     by_value
      - .address_space:  global
        .offset:         128
        .size:           8
        .value_kind:     global_buffer
      - .offset:         136
        .size:           8
        .value_kind:     by_value
      - .offset:         144
        .size:           8
        .value_kind:     by_value
      - .offset:         152
        .size:           4
        .value_kind:     by_value
    .group_segment_fixed_size: 8192
    .kernarg_segment_align: 8
    .kernarg_segment_size: 156
    .language:       OpenCL C
    .language_version:
      - 2
      - 0
    .max_flat_workgroup_size: 256
    .name:           _ZN12_GLOBAL__N_127rocblas_gemm_batched_kernelI19rocblas_complex_numIdELi16ELi16ELi64ELi64ELi4ELi64ELi4ELi4ELi64ELc78ELc78EKPKS2_S5_KPS2_EEvlllT_PT11_llSA_llS8_PT12_llPT13_lli
    .private_segment_fixed_size: 0
    .sgpr_count:     54
    .sgpr_spill_count: 0
    .symbol:         _ZN12_GLOBAL__N_127rocblas_gemm_batched_kernelI19rocblas_complex_numIdELi16ELi16ELi64ELi64ELi4ELi64ELi4ELi4ELi64ELc78ELc78EKPKS2_S5_KPS2_EEvlllT_PT11_llSA_llS8_PT12_llPT13_lli.kd
    .uniform_work_group_size: 1
    .uses_dynamic_stack: false
    .vgpr_count:     154
    .vgpr_spill_count: 0
    .wavefront_size: 32
  - .args:
      - .offset:         0
        .size:           8
        .value_kind:     by_value
      - .offset:         8
        .size:           8
        .value_kind:     by_value
      - .offset:         16
        .size:           8
        .value_kind:     by_value
      - .offset:         24
        .size:           16
        .value_kind:     by_value
      - .address_space:  global
        .offset:         40
        .size:           8
        .value_kind:     global_buffer
      - .offset:         48
        .size:           8
        .value_kind:     by_value
      - .offset:         56
        .size:           8
        .value_kind:     by_value
      - .address_space:  global
        .offset:         64
        .size:           8
        .value_kind:     global_buffer
      - .offset:         72
        .size:           8
        .value_kind:     by_value
      - .offset:         80
        .size:           8
        .value_kind:     by_value
      - .offset:         88
        .size:           16
        .value_kind:     by_value
      - .address_space:  global
        .offset:         104
        .size:           8
        .value_kind:     global_buffer
      - .offset:         112
        .size:           8
        .value_kind:     by_value
      - .offset:         120
        .size:           8
        .value_kind:     by_value
      - .address_space:  global
        .offset:         128
        .size:           8
        .value_kind:     global_buffer
      - .offset:         136
        .size:           8
        .value_kind:     by_value
      - .offset:         144
        .size:           8
        .value_kind:     by_value
      - .offset:         152
        .size:           4
        .value_kind:     by_value
    .group_segment_fixed_size: 8192
    .kernarg_segment_align: 8
    .kernarg_segment_size: 156
    .language:       OpenCL C
    .language_version:
      - 2
      - 0
    .max_flat_workgroup_size: 256
    .name:           _ZN12_GLOBAL__N_127rocblas_gemm_batched_kernelI19rocblas_complex_numIdELi16ELi16ELi64ELi64ELi4ELi64ELi4ELi4ELi64ELc84ELc78EKPKS2_S5_KPS2_EEvlllT_PT11_llSA_llS8_PT12_llPT13_lli
    .private_segment_fixed_size: 0
    .sgpr_count:     54
    .sgpr_spill_count: 0
    .symbol:         _ZN12_GLOBAL__N_127rocblas_gemm_batched_kernelI19rocblas_complex_numIdELi16ELi16ELi64ELi64ELi4ELi64ELi4ELi4ELi64ELc84ELc78EKPKS2_S5_KPS2_EEvlllT_PT11_llSA_llS8_PT12_llPT13_lli.kd
    .uniform_work_group_size: 1
    .uses_dynamic_stack: false
    .vgpr_count:     154
    .vgpr_spill_count: 0
    .wavefront_size: 32
  - .args:
      - .offset:         0
        .size:           8
        .value_kind:     by_value
      - .offset:         8
        .size:           8
        .value_kind:     by_value
      - .offset:         16
        .size:           8
        .value_kind:     by_value
      - .offset:         24
        .size:           16
        .value_kind:     by_value
      - .address_space:  global
        .offset:         40
        .size:           8
        .value_kind:     global_buffer
      - .offset:         48
        .size:           8
        .value_kind:     by_value
      - .offset:         56
        .size:           8
        .value_kind:     by_value
      - .address_space:  global
        .offset:         64
        .size:           8
        .value_kind:     global_buffer
      - .offset:         72
        .size:           8
        .value_kind:     by_value
      - .offset:         80
        .size:           8
        .value_kind:     by_value
      - .offset:         88
        .size:           16
        .value_kind:     by_value
      - .address_space:  global
        .offset:         104
        .size:           8
        .value_kind:     global_buffer
      - .offset:         112
        .size:           8
        .value_kind:     by_value
      - .offset:         120
        .size:           8
        .value_kind:     by_value
      - .address_space:  global
        .offset:         128
        .size:           8
        .value_kind:     global_buffer
      - .offset:         136
        .size:           8
        .value_kind:     by_value
      - .offset:         144
        .size:           8
        .value_kind:     by_value
      - .offset:         152
        .size:           4
        .value_kind:     by_value
    .group_segment_fixed_size: 8192
    .kernarg_segment_align: 8
    .kernarg_segment_size: 156
    .language:       OpenCL C
    .language_version:
      - 2
      - 0
    .max_flat_workgroup_size: 256
    .name:           _ZN12_GLOBAL__N_127rocblas_gemm_batched_kernelI19rocblas_complex_numIdELi16ELi16ELi64ELi64ELi4ELi64ELi4ELi4ELi64ELc78ELc84EKPKS2_S5_KPS2_EEvlllT_PT11_llSA_llS8_PT12_llPT13_lli
    .private_segment_fixed_size: 0
    .sgpr_count:     54
    .sgpr_spill_count: 0
    .symbol:         _ZN12_GLOBAL__N_127rocblas_gemm_batched_kernelI19rocblas_complex_numIdELi16ELi16ELi64ELi64ELi4ELi64ELi4ELi4ELi64ELc78ELc84EKPKS2_S5_KPS2_EEvlllT_PT11_llSA_llS8_PT12_llPT13_lli.kd
    .uniform_work_group_size: 1
    .uses_dynamic_stack: false
    .vgpr_count:     154
    .vgpr_spill_count: 0
    .wavefront_size: 32
  - .args:
      - .offset:         0
        .size:           8
        .value_kind:     by_value
      - .offset:         8
        .size:           8
        .value_kind:     by_value
      - .offset:         16
        .size:           8
        .value_kind:     by_value
      - .offset:         24
        .size:           16
        .value_kind:     by_value
      - .address_space:  global
        .offset:         40
        .size:           8
        .value_kind:     global_buffer
      - .offset:         48
        .size:           8
        .value_kind:     by_value
      - .offset:         56
        .size:           8
        .value_kind:     by_value
      - .address_space:  global
        .offset:         64
        .size:           8
        .value_kind:     global_buffer
      - .offset:         72
        .size:           8
        .value_kind:     by_value
      - .offset:         80
        .size:           8
        .value_kind:     by_value
      - .offset:         88
        .size:           16
        .value_kind:     by_value
      - .address_space:  global
        .offset:         104
        .size:           8
        .value_kind:     global_buffer
      - .offset:         112
        .size:           8
        .value_kind:     by_value
      - .offset:         120
        .size:           8
        .value_kind:     by_value
      - .address_space:  global
        .offset:         128
        .size:           8
        .value_kind:     global_buffer
      - .offset:         136
        .size:           8
        .value_kind:     by_value
      - .offset:         144
        .size:           8
        .value_kind:     by_value
      - .offset:         152
        .size:           4
        .value_kind:     by_value
    .group_segment_fixed_size: 8192
    .kernarg_segment_align: 8
    .kernarg_segment_size: 156
    .language:       OpenCL C
    .language_version:
      - 2
      - 0
    .max_flat_workgroup_size: 256
    .name:           _ZN12_GLOBAL__N_127rocblas_gemm_batched_kernelI19rocblas_complex_numIdELi16ELi16ELi64ELi64ELi4ELi64ELi4ELi4ELi64ELc84ELc84EKPKS2_S5_KPS2_EEvlllT_PT11_llSA_llS8_PT12_llPT13_lli
    .private_segment_fixed_size: 0
    .sgpr_count:     54
    .sgpr_spill_count: 0
    .symbol:         _ZN12_GLOBAL__N_127rocblas_gemm_batched_kernelI19rocblas_complex_numIdELi16ELi16ELi64ELi64ELi4ELi64ELi4ELi4ELi64ELc84ELc84EKPKS2_S5_KPS2_EEvlllT_PT11_llSA_llS8_PT12_llPT13_lli.kd
    .uniform_work_group_size: 1
    .uses_dynamic_stack: false
    .vgpr_count:     154
    .vgpr_spill_count: 0
    .wavefront_size: 32
  - .args:
      - .offset:         0
        .size:           8
        .value_kind:     by_value
      - .offset:         8
        .size:           8
        .value_kind:     by_value
      - .offset:         16
        .size:           8
        .value_kind:     by_value
      - .offset:         24
        .size:           16
        .value_kind:     by_value
      - .address_space:  global
        .offset:         40
        .size:           8
        .value_kind:     global_buffer
      - .offset:         48
        .size:           8
        .value_kind:     by_value
      - .offset:         56
        .size:           8
        .value_kind:     by_value
      - .address_space:  global
        .offset:         64
        .size:           8
        .value_kind:     global_buffer
      - .offset:         72
        .size:           8
        .value_kind:     by_value
      - .offset:         80
        .size:           8
        .value_kind:     by_value
      - .offset:         88
        .size:           16
        .value_kind:     by_value
      - .address_space:  global
        .offset:         104
        .size:           8
        .value_kind:     global_buffer
      - .offset:         112
        .size:           8
        .value_kind:     by_value
      - .offset:         120
        .size:           8
        .value_kind:     by_value
      - .address_space:  global
        .offset:         128
        .size:           8
        .value_kind:     global_buffer
      - .offset:         136
        .size:           8
        .value_kind:     by_value
      - .offset:         144
        .size:           8
        .value_kind:     by_value
      - .offset:         152
        .size:           4
        .value_kind:     by_value
    .group_segment_fixed_size: 8192
    .kernarg_segment_align: 8
    .kernarg_segment_size: 156
    .language:       OpenCL C
    .language_version:
      - 2
      - 0
    .max_flat_workgroup_size: 256
    .name:           _ZN12_GLOBAL__N_127rocblas_gemm_batched_kernelI19rocblas_complex_numIdELi16ELi16ELi64ELi64ELi4ELi64ELi4ELi4ELi64ELc67ELc67EKPKS2_S5_KPS2_EEvlllT_PT11_llSA_llS8_PT12_llPT13_lli
    .private_segment_fixed_size: 0
    .sgpr_count:     54
    .sgpr_spill_count: 0
    .symbol:         _ZN12_GLOBAL__N_127rocblas_gemm_batched_kernelI19rocblas_complex_numIdELi16ELi16ELi64ELi64ELi4ELi64ELi4ELi4ELi64ELc67ELc67EKPKS2_S5_KPS2_EEvlllT_PT11_llSA_llS8_PT12_llPT13_lli.kd
    .uniform_work_group_size: 1
    .uses_dynamic_stack: false
    .vgpr_count:     154
    .vgpr_spill_count: 0
    .wavefront_size: 32
  - .args:
      - .offset:         0
        .size:           8
        .value_kind:     by_value
      - .offset:         8
        .size:           8
        .value_kind:     by_value
      - .offset:         16
        .size:           8
        .value_kind:     by_value
      - .offset:         24
        .size:           16
        .value_kind:     by_value
      - .address_space:  global
        .offset:         40
        .size:           8
        .value_kind:     global_buffer
      - .offset:         48
        .size:           8
        .value_kind:     by_value
      - .offset:         56
        .size:           8
        .value_kind:     by_value
      - .address_space:  global
        .offset:         64
        .size:           8
        .value_kind:     global_buffer
      - .offset:         72
        .size:           8
        .value_kind:     by_value
      - .offset:         80
        .size:           8
        .value_kind:     by_value
      - .offset:         88
        .size:           16
        .value_kind:     by_value
      - .address_space:  global
        .offset:         104
        .size:           8
        .value_kind:     global_buffer
      - .offset:         112
        .size:           8
        .value_kind:     by_value
      - .offset:         120
        .size:           8
        .value_kind:     by_value
      - .address_space:  global
        .offset:         128
        .size:           8
        .value_kind:     global_buffer
      - .offset:         136
        .size:           8
        .value_kind:     by_value
      - .offset:         144
        .size:           8
        .value_kind:     by_value
      - .offset:         152
        .size:           4
        .value_kind:     by_value
    .group_segment_fixed_size: 8192
    .kernarg_segment_align: 8
    .kernarg_segment_size: 156
    .language:       OpenCL C
    .language_version:
      - 2
      - 0
    .max_flat_workgroup_size: 256
    .name:           _ZN12_GLOBAL__N_127rocblas_gemm_batched_kernelI19rocblas_complex_numIdELi16ELi16ELi64ELi64ELi4ELi64ELi4ELi4ELi64ELc67ELc78EKPKS2_S5_KPS2_EEvlllT_PT11_llSA_llS8_PT12_llPT13_lli
    .private_segment_fixed_size: 0
    .sgpr_count:     54
    .sgpr_spill_count: 0
    .symbol:         _ZN12_GLOBAL__N_127rocblas_gemm_batched_kernelI19rocblas_complex_numIdELi16ELi16ELi64ELi64ELi4ELi64ELi4ELi4ELi64ELc67ELc78EKPKS2_S5_KPS2_EEvlllT_PT11_llSA_llS8_PT12_llPT13_lli.kd
    .uniform_work_group_size: 1
    .uses_dynamic_stack: false
    .vgpr_count:     154
    .vgpr_spill_count: 0
    .wavefront_size: 32
  - .args:
      - .offset:         0
        .size:           8
        .value_kind:     by_value
      - .offset:         8
        .size:           8
        .value_kind:     by_value
      - .offset:         16
        .size:           8
        .value_kind:     by_value
      - .offset:         24
        .size:           16
        .value_kind:     by_value
      - .address_space:  global
        .offset:         40
        .size:           8
        .value_kind:     global_buffer
      - .offset:         48
        .size:           8
        .value_kind:     by_value
      - .offset:         56
        .size:           8
        .value_kind:     by_value
      - .address_space:  global
        .offset:         64
        .size:           8
        .value_kind:     global_buffer
      - .offset:         72
        .size:           8
        .value_kind:     by_value
      - .offset:         80
        .size:           8
        .value_kind:     by_value
      - .offset:         88
        .size:           16
        .value_kind:     by_value
      - .address_space:  global
        .offset:         104
        .size:           8
        .value_kind:     global_buffer
      - .offset:         112
        .size:           8
        .value_kind:     by_value
      - .offset:         120
        .size:           8
        .value_kind:     by_value
      - .address_space:  global
        .offset:         128
        .size:           8
        .value_kind:     global_buffer
      - .offset:         136
        .size:           8
        .value_kind:     by_value
      - .offset:         144
        .size:           8
        .value_kind:     by_value
      - .offset:         152
        .size:           4
        .value_kind:     by_value
    .group_segment_fixed_size: 8192
    .kernarg_segment_align: 8
    .kernarg_segment_size: 156
    .language:       OpenCL C
    .language_version:
      - 2
      - 0
    .max_flat_workgroup_size: 256
    .name:           _ZN12_GLOBAL__N_127rocblas_gemm_batched_kernelI19rocblas_complex_numIdELi16ELi16ELi64ELi64ELi4ELi64ELi4ELi4ELi64ELc67ELc84EKPKS2_S5_KPS2_EEvlllT_PT11_llSA_llS8_PT12_llPT13_lli
    .private_segment_fixed_size: 0
    .sgpr_count:     54
    .sgpr_spill_count: 0
    .symbol:         _ZN12_GLOBAL__N_127rocblas_gemm_batched_kernelI19rocblas_complex_numIdELi16ELi16ELi64ELi64ELi4ELi64ELi4ELi4ELi64ELc67ELc84EKPKS2_S5_KPS2_EEvlllT_PT11_llSA_llS8_PT12_llPT13_lli.kd
    .uniform_work_group_size: 1
    .uses_dynamic_stack: false
    .vgpr_count:     154
    .vgpr_spill_count: 0
    .wavefront_size: 32
  - .args:
      - .offset:         0
        .size:           8
        .value_kind:     by_value
      - .offset:         8
        .size:           8
        .value_kind:     by_value
      - .offset:         16
        .size:           8
        .value_kind:     by_value
      - .offset:         24
        .size:           16
        .value_kind:     by_value
      - .address_space:  global
        .offset:         40
        .size:           8
        .value_kind:     global_buffer
      - .offset:         48
        .size:           8
        .value_kind:     by_value
      - .offset:         56
        .size:           8
        .value_kind:     by_value
      - .address_space:  global
        .offset:         64
        .size:           8
        .value_kind:     global_buffer
      - .offset:         72
        .size:           8
        .value_kind:     by_value
      - .offset:         80
        .size:           8
        .value_kind:     by_value
      - .offset:         88
        .size:           16
        .value_kind:     by_value
      - .address_space:  global
        .offset:         104
        .size:           8
        .value_kind:     global_buffer
      - .offset:         112
        .size:           8
        .value_kind:     by_value
      - .offset:         120
        .size:           8
        .value_kind:     by_value
      - .address_space:  global
        .offset:         128
        .size:           8
        .value_kind:     global_buffer
      - .offset:         136
        .size:           8
        .value_kind:     by_value
      - .offset:         144
        .size:           8
        .value_kind:     by_value
      - .offset:         152
        .size:           4
        .value_kind:     by_value
    .group_segment_fixed_size: 8192
    .kernarg_segment_align: 8
    .kernarg_segment_size: 156
    .language:       OpenCL C
    .language_version:
      - 2
      - 0
    .max_flat_workgroup_size: 256
    .name:           _ZN12_GLOBAL__N_127rocblas_gemm_batched_kernelI19rocblas_complex_numIdELi16ELi16ELi64ELi64ELi4ELi64ELi4ELi4ELi64ELc78ELc67EKPKS2_S5_KPS2_EEvlllT_PT11_llSA_llS8_PT12_llPT13_lli
    .private_segment_fixed_size: 0
    .sgpr_count:     54
    .sgpr_spill_count: 0
    .symbol:         _ZN12_GLOBAL__N_127rocblas_gemm_batched_kernelI19rocblas_complex_numIdELi16ELi16ELi64ELi64ELi4ELi64ELi4ELi4ELi64ELc78ELc67EKPKS2_S5_KPS2_EEvlllT_PT11_llSA_llS8_PT12_llPT13_lli.kd
    .uniform_work_group_size: 1
    .uses_dynamic_stack: false
    .vgpr_count:     154
    .vgpr_spill_count: 0
    .wavefront_size: 32
  - .args:
      - .offset:         0
        .size:           8
        .value_kind:     by_value
      - .offset:         8
        .size:           8
        .value_kind:     by_value
      - .offset:         16
        .size:           8
        .value_kind:     by_value
      - .offset:         24
        .size:           16
        .value_kind:     by_value
      - .address_space:  global
        .offset:         40
        .size:           8
        .value_kind:     global_buffer
      - .offset:         48
        .size:           8
        .value_kind:     by_value
      - .offset:         56
        .size:           8
        .value_kind:     by_value
      - .address_space:  global
        .offset:         64
        .size:           8
        .value_kind:     global_buffer
      - .offset:         72
        .size:           8
        .value_kind:     by_value
      - .offset:         80
        .size:           8
        .value_kind:     by_value
      - .offset:         88
        .size:           16
        .value_kind:     by_value
      - .address_space:  global
        .offset:         104
        .size:           8
        .value_kind:     global_buffer
      - .offset:         112
        .size:           8
        .value_kind:     by_value
      - .offset:         120
        .size:           8
        .value_kind:     by_value
      - .address_space:  global
        .offset:         128
        .size:           8
        .value_kind:     global_buffer
      - .offset:         136
        .size:           8
        .value_kind:     by_value
      - .offset:         144
        .size:           8
        .value_kind:     by_value
      - .offset:         152
        .size:           4
        .value_kind:     by_value
    .group_segment_fixed_size: 8192
    .kernarg_segment_align: 8
    .kernarg_segment_size: 156
    .language:       OpenCL C
    .language_version:
      - 2
      - 0
    .max_flat_workgroup_size: 256
    .name:           _ZN12_GLOBAL__N_127rocblas_gemm_batched_kernelI19rocblas_complex_numIdELi16ELi16ELi64ELi64ELi4ELi64ELi4ELi4ELi64ELc84ELc67EKPKS2_S5_KPS2_EEvlllT_PT11_llSA_llS8_PT12_llPT13_lli
    .private_segment_fixed_size: 0
    .sgpr_count:     54
    .sgpr_spill_count: 0
    .symbol:         _ZN12_GLOBAL__N_127rocblas_gemm_batched_kernelI19rocblas_complex_numIdELi16ELi16ELi64ELi64ELi4ELi64ELi4ELi4ELi64ELc84ELc67EKPKS2_S5_KPS2_EEvlllT_PT11_llSA_llS8_PT12_llPT13_lli.kd
    .uniform_work_group_size: 1
    .uses_dynamic_stack: false
    .vgpr_count:     154
    .vgpr_spill_count: 0
    .wavefront_size: 32
  - .args:
      - .offset:         0
        .size:           8
        .value_kind:     by_value
      - .offset:         8
        .size:           8
        .value_kind:     by_value
      - .offset:         16
        .size:           8
        .value_kind:     by_value
      - .offset:         24
        .size:           16
        .value_kind:     by_value
      - .address_space:  global
        .offset:         40
        .size:           8
        .value_kind:     global_buffer
      - .offset:         48
        .size:           8
        .value_kind:     by_value
      - .offset:         56
        .size:           8
        .value_kind:     by_value
      - .address_space:  global
        .offset:         64
        .size:           8
        .value_kind:     global_buffer
      - .offset:         72
        .size:           8
        .value_kind:     by_value
      - .offset:         80
        .size:           8
        .value_kind:     by_value
      - .offset:         88
        .size:           16
        .value_kind:     by_value
      - .address_space:  global
        .offset:         104
        .size:           8
        .value_kind:     global_buffer
      - .offset:         112
        .size:           8
        .value_kind:     by_value
      - .offset:         120
        .size:           8
        .value_kind:     by_value
      - .address_space:  global
        .offset:         128
        .size:           8
        .value_kind:     global_buffer
      - .offset:         136
        .size:           8
        .value_kind:     by_value
      - .offset:         144
        .size:           8
        .value_kind:     by_value
      - .offset:         152
        .size:           4
        .value_kind:     by_value
    .group_segment_fixed_size: 8192
    .kernarg_segment_align: 8
    .kernarg_segment_size: 156
    .language:       OpenCL C
    .language_version:
      - 2
      - 0
    .max_flat_workgroup_size: 256
    .name:           _ZN12_GLOBAL__N_127rocblas_gemm_batched_kernelI19rocblas_complex_numIdELi16ELi16ELi32ELi32ELi8ELi32ELi8ELi8ELi32ELc78ELc78EKPKS2_S5_KPS2_EEvlllT_PT11_llSA_llS8_PT12_llPT13_lli
    .private_segment_fixed_size: 0
    .sgpr_count:     54
    .sgpr_spill_count: 0
    .symbol:         _ZN12_GLOBAL__N_127rocblas_gemm_batched_kernelI19rocblas_complex_numIdELi16ELi16ELi32ELi32ELi8ELi32ELi8ELi8ELi32ELc78ELc78EKPKS2_S5_KPS2_EEvlllT_PT11_llSA_llS8_PT12_llPT13_lli.kd
    .uniform_work_group_size: 1
    .uses_dynamic_stack: false
    .vgpr_count:     196
    .vgpr_spill_count: 0
    .wavefront_size: 32
  - .args:
      - .offset:         0
        .size:           8
        .value_kind:     by_value
      - .offset:         8
        .size:           8
        .value_kind:     by_value
      - .offset:         16
        .size:           8
        .value_kind:     by_value
      - .offset:         24
        .size:           16
        .value_kind:     by_value
      - .address_space:  global
        .offset:         40
        .size:           8
        .value_kind:     global_buffer
      - .offset:         48
        .size:           8
        .value_kind:     by_value
      - .offset:         56
        .size:           8
        .value_kind:     by_value
      - .address_space:  global
        .offset:         64
        .size:           8
        .value_kind:     global_buffer
      - .offset:         72
        .size:           8
        .value_kind:     by_value
      - .offset:         80
        .size:           8
        .value_kind:     by_value
      - .offset:         88
        .size:           16
        .value_kind:     by_value
      - .address_space:  global
        .offset:         104
        .size:           8
        .value_kind:     global_buffer
      - .offset:         112
        .size:           8
        .value_kind:     by_value
      - .offset:         120
        .size:           8
        .value_kind:     by_value
      - .address_space:  global
        .offset:         128
        .size:           8
        .value_kind:     global_buffer
      - .offset:         136
        .size:           8
        .value_kind:     by_value
      - .offset:         144
        .size:           8
        .value_kind:     by_value
      - .offset:         152
        .size:           4
        .value_kind:     by_value
    .group_segment_fixed_size: 8192
    .kernarg_segment_align: 8
    .kernarg_segment_size: 156
    .language:       OpenCL C
    .language_version:
      - 2
      - 0
    .max_flat_workgroup_size: 256
    .name:           _ZN12_GLOBAL__N_127rocblas_gemm_batched_kernelI19rocblas_complex_numIdELi16ELi16ELi32ELi32ELi8ELi32ELi8ELi8ELi32ELc84ELc78EKPKS2_S5_KPS2_EEvlllT_PT11_llSA_llS8_PT12_llPT13_lli
    .private_segment_fixed_size: 0
    .sgpr_count:     54
    .sgpr_spill_count: 0
    .symbol:         _ZN12_GLOBAL__N_127rocblas_gemm_batched_kernelI19rocblas_complex_numIdELi16ELi16ELi32ELi32ELi8ELi32ELi8ELi8ELi32ELc84ELc78EKPKS2_S5_KPS2_EEvlllT_PT11_llSA_llS8_PT12_llPT13_lli.kd
    .uniform_work_group_size: 1
    .uses_dynamic_stack: false
    .vgpr_count:     196
    .vgpr_spill_count: 0
    .wavefront_size: 32
  - .args:
      - .offset:         0
        .size:           8
        .value_kind:     by_value
      - .offset:         8
        .size:           8
        .value_kind:     by_value
      - .offset:         16
        .size:           8
        .value_kind:     by_value
      - .offset:         24
        .size:           16
        .value_kind:     by_value
      - .address_space:  global
        .offset:         40
        .size:           8
        .value_kind:     global_buffer
      - .offset:         48
        .size:           8
        .value_kind:     by_value
      - .offset:         56
        .size:           8
        .value_kind:     by_value
      - .address_space:  global
        .offset:         64
        .size:           8
        .value_kind:     global_buffer
      - .offset:         72
        .size:           8
        .value_kind:     by_value
      - .offset:         80
        .size:           8
        .value_kind:     by_value
      - .offset:         88
        .size:           16
        .value_kind:     by_value
      - .address_space:  global
        .offset:         104
        .size:           8
        .value_kind:     global_buffer
      - .offset:         112
        .size:           8
        .value_kind:     by_value
      - .offset:         120
        .size:           8
        .value_kind:     by_value
      - .address_space:  global
        .offset:         128
        .size:           8
        .value_kind:     global_buffer
      - .offset:         136
        .size:           8
        .value_kind:     by_value
      - .offset:         144
        .size:           8
        .value_kind:     by_value
      - .offset:         152
        .size:           4
        .value_kind:     by_value
    .group_segment_fixed_size: 8192
    .kernarg_segment_align: 8
    .kernarg_segment_size: 156
    .language:       OpenCL C
    .language_version:
      - 2
      - 0
    .max_flat_workgroup_size: 256
    .name:           _ZN12_GLOBAL__N_127rocblas_gemm_batched_kernelI19rocblas_complex_numIdELi16ELi16ELi32ELi32ELi8ELi32ELi8ELi8ELi32ELc78ELc84EKPKS2_S5_KPS2_EEvlllT_PT11_llSA_llS8_PT12_llPT13_lli
    .private_segment_fixed_size: 0
    .sgpr_count:     54
    .sgpr_spill_count: 0
    .symbol:         _ZN12_GLOBAL__N_127rocblas_gemm_batched_kernelI19rocblas_complex_numIdELi16ELi16ELi32ELi32ELi8ELi32ELi8ELi8ELi32ELc78ELc84EKPKS2_S5_KPS2_EEvlllT_PT11_llSA_llS8_PT12_llPT13_lli.kd
    .uniform_work_group_size: 1
    .uses_dynamic_stack: false
    .vgpr_count:     196
    .vgpr_spill_count: 0
    .wavefront_size: 32
  - .args:
      - .offset:         0
        .size:           8
        .value_kind:     by_value
      - .offset:         8
        .size:           8
        .value_kind:     by_value
      - .offset:         16
        .size:           8
        .value_kind:     by_value
      - .offset:         24
        .size:           16
        .value_kind:     by_value
      - .address_space:  global
        .offset:         40
        .size:           8
        .value_kind:     global_buffer
      - .offset:         48
        .size:           8
        .value_kind:     by_value
      - .offset:         56
        .size:           8
        .value_kind:     by_value
      - .address_space:  global
        .offset:         64
        .size:           8
        .value_kind:     global_buffer
      - .offset:         72
        .size:           8
        .value_kind:     by_value
      - .offset:         80
        .size:           8
        .value_kind:     by_value
      - .offset:         88
        .size:           16
        .value_kind:     by_value
      - .address_space:  global
        .offset:         104
        .size:           8
        .value_kind:     global_buffer
      - .offset:         112
        .size:           8
        .value_kind:     by_value
      - .offset:         120
        .size:           8
        .value_kind:     by_value
      - .address_space:  global
        .offset:         128
        .size:           8
        .value_kind:     global_buffer
      - .offset:         136
        .size:           8
        .value_kind:     by_value
      - .offset:         144
        .size:           8
        .value_kind:     by_value
      - .offset:         152
        .size:           4
        .value_kind:     by_value
    .group_segment_fixed_size: 8192
    .kernarg_segment_align: 8
    .kernarg_segment_size: 156
    .language:       OpenCL C
    .language_version:
      - 2
      - 0
    .max_flat_workgroup_size: 256
    .name:           _ZN12_GLOBAL__N_127rocblas_gemm_batched_kernelI19rocblas_complex_numIdELi16ELi16ELi32ELi32ELi8ELi32ELi8ELi8ELi32ELc84ELc84EKPKS2_S5_KPS2_EEvlllT_PT11_llSA_llS8_PT12_llPT13_lli
    .private_segment_fixed_size: 0
    .sgpr_count:     54
    .sgpr_spill_count: 0
    .symbol:         _ZN12_GLOBAL__N_127rocblas_gemm_batched_kernelI19rocblas_complex_numIdELi16ELi16ELi32ELi32ELi8ELi32ELi8ELi8ELi32ELc84ELc84EKPKS2_S5_KPS2_EEvlllT_PT11_llSA_llS8_PT12_llPT13_lli.kd
    .uniform_work_group_size: 1
    .uses_dynamic_stack: false
    .vgpr_count:     196
    .vgpr_spill_count: 0
    .wavefront_size: 32
  - .args:
      - .offset:         0
        .size:           8
        .value_kind:     by_value
      - .offset:         8
        .size:           8
        .value_kind:     by_value
      - .offset:         16
        .size:           8
        .value_kind:     by_value
      - .offset:         24
        .size:           16
        .value_kind:     by_value
      - .address_space:  global
        .offset:         40
        .size:           8
        .value_kind:     global_buffer
      - .offset:         48
        .size:           8
        .value_kind:     by_value
      - .offset:         56
        .size:           8
        .value_kind:     by_value
      - .address_space:  global
        .offset:         64
        .size:           8
        .value_kind:     global_buffer
      - .offset:         72
        .size:           8
        .value_kind:     by_value
      - .offset:         80
        .size:           8
        .value_kind:     by_value
      - .offset:         88
        .size:           16
        .value_kind:     by_value
      - .address_space:  global
        .offset:         104
        .size:           8
        .value_kind:     global_buffer
      - .offset:         112
        .size:           8
        .value_kind:     by_value
      - .offset:         120
        .size:           8
        .value_kind:     by_value
      - .address_space:  global
        .offset:         128
        .size:           8
        .value_kind:     global_buffer
      - .offset:         136
        .size:           8
        .value_kind:     by_value
      - .offset:         144
        .size:           8
        .value_kind:     by_value
      - .offset:         152
        .size:           4
        .value_kind:     by_value
    .group_segment_fixed_size: 8192
    .kernarg_segment_align: 8
    .kernarg_segment_size: 156
    .language:       OpenCL C
    .language_version:
      - 2
      - 0
    .max_flat_workgroup_size: 256
    .name:           _ZN12_GLOBAL__N_127rocblas_gemm_batched_kernelI19rocblas_complex_numIdELi16ELi16ELi32ELi32ELi8ELi32ELi8ELi8ELi32ELc67ELc67EKPKS2_S5_KPS2_EEvlllT_PT11_llSA_llS8_PT12_llPT13_lli
    .private_segment_fixed_size: 0
    .sgpr_count:     54
    .sgpr_spill_count: 0
    .symbol:         _ZN12_GLOBAL__N_127rocblas_gemm_batched_kernelI19rocblas_complex_numIdELi16ELi16ELi32ELi32ELi8ELi32ELi8ELi8ELi32ELc67ELc67EKPKS2_S5_KPS2_EEvlllT_PT11_llSA_llS8_PT12_llPT13_lli.kd
    .uniform_work_group_size: 1
    .uses_dynamic_stack: false
    .vgpr_count:     196
    .vgpr_spill_count: 0
    .wavefront_size: 32
  - .args:
      - .offset:         0
        .size:           8
        .value_kind:     by_value
      - .offset:         8
        .size:           8
        .value_kind:     by_value
      - .offset:         16
        .size:           8
        .value_kind:     by_value
      - .offset:         24
        .size:           16
        .value_kind:     by_value
      - .address_space:  global
        .offset:         40
        .size:           8
        .value_kind:     global_buffer
      - .offset:         48
        .size:           8
        .value_kind:     by_value
      - .offset:         56
        .size:           8
        .value_kind:     by_value
      - .address_space:  global
        .offset:         64
        .size:           8
        .value_kind:     global_buffer
      - .offset:         72
        .size:           8
        .value_kind:     by_value
      - .offset:         80
        .size:           8
        .value_kind:     by_value
      - .offset:         88
        .size:           16
        .value_kind:     by_value
      - .address_space:  global
        .offset:         104
        .size:           8
        .value_kind:     global_buffer
      - .offset:         112
        .size:           8
        .value_kind:     by_value
      - .offset:         120
        .size:           8
        .value_kind:     by_value
      - .address_space:  global
        .offset:         128
        .size:           8
        .value_kind:     global_buffer
      - .offset:         136
        .size:           8
        .value_kind:     by_value
      - .offset:         144
        .size:           8
        .value_kind:     by_value
      - .offset:         152
        .size:           4
        .value_kind:     by_value
    .group_segment_fixed_size: 8192
    .kernarg_segment_align: 8
    .kernarg_segment_size: 156
    .language:       OpenCL C
    .language_version:
      - 2
      - 0
    .max_flat_workgroup_size: 256
    .name:           _ZN12_GLOBAL__N_127rocblas_gemm_batched_kernelI19rocblas_complex_numIdELi16ELi16ELi32ELi32ELi8ELi32ELi8ELi8ELi32ELc67ELc78EKPKS2_S5_KPS2_EEvlllT_PT11_llSA_llS8_PT12_llPT13_lli
    .private_segment_fixed_size: 0
    .sgpr_count:     54
    .sgpr_spill_count: 0
    .symbol:         _ZN12_GLOBAL__N_127rocblas_gemm_batched_kernelI19rocblas_complex_numIdELi16ELi16ELi32ELi32ELi8ELi32ELi8ELi8ELi32ELc67ELc78EKPKS2_S5_KPS2_EEvlllT_PT11_llSA_llS8_PT12_llPT13_lli.kd
    .uniform_work_group_size: 1
    .uses_dynamic_stack: false
    .vgpr_count:     196
    .vgpr_spill_count: 0
    .wavefront_size: 32
  - .args:
      - .offset:         0
        .size:           8
        .value_kind:     by_value
      - .offset:         8
        .size:           8
        .value_kind:     by_value
      - .offset:         16
        .size:           8
        .value_kind:     by_value
      - .offset:         24
        .size:           16
        .value_kind:     by_value
      - .address_space:  global
        .offset:         40
        .size:           8
        .value_kind:     global_buffer
      - .offset:         48
        .size:           8
        .value_kind:     by_value
      - .offset:         56
        .size:           8
        .value_kind:     by_value
      - .address_space:  global
        .offset:         64
        .size:           8
        .value_kind:     global_buffer
      - .offset:         72
        .size:           8
        .value_kind:     by_value
      - .offset:         80
        .size:           8
        .value_kind:     by_value
      - .offset:         88
        .size:           16
        .value_kind:     by_value
      - .address_space:  global
        .offset:         104
        .size:           8
        .value_kind:     global_buffer
      - .offset:         112
        .size:           8
        .value_kind:     by_value
      - .offset:         120
        .size:           8
        .value_kind:     by_value
      - .address_space:  global
        .offset:         128
        .size:           8
        .value_kind:     global_buffer
      - .offset:         136
        .size:           8
        .value_kind:     by_value
      - .offset:         144
        .size:           8
        .value_kind:     by_value
      - .offset:         152
        .size:           4
        .value_kind:     by_value
    .group_segment_fixed_size: 8192
    .kernarg_segment_align: 8
    .kernarg_segment_size: 156
    .language:       OpenCL C
    .language_version:
      - 2
      - 0
    .max_flat_workgroup_size: 256
    .name:           _ZN12_GLOBAL__N_127rocblas_gemm_batched_kernelI19rocblas_complex_numIdELi16ELi16ELi32ELi32ELi8ELi32ELi8ELi8ELi32ELc67ELc84EKPKS2_S5_KPS2_EEvlllT_PT11_llSA_llS8_PT12_llPT13_lli
    .private_segment_fixed_size: 0
    .sgpr_count:     54
    .sgpr_spill_count: 0
    .symbol:         _ZN12_GLOBAL__N_127rocblas_gemm_batched_kernelI19rocblas_complex_numIdELi16ELi16ELi32ELi32ELi8ELi32ELi8ELi8ELi32ELc67ELc84EKPKS2_S5_KPS2_EEvlllT_PT11_llSA_llS8_PT12_llPT13_lli.kd
    .uniform_work_group_size: 1
    .uses_dynamic_stack: false
    .vgpr_count:     196
    .vgpr_spill_count: 0
    .wavefront_size: 32
  - .args:
      - .offset:         0
        .size:           8
        .value_kind:     by_value
      - .offset:         8
        .size:           8
        .value_kind:     by_value
      - .offset:         16
        .size:           8
        .value_kind:     by_value
      - .offset:         24
        .size:           16
        .value_kind:     by_value
      - .address_space:  global
        .offset:         40
        .size:           8
        .value_kind:     global_buffer
      - .offset:         48
        .size:           8
        .value_kind:     by_value
      - .offset:         56
        .size:           8
        .value_kind:     by_value
      - .address_space:  global
        .offset:         64
        .size:           8
        .value_kind:     global_buffer
      - .offset:         72
        .size:           8
        .value_kind:     by_value
      - .offset:         80
        .size:           8
        .value_kind:     by_value
      - .offset:         88
        .size:           16
        .value_kind:     by_value
      - .address_space:  global
        .offset:         104
        .size:           8
        .value_kind:     global_buffer
      - .offset:         112
        .size:           8
        .value_kind:     by_value
      - .offset:         120
        .size:           8
        .value_kind:     by_value
      - .address_space:  global
        .offset:         128
        .size:           8
        .value_kind:     global_buffer
      - .offset:         136
        .size:           8
        .value_kind:     by_value
      - .offset:         144
        .size:           8
        .value_kind:     by_value
      - .offset:         152
        .size:           4
        .value_kind:     by_value
    .group_segment_fixed_size: 8192
    .kernarg_segment_align: 8
    .kernarg_segment_size: 156
    .language:       OpenCL C
    .language_version:
      - 2
      - 0
    .max_flat_workgroup_size: 256
    .name:           _ZN12_GLOBAL__N_127rocblas_gemm_batched_kernelI19rocblas_complex_numIdELi16ELi16ELi32ELi32ELi8ELi32ELi8ELi8ELi32ELc78ELc67EKPKS2_S5_KPS2_EEvlllT_PT11_llSA_llS8_PT12_llPT13_lli
    .private_segment_fixed_size: 0
    .sgpr_count:     54
    .sgpr_spill_count: 0
    .symbol:         _ZN12_GLOBAL__N_127rocblas_gemm_batched_kernelI19rocblas_complex_numIdELi16ELi16ELi32ELi32ELi8ELi32ELi8ELi8ELi32ELc78ELc67EKPKS2_S5_KPS2_EEvlllT_PT11_llSA_llS8_PT12_llPT13_lli.kd
    .uniform_work_group_size: 1
    .uses_dynamic_stack: false
    .vgpr_count:     196
    .vgpr_spill_count: 0
    .wavefront_size: 32
  - .args:
      - .offset:         0
        .size:           8
        .value_kind:     by_value
      - .offset:         8
        .size:           8
        .value_kind:     by_value
      - .offset:         16
        .size:           8
        .value_kind:     by_value
      - .offset:         24
        .size:           16
        .value_kind:     by_value
      - .address_space:  global
        .offset:         40
        .size:           8
        .value_kind:     global_buffer
      - .offset:         48
        .size:           8
        .value_kind:     by_value
      - .offset:         56
        .size:           8
        .value_kind:     by_value
      - .address_space:  global
        .offset:         64
        .size:           8
        .value_kind:     global_buffer
      - .offset:         72
        .size:           8
        .value_kind:     by_value
      - .offset:         80
        .size:           8
        .value_kind:     by_value
      - .offset:         88
        .size:           16
        .value_kind:     by_value
      - .address_space:  global
        .offset:         104
        .size:           8
        .value_kind:     global_buffer
      - .offset:         112
        .size:           8
        .value_kind:     by_value
      - .offset:         120
        .size:           8
        .value_kind:     by_value
      - .address_space:  global
        .offset:         128
        .size:           8
        .value_kind:     global_buffer
      - .offset:         136
        .size:           8
        .value_kind:     by_value
      - .offset:         144
        .size:           8
        .value_kind:     by_value
      - .offset:         152
        .size:           4
        .value_kind:     by_value
    .group_segment_fixed_size: 8192
    .kernarg_segment_align: 8
    .kernarg_segment_size: 156
    .language:       OpenCL C
    .language_version:
      - 2
      - 0
    .max_flat_workgroup_size: 256
    .name:           _ZN12_GLOBAL__N_127rocblas_gemm_batched_kernelI19rocblas_complex_numIdELi16ELi16ELi32ELi32ELi8ELi32ELi8ELi8ELi32ELc84ELc67EKPKS2_S5_KPS2_EEvlllT_PT11_llSA_llS8_PT12_llPT13_lli
    .private_segment_fixed_size: 0
    .sgpr_count:     54
    .sgpr_spill_count: 0
    .symbol:         _ZN12_GLOBAL__N_127rocblas_gemm_batched_kernelI19rocblas_complex_numIdELi16ELi16ELi32ELi32ELi8ELi32ELi8ELi8ELi32ELc84ELc67EKPKS2_S5_KPS2_EEvlllT_PT11_llSA_llS8_PT12_llPT13_lli.kd
    .uniform_work_group_size: 1
    .uses_dynamic_stack: false
    .vgpr_count:     196
    .vgpr_spill_count: 0
    .wavefront_size: 32
  - .args:
      - .offset:         0
        .size:           8
        .value_kind:     by_value
      - .offset:         8
        .size:           8
        .value_kind:     by_value
      - .offset:         16
        .size:           8
        .value_kind:     by_value
      - .offset:         24
        .size:           16
        .value_kind:     by_value
      - .address_space:  global
        .offset:         40
        .size:           8
        .value_kind:     global_buffer
      - .offset:         48
        .size:           8
        .value_kind:     by_value
      - .offset:         56
        .size:           8
        .value_kind:     by_value
      - .address_space:  global
        .offset:         64
        .size:           8
        .value_kind:     global_buffer
      - .offset:         72
        .size:           8
        .value_kind:     by_value
      - .offset:         80
        .size:           8
        .value_kind:     by_value
      - .offset:         88
        .size:           16
        .value_kind:     by_value
      - .address_space:  global
        .offset:         104
        .size:           8
        .value_kind:     global_buffer
      - .offset:         112
        .size:           8
        .value_kind:     by_value
      - .offset:         120
        .size:           8
        .value_kind:     by_value
      - .address_space:  global
        .offset:         128
        .size:           8
        .value_kind:     global_buffer
      - .offset:         136
        .size:           8
        .value_kind:     by_value
      - .offset:         144
        .size:           8
        .value_kind:     by_value
      - .offset:         152
        .size:           4
        .value_kind:     by_value
    .group_segment_fixed_size: 8192
    .kernarg_segment_align: 8
    .kernarg_segment_size: 156
    .language:       OpenCL C
    .language_version:
      - 2
      - 0
    .max_flat_workgroup_size: 256
    .name:           _ZN12_GLOBAL__N_135rocblas_gemm_batched_general_kernelI19rocblas_complex_numIdELi16ELi16ELi32ELi32ELi8ELi32ELi8ELi8ELi32ELc78ELc78EKPKS2_S5_KPS2_EEvlllT_PT11_llSA_llS8_PT12_llPT13_lli
    .private_segment_fixed_size: 0
    .sgpr_count:     54
    .sgpr_spill_count: 0
    .symbol:         _ZN12_GLOBAL__N_135rocblas_gemm_batched_general_kernelI19rocblas_complex_numIdELi16ELi16ELi32ELi32ELi8ELi32ELi8ELi8ELi32ELc78ELc78EKPKS2_S5_KPS2_EEvlllT_PT11_llSA_llS8_PT12_llPT13_lli.kd
    .uniform_work_group_size: 1
    .uses_dynamic_stack: false
    .vgpr_count:     134
    .vgpr_spill_count: 0
    .wavefront_size: 32
  - .args:
      - .offset:         0
        .size:           8
        .value_kind:     by_value
      - .offset:         8
        .size:           8
        .value_kind:     by_value
      - .offset:         16
        .size:           8
        .value_kind:     by_value
      - .offset:         24
        .size:           16
        .value_kind:     by_value
      - .address_space:  global
        .offset:         40
        .size:           8
        .value_kind:     global_buffer
      - .offset:         48
        .size:           8
        .value_kind:     by_value
      - .offset:         56
        .size:           8
        .value_kind:     by_value
      - .address_space:  global
        .offset:         64
        .size:           8
        .value_kind:     global_buffer
      - .offset:         72
        .size:           8
        .value_kind:     by_value
      - .offset:         80
        .size:           8
        .value_kind:     by_value
      - .offset:         88
        .size:           16
        .value_kind:     by_value
      - .address_space:  global
        .offset:         104
        .size:           8
        .value_kind:     global_buffer
      - .offset:         112
        .size:           8
        .value_kind:     by_value
      - .offset:         120
        .size:           8
        .value_kind:     by_value
      - .address_space:  global
        .offset:         128
        .size:           8
        .value_kind:     global_buffer
      - .offset:         136
        .size:           8
        .value_kind:     by_value
      - .offset:         144
        .size:           8
        .value_kind:     by_value
      - .offset:         152
        .size:           4
        .value_kind:     by_value
    .group_segment_fixed_size: 8192
    .kernarg_segment_align: 8
    .kernarg_segment_size: 156
    .language:       OpenCL C
    .language_version:
      - 2
      - 0
    .max_flat_workgroup_size: 256
    .name:           _ZN12_GLOBAL__N_135rocblas_gemm_batched_general_kernelI19rocblas_complex_numIdELi16ELi16ELi32ELi32ELi8ELi32ELi8ELi8ELi32ELc84ELc78EKPKS2_S5_KPS2_EEvlllT_PT11_llSA_llS8_PT12_llPT13_lli
    .private_segment_fixed_size: 0
    .sgpr_count:     54
    .sgpr_spill_count: 0
    .symbol:         _ZN12_GLOBAL__N_135rocblas_gemm_batched_general_kernelI19rocblas_complex_numIdELi16ELi16ELi32ELi32ELi8ELi32ELi8ELi8ELi32ELc84ELc78EKPKS2_S5_KPS2_EEvlllT_PT11_llSA_llS8_PT12_llPT13_lli.kd
    .uniform_work_group_size: 1
    .uses_dynamic_stack: false
    .vgpr_count:     134
    .vgpr_spill_count: 0
    .wavefront_size: 32
  - .args:
      - .offset:         0
        .size:           8
        .value_kind:     by_value
      - .offset:         8
        .size:           8
        .value_kind:     by_value
      - .offset:         16
        .size:           8
        .value_kind:     by_value
      - .offset:         24
        .size:           16
        .value_kind:     by_value
      - .address_space:  global
        .offset:         40
        .size:           8
        .value_kind:     global_buffer
      - .offset:         48
        .size:           8
        .value_kind:     by_value
      - .offset:         56
        .size:           8
        .value_kind:     by_value
      - .address_space:  global
        .offset:         64
        .size:           8
        .value_kind:     global_buffer
      - .offset:         72
        .size:           8
        .value_kind:     by_value
      - .offset:         80
        .size:           8
        .value_kind:     by_value
      - .offset:         88
        .size:           16
        .value_kind:     by_value
      - .address_space:  global
        .offset:         104
        .size:           8
        .value_kind:     global_buffer
      - .offset:         112
        .size:           8
        .value_kind:     by_value
      - .offset:         120
        .size:           8
        .value_kind:     by_value
      - .address_space:  global
        .offset:         128
        .size:           8
        .value_kind:     global_buffer
      - .offset:         136
        .size:           8
        .value_kind:     by_value
      - .offset:         144
        .size:           8
        .value_kind:     by_value
      - .offset:         152
        .size:           4
        .value_kind:     by_value
    .group_segment_fixed_size: 8192
    .kernarg_segment_align: 8
    .kernarg_segment_size: 156
    .language:       OpenCL C
    .language_version:
      - 2
      - 0
    .max_flat_workgroup_size: 256
    .name:           _ZN12_GLOBAL__N_135rocblas_gemm_batched_general_kernelI19rocblas_complex_numIdELi16ELi16ELi32ELi32ELi8ELi32ELi8ELi8ELi32ELc78ELc84EKPKS2_S5_KPS2_EEvlllT_PT11_llSA_llS8_PT12_llPT13_lli
    .private_segment_fixed_size: 0
    .sgpr_count:     56
    .sgpr_spill_count: 0
    .symbol:         _ZN12_GLOBAL__N_135rocblas_gemm_batched_general_kernelI19rocblas_complex_numIdELi16ELi16ELi32ELi32ELi8ELi32ELi8ELi8ELi32ELc78ELc84EKPKS2_S5_KPS2_EEvlllT_PT11_llSA_llS8_PT12_llPT13_lli.kd
    .uniform_work_group_size: 1
    .uses_dynamic_stack: false
    .vgpr_count:     134
    .vgpr_spill_count: 0
    .wavefront_size: 32
  - .args:
      - .offset:         0
        .size:           8
        .value_kind:     by_value
      - .offset:         8
        .size:           8
        .value_kind:     by_value
      - .offset:         16
        .size:           8
        .value_kind:     by_value
      - .offset:         24
        .size:           16
        .value_kind:     by_value
      - .address_space:  global
        .offset:         40
        .size:           8
        .value_kind:     global_buffer
      - .offset:         48
        .size:           8
        .value_kind:     by_value
      - .offset:         56
        .size:           8
        .value_kind:     by_value
      - .address_space:  global
        .offset:         64
        .size:           8
        .value_kind:     global_buffer
      - .offset:         72
        .size:           8
        .value_kind:     by_value
      - .offset:         80
        .size:           8
        .value_kind:     by_value
      - .offset:         88
        .size:           16
        .value_kind:     by_value
      - .address_space:  global
        .offset:         104
        .size:           8
        .value_kind:     global_buffer
      - .offset:         112
        .size:           8
        .value_kind:     by_value
      - .offset:         120
        .size:           8
        .value_kind:     by_value
      - .address_space:  global
        .offset:         128
        .size:           8
        .value_kind:     global_buffer
      - .offset:         136
        .size:           8
        .value_kind:     by_value
      - .offset:         144
        .size:           8
        .value_kind:     by_value
      - .offset:         152
        .size:           4
        .value_kind:     by_value
    .group_segment_fixed_size: 8192
    .kernarg_segment_align: 8
    .kernarg_segment_size: 156
    .language:       OpenCL C
    .language_version:
      - 2
      - 0
    .max_flat_workgroup_size: 256
    .name:           _ZN12_GLOBAL__N_135rocblas_gemm_batched_general_kernelI19rocblas_complex_numIdELi16ELi16ELi32ELi32ELi8ELi32ELi8ELi8ELi32ELc84ELc84EKPKS2_S5_KPS2_EEvlllT_PT11_llSA_llS8_PT12_llPT13_lli
    .private_segment_fixed_size: 0
    .sgpr_count:     54
    .sgpr_spill_count: 0
    .symbol:         _ZN12_GLOBAL__N_135rocblas_gemm_batched_general_kernelI19rocblas_complex_numIdELi16ELi16ELi32ELi32ELi8ELi32ELi8ELi8ELi32ELc84ELc84EKPKS2_S5_KPS2_EEvlllT_PT11_llSA_llS8_PT12_llPT13_lli.kd
    .uniform_work_group_size: 1
    .uses_dynamic_stack: false
    .vgpr_count:     134
    .vgpr_spill_count: 0
    .wavefront_size: 32
  - .args:
      - .offset:         0
        .size:           8
        .value_kind:     by_value
      - .offset:         8
        .size:           8
        .value_kind:     by_value
      - .offset:         16
        .size:           8
        .value_kind:     by_value
      - .offset:         24
        .size:           16
        .value_kind:     by_value
      - .address_space:  global
        .offset:         40
        .size:           8
        .value_kind:     global_buffer
      - .offset:         48
        .size:           8
        .value_kind:     by_value
      - .offset:         56
        .size:           8
        .value_kind:     by_value
      - .address_space:  global
        .offset:         64
        .size:           8
        .value_kind:     global_buffer
      - .offset:         72
        .size:           8
        .value_kind:     by_value
      - .offset:         80
        .size:           8
        .value_kind:     by_value
      - .offset:         88
        .size:           16
        .value_kind:     by_value
      - .address_space:  global
        .offset:         104
        .size:           8
        .value_kind:     global_buffer
      - .offset:         112
        .size:           8
        .value_kind:     by_value
      - .offset:         120
        .size:           8
        .value_kind:     by_value
      - .address_space:  global
        .offset:         128
        .size:           8
        .value_kind:     global_buffer
      - .offset:         136
        .size:           8
        .value_kind:     by_value
      - .offset:         144
        .size:           8
        .value_kind:     by_value
      - .offset:         152
        .size:           4
        .value_kind:     by_value
    .group_segment_fixed_size: 8192
    .kernarg_segment_align: 8
    .kernarg_segment_size: 156
    .language:       OpenCL C
    .language_version:
      - 2
      - 0
    .max_flat_workgroup_size: 256
    .name:           _ZN12_GLOBAL__N_135rocblas_gemm_batched_general_kernelI19rocblas_complex_numIdELi16ELi16ELi32ELi32ELi8ELi32ELi8ELi8ELi32ELc67ELc67EKPKS2_S5_KPS2_EEvlllT_PT11_llSA_llS8_PT12_llPT13_lli
    .private_segment_fixed_size: 0
    .sgpr_count:     54
    .sgpr_spill_count: 0
    .symbol:         _ZN12_GLOBAL__N_135rocblas_gemm_batched_general_kernelI19rocblas_complex_numIdELi16ELi16ELi32ELi32ELi8ELi32ELi8ELi8ELi32ELc67ELc67EKPKS2_S5_KPS2_EEvlllT_PT11_llSA_llS8_PT12_llPT13_lli.kd
    .uniform_work_group_size: 1
    .uses_dynamic_stack: false
    .vgpr_count:     132
    .vgpr_spill_count: 0
    .wavefront_size: 32
  - .args:
      - .offset:         0
        .size:           8
        .value_kind:     by_value
      - .offset:         8
        .size:           8
        .value_kind:     by_value
      - .offset:         16
        .size:           8
        .value_kind:     by_value
      - .offset:         24
        .size:           16
        .value_kind:     by_value
      - .address_space:  global
        .offset:         40
        .size:           8
        .value_kind:     global_buffer
      - .offset:         48
        .size:           8
        .value_kind:     by_value
      - .offset:         56
        .size:           8
        .value_kind:     by_value
      - .address_space:  global
        .offset:         64
        .size:           8
        .value_kind:     global_buffer
      - .offset:         72
        .size:           8
        .value_kind:     by_value
      - .offset:         80
        .size:           8
        .value_kind:     by_value
      - .offset:         88
        .size:           16
        .value_kind:     by_value
      - .address_space:  global
        .offset:         104
        .size:           8
        .value_kind:     global_buffer
      - .offset:         112
        .size:           8
        .value_kind:     by_value
      - .offset:         120
        .size:           8
        .value_kind:     by_value
      - .address_space:  global
        .offset:         128
        .size:           8
        .value_kind:     global_buffer
      - .offset:         136
        .size:           8
        .value_kind:     by_value
      - .offset:         144
        .size:           8
        .value_kind:     by_value
      - .offset:         152
        .size:           4
        .value_kind:     by_value
    .group_segment_fixed_size: 8192
    .kernarg_segment_align: 8
    .kernarg_segment_size: 156
    .language:       OpenCL C
    .language_version:
      - 2
      - 0
    .max_flat_workgroup_size: 256
    .name:           _ZN12_GLOBAL__N_135rocblas_gemm_batched_general_kernelI19rocblas_complex_numIdELi16ELi16ELi32ELi32ELi8ELi32ELi8ELi8ELi32ELc67ELc78EKPKS2_S5_KPS2_EEvlllT_PT11_llSA_llS8_PT12_llPT13_lli
    .private_segment_fixed_size: 0
    .sgpr_count:     54
    .sgpr_spill_count: 0
    .symbol:         _ZN12_GLOBAL__N_135rocblas_gemm_batched_general_kernelI19rocblas_complex_numIdELi16ELi16ELi32ELi32ELi8ELi32ELi8ELi8ELi32ELc67ELc78EKPKS2_S5_KPS2_EEvlllT_PT11_llSA_llS8_PT12_llPT13_lli.kd
    .uniform_work_group_size: 1
    .uses_dynamic_stack: false
    .vgpr_count:     134
    .vgpr_spill_count: 0
    .wavefront_size: 32
  - .args:
      - .offset:         0
        .size:           8
        .value_kind:     by_value
      - .offset:         8
        .size:           8
        .value_kind:     by_value
      - .offset:         16
        .size:           8
        .value_kind:     by_value
      - .offset:         24
        .size:           16
        .value_kind:     by_value
      - .address_space:  global
        .offset:         40
        .size:           8
        .value_kind:     global_buffer
      - .offset:         48
        .size:           8
        .value_kind:     by_value
      - .offset:         56
        .size:           8
        .value_kind:     by_value
      - .address_space:  global
        .offset:         64
        .size:           8
        .value_kind:     global_buffer
      - .offset:         72
        .size:           8
        .value_kind:     by_value
      - .offset:         80
        .size:           8
        .value_kind:     by_value
      - .offset:         88
        .size:           16
        .value_kind:     by_value
      - .address_space:  global
        .offset:         104
        .size:           8
        .value_kind:     global_buffer
      - .offset:         112
        .size:           8
        .value_kind:     by_value
      - .offset:         120
        .size:           8
        .value_kind:     by_value
      - .address_space:  global
        .offset:         128
        .size:           8
        .value_kind:     global_buffer
      - .offset:         136
        .size:           8
        .value_kind:     by_value
      - .offset:         144
        .size:           8
        .value_kind:     by_value
      - .offset:         152
        .size:           4
        .value_kind:     by_value
    .group_segment_fixed_size: 8192
    .kernarg_segment_align: 8
    .kernarg_segment_size: 156
    .language:       OpenCL C
    .language_version:
      - 2
      - 0
    .max_flat_workgroup_size: 256
    .name:           _ZN12_GLOBAL__N_135rocblas_gemm_batched_general_kernelI19rocblas_complex_numIdELi16ELi16ELi32ELi32ELi8ELi32ELi8ELi8ELi32ELc67ELc84EKPKS2_S5_KPS2_EEvlllT_PT11_llSA_llS8_PT12_llPT13_lli
    .private_segment_fixed_size: 0
    .sgpr_count:     54
    .sgpr_spill_count: 0
    .symbol:         _ZN12_GLOBAL__N_135rocblas_gemm_batched_general_kernelI19rocblas_complex_numIdELi16ELi16ELi32ELi32ELi8ELi32ELi8ELi8ELi32ELc67ELc84EKPKS2_S5_KPS2_EEvlllT_PT11_llSA_llS8_PT12_llPT13_lli.kd
    .uniform_work_group_size: 1
    .uses_dynamic_stack: false
    .vgpr_count:     134
    .vgpr_spill_count: 0
    .wavefront_size: 32
  - .args:
      - .offset:         0
        .size:           8
        .value_kind:     by_value
      - .offset:         8
        .size:           8
        .value_kind:     by_value
      - .offset:         16
        .size:           8
        .value_kind:     by_value
      - .offset:         24
        .size:           16
        .value_kind:     by_value
      - .address_space:  global
        .offset:         40
        .size:           8
        .value_kind:     global_buffer
      - .offset:         48
        .size:           8
        .value_kind:     by_value
      - .offset:         56
        .size:           8
        .value_kind:     by_value
      - .address_space:  global
        .offset:         64
        .size:           8
        .value_kind:     global_buffer
      - .offset:         72
        .size:           8
        .value_kind:     by_value
      - .offset:         80
        .size:           8
        .value_kind:     by_value
      - .offset:         88
        .size:           16
        .value_kind:     by_value
      - .address_space:  global
        .offset:         104
        .size:           8
        .value_kind:     global_buffer
      - .offset:         112
        .size:           8
        .value_kind:     by_value
      - .offset:         120
        .size:           8
        .value_kind:     by_value
      - .address_space:  global
        .offset:         128
        .size:           8
        .value_kind:     global_buffer
      - .offset:         136
        .size:           8
        .value_kind:     by_value
      - .offset:         144
        .size:           8
        .value_kind:     by_value
      - .offset:         152
        .size:           4
        .value_kind:     by_value
    .group_segment_fixed_size: 8192
    .kernarg_segment_align: 8
    .kernarg_segment_size: 156
    .language:       OpenCL C
    .language_version:
      - 2
      - 0
    .max_flat_workgroup_size: 256
    .name:           _ZN12_GLOBAL__N_135rocblas_gemm_batched_general_kernelI19rocblas_complex_numIdELi16ELi16ELi32ELi32ELi8ELi32ELi8ELi8ELi32ELc78ELc67EKPKS2_S5_KPS2_EEvlllT_PT11_llSA_llS8_PT12_llPT13_lli
    .private_segment_fixed_size: 0
    .sgpr_count:     54
    .sgpr_spill_count: 0
    .symbol:         _ZN12_GLOBAL__N_135rocblas_gemm_batched_general_kernelI19rocblas_complex_numIdELi16ELi16ELi32ELi32ELi8ELi32ELi8ELi8ELi32ELc78ELc67EKPKS2_S5_KPS2_EEvlllT_PT11_llSA_llS8_PT12_llPT13_lli.kd
    .uniform_work_group_size: 1
    .uses_dynamic_stack: false
    .vgpr_count:     134
    .vgpr_spill_count: 0
    .wavefront_size: 32
  - .args:
      - .offset:         0
        .size:           8
        .value_kind:     by_value
      - .offset:         8
        .size:           8
        .value_kind:     by_value
      - .offset:         16
        .size:           8
        .value_kind:     by_value
      - .offset:         24
        .size:           16
        .value_kind:     by_value
      - .address_space:  global
        .offset:         40
        .size:           8
        .value_kind:     global_buffer
      - .offset:         48
        .size:           8
        .value_kind:     by_value
      - .offset:         56
        .size:           8
        .value_kind:     by_value
      - .address_space:  global
        .offset:         64
        .size:           8
        .value_kind:     global_buffer
      - .offset:         72
        .size:           8
        .value_kind:     by_value
      - .offset:         80
        .size:           8
        .value_kind:     by_value
      - .offset:         88
        .size:           16
        .value_kind:     by_value
      - .address_space:  global
        .offset:         104
        .size:           8
        .value_kind:     global_buffer
      - .offset:         112
        .size:           8
        .value_kind:     by_value
      - .offset:         120
        .size:           8
        .value_kind:     by_value
      - .address_space:  global
        .offset:         128
        .size:           8
        .value_kind:     global_buffer
      - .offset:         136
        .size:           8
        .value_kind:     by_value
      - .offset:         144
        .size:           8
        .value_kind:     by_value
      - .offset:         152
        .size:           4
        .value_kind:     by_value
    .group_segment_fixed_size: 8192
    .kernarg_segment_align: 8
    .kernarg_segment_size: 156
    .language:       OpenCL C
    .language_version:
      - 2
      - 0
    .max_flat_workgroup_size: 256
    .name:           _ZN12_GLOBAL__N_135rocblas_gemm_batched_general_kernelI19rocblas_complex_numIdELi16ELi16ELi32ELi32ELi8ELi32ELi8ELi8ELi32ELc84ELc67EKPKS2_S5_KPS2_EEvlllT_PT11_llSA_llS8_PT12_llPT13_lli
    .private_segment_fixed_size: 0
    .sgpr_count:     54
    .sgpr_spill_count: 0
    .symbol:         _ZN12_GLOBAL__N_135rocblas_gemm_batched_general_kernelI19rocblas_complex_numIdELi16ELi16ELi32ELi32ELi8ELi32ELi8ELi8ELi32ELc84ELc67EKPKS2_S5_KPS2_EEvlllT_PT11_llSA_llS8_PT12_llPT13_lli.kd
    .uniform_work_group_size: 1
    .uses_dynamic_stack: false
    .vgpr_count:     134
    .vgpr_spill_count: 0
    .wavefront_size: 32
  - .args:
      - .offset:         0
        .size:           4
        .value_kind:     by_value
      - .offset:         4
        .size:           4
        .value_kind:     by_value
      - .offset:         8
        .size:           8
        .value_kind:     by_value
      - .address_space:  global
        .offset:         16
        .size:           8
        .value_kind:     global_buffer
      - .offset:         24
        .size:           8
        .value_kind:     by_value
      - .offset:         32
        .size:           8
        .value_kind:     by_value
      - .offset:         40
        .size:           8
        .value_kind:     by_value
      - .address_space:  global
        .offset:         48
        .size:           8
        .value_kind:     global_buffer
      - .offset:         56
        .size:           8
        .value_kind:     by_value
      - .offset:         64
        .size:           8
        .value_kind:     by_value
      - .offset:         72
        .size:           8
        .value_kind:     by_value
      - .offset:         80
        .size:           4
        .value_kind:     by_value
    .group_segment_fixed_size: 0
    .kernarg_segment_align: 8
    .kernarg_segment_size: 84
    .language:       OpenCL C
    .language_version:
      - 2
      - 0
    .max_flat_workgroup_size: 1024
    .name:           _ZN12_GLOBAL__N_120gemm_ex_scale_kernelILi32ELi32EdPKdPdEEviiT1_T2_lllT3_llli
    .private_segment_fixed_size: 0
    .sgpr_count:     30
    .sgpr_spill_count: 0
    .symbol:         _ZN12_GLOBAL__N_120gemm_ex_scale_kernelILi32ELi32EdPKdPdEEviiT1_T2_lllT3_llli.kd
    .uniform_work_group_size: 1
    .uses_dynamic_stack: false
    .vgpr_count:     10
    .vgpr_spill_count: 0
    .wavefront_size: 32
  - .args:
      - .offset:         0
        .size:           8
        .value_kind:     by_value
      - .offset:         8
        .size:           8
        .value_kind:     by_value
      - .offset:         16
        .size:           8
        .value_kind:     by_value
      - .offset:         24
        .size:           8
        .value_kind:     by_value
      - .address_space:  global
        .offset:         32
        .size:           8
        .value_kind:     global_buffer
      - .offset:         40
        .size:           8
        .value_kind:     by_value
      - .offset:         48
        .size:           8
        .value_kind:     by_value
      - .address_space:  global
        .offset:         56
        .size:           8
        .value_kind:     global_buffer
      - .offset:         64
        .size:           8
        .value_kind:     by_value
      - .offset:         72
        .size:           8
        .value_kind:     by_value
      - .offset:         80
        .size:           8
        .value_kind:     by_value
      - .address_space:  global
        .offset:         88
        .size:           8
        .value_kind:     global_buffer
      - .offset:         96
        .size:           8
        .value_kind:     by_value
      - .offset:         104
        .size:           8
        .value_kind:     by_value
      - .address_space:  global
        .offset:         112
        .size:           8
        .value_kind:     global_buffer
      - .offset:         120
        .size:           8
        .value_kind:     by_value
      - .offset:         128
        .size:           8
        .value_kind:     by_value
      - .offset:         136
        .size:           4
        .value_kind:     by_value
    .group_segment_fixed_size: 4096
    .kernarg_segment_align: 8
    .kernarg_segment_size: 140
    .language:       OpenCL C
    .language_version:
      - 2
      - 0
    .max_flat_workgroup_size: 256
    .name:           _ZN12_GLOBAL__N_127rocblas_gemm_batched_kernelIdLi16ELi16ELi64ELi64ELi4ELi64ELi4ELi4ELi64ELc78ELc78EKdS1_dEEvlllT_PT11_llS4_llS2_PT12_llPT13_lli
    .private_segment_fixed_size: 0
    .sgpr_count:     46
    .sgpr_spill_count: 0
    .symbol:         _ZN12_GLOBAL__N_127rocblas_gemm_batched_kernelIdLi16ELi16ELi64ELi64ELi4ELi64ELi4ELi4ELi64ELc78ELc78EKdS1_dEEvlllT_PT11_llS4_llS2_PT12_llPT13_lli.kd
    .uniform_work_group_size: 1
    .uses_dynamic_stack: false
    .vgpr_count:     94
    .vgpr_spill_count: 0
    .wavefront_size: 32
  - .args:
      - .offset:         0
        .size:           8
        .value_kind:     by_value
      - .offset:         8
        .size:           8
        .value_kind:     by_value
      - .offset:         16
        .size:           8
        .value_kind:     by_value
      - .offset:         24
        .size:           8
        .value_kind:     by_value
      - .address_space:  global
        .offset:         32
        .size:           8
        .value_kind:     global_buffer
      - .offset:         40
        .size:           8
        .value_kind:     by_value
      - .offset:         48
        .size:           8
        .value_kind:     by_value
      - .address_space:  global
        .offset:         56
        .size:           8
        .value_kind:     global_buffer
      - .offset:         64
        .size:           8
        .value_kind:     by_value
      - .offset:         72
        .size:           8
        .value_kind:     by_value
      - .offset:         80
        .size:           8
        .value_kind:     by_value
      - .address_space:  global
        .offset:         88
        .size:           8
        .value_kind:     global_buffer
      - .offset:         96
        .size:           8
        .value_kind:     by_value
      - .offset:         104
        .size:           8
        .value_kind:     by_value
      - .address_space:  global
        .offset:         112
        .size:           8
        .value_kind:     global_buffer
      - .offset:         120
        .size:           8
        .value_kind:     by_value
      - .offset:         128
        .size:           8
        .value_kind:     by_value
      - .offset:         136
        .size:           4
        .value_kind:     by_value
    .group_segment_fixed_size: 4096
    .kernarg_segment_align: 8
    .kernarg_segment_size: 140
    .language:       OpenCL C
    .language_version:
      - 2
      - 0
    .max_flat_workgroup_size: 256
    .name:           _ZN12_GLOBAL__N_127rocblas_gemm_batched_kernelIdLi16ELi16ELi64ELi64ELi4ELi64ELi4ELi4ELi64ELc84ELc78EKdS1_dEEvlllT_PT11_llS4_llS2_PT12_llPT13_lli
    .private_segment_fixed_size: 0
    .sgpr_count:     46
    .sgpr_spill_count: 0
    .symbol:         _ZN12_GLOBAL__N_127rocblas_gemm_batched_kernelIdLi16ELi16ELi64ELi64ELi4ELi64ELi4ELi4ELi64ELc84ELc78EKdS1_dEEvlllT_PT11_llS4_llS2_PT12_llPT13_lli.kd
    .uniform_work_group_size: 1
    .uses_dynamic_stack: false
    .vgpr_count:     94
    .vgpr_spill_count: 0
    .wavefront_size: 32
  - .args:
      - .offset:         0
        .size:           8
        .value_kind:     by_value
      - .offset:         8
        .size:           8
        .value_kind:     by_value
      - .offset:         16
        .size:           8
        .value_kind:     by_value
      - .offset:         24
        .size:           8
        .value_kind:     by_value
      - .address_space:  global
        .offset:         32
        .size:           8
        .value_kind:     global_buffer
      - .offset:         40
        .size:           8
        .value_kind:     by_value
      - .offset:         48
        .size:           8
        .value_kind:     by_value
      - .address_space:  global
        .offset:         56
        .size:           8
        .value_kind:     global_buffer
      - .offset:         64
        .size:           8
        .value_kind:     by_value
      - .offset:         72
        .size:           8
        .value_kind:     by_value
      - .offset:         80
        .size:           8
        .value_kind:     by_value
      - .address_space:  global
        .offset:         88
        .size:           8
        .value_kind:     global_buffer
      - .offset:         96
        .size:           8
        .value_kind:     by_value
      - .offset:         104
        .size:           8
        .value_kind:     by_value
      - .address_space:  global
        .offset:         112
        .size:           8
        .value_kind:     global_buffer
      - .offset:         120
        .size:           8
        .value_kind:     by_value
      - .offset:         128
        .size:           8
        .value_kind:     by_value
      - .offset:         136
        .size:           4
        .value_kind:     by_value
    .group_segment_fixed_size: 4096
    .kernarg_segment_align: 8
    .kernarg_segment_size: 140
    .language:       OpenCL C
    .language_version:
      - 2
      - 0
    .max_flat_workgroup_size: 256
    .name:           _ZN12_GLOBAL__N_127rocblas_gemm_batched_kernelIdLi16ELi16ELi64ELi64ELi4ELi64ELi4ELi4ELi64ELc78ELc84EKdS1_dEEvlllT_PT11_llS4_llS2_PT12_llPT13_lli
    .private_segment_fixed_size: 0
    .sgpr_count:     46
    .sgpr_spill_count: 0
    .symbol:         _ZN12_GLOBAL__N_127rocblas_gemm_batched_kernelIdLi16ELi16ELi64ELi64ELi4ELi64ELi4ELi4ELi64ELc78ELc84EKdS1_dEEvlllT_PT11_llS4_llS2_PT12_llPT13_lli.kd
    .uniform_work_group_size: 1
    .uses_dynamic_stack: false
    .vgpr_count:     94
    .vgpr_spill_count: 0
    .wavefront_size: 32
  - .args:
      - .offset:         0
        .size:           8
        .value_kind:     by_value
      - .offset:         8
        .size:           8
        .value_kind:     by_value
      - .offset:         16
        .size:           8
        .value_kind:     by_value
      - .offset:         24
        .size:           8
        .value_kind:     by_value
      - .address_space:  global
        .offset:         32
        .size:           8
        .value_kind:     global_buffer
      - .offset:         40
        .size:           8
        .value_kind:     by_value
      - .offset:         48
        .size:           8
        .value_kind:     by_value
      - .address_space:  global
        .offset:         56
        .size:           8
        .value_kind:     global_buffer
      - .offset:         64
        .size:           8
        .value_kind:     by_value
      - .offset:         72
        .size:           8
        .value_kind:     by_value
      - .offset:         80
        .size:           8
        .value_kind:     by_value
      - .address_space:  global
        .offset:         88
        .size:           8
        .value_kind:     global_buffer
      - .offset:         96
        .size:           8
        .value_kind:     by_value
      - .offset:         104
        .size:           8
        .value_kind:     by_value
      - .address_space:  global
        .offset:         112
        .size:           8
        .value_kind:     global_buffer
      - .offset:         120
        .size:           8
        .value_kind:     by_value
      - .offset:         128
        .size:           8
        .value_kind:     by_value
      - .offset:         136
        .size:           4
        .value_kind:     by_value
    .group_segment_fixed_size: 4096
    .kernarg_segment_align: 8
    .kernarg_segment_size: 140
    .language:       OpenCL C
    .language_version:
      - 2
      - 0
    .max_flat_workgroup_size: 256
    .name:           _ZN12_GLOBAL__N_127rocblas_gemm_batched_kernelIdLi16ELi16ELi64ELi64ELi4ELi64ELi4ELi4ELi64ELc84ELc84EKdS1_dEEvlllT_PT11_llS4_llS2_PT12_llPT13_lli
    .private_segment_fixed_size: 0
    .sgpr_count:     46
    .sgpr_spill_count: 0
    .symbol:         _ZN12_GLOBAL__N_127rocblas_gemm_batched_kernelIdLi16ELi16ELi64ELi64ELi4ELi64ELi4ELi4ELi64ELc84ELc84EKdS1_dEEvlllT_PT11_llS4_llS2_PT12_llPT13_lli.kd
    .uniform_work_group_size: 1
    .uses_dynamic_stack: false
    .vgpr_count:     94
    .vgpr_spill_count: 0
    .wavefront_size: 32
  - .args:
      - .offset:         0
        .size:           8
        .value_kind:     by_value
      - .offset:         8
        .size:           8
        .value_kind:     by_value
      - .offset:         16
        .size:           8
        .value_kind:     by_value
      - .offset:         24
        .size:           8
        .value_kind:     by_value
      - .address_space:  global
        .offset:         32
        .size:           8
        .value_kind:     global_buffer
      - .offset:         40
        .size:           8
        .value_kind:     by_value
      - .offset:         48
        .size:           8
        .value_kind:     by_value
      - .address_space:  global
        .offset:         56
        .size:           8
        .value_kind:     global_buffer
      - .offset:         64
        .size:           8
        .value_kind:     by_value
      - .offset:         72
        .size:           8
        .value_kind:     by_value
      - .offset:         80
        .size:           8
        .value_kind:     by_value
      - .address_space:  global
        .offset:         88
        .size:           8
        .value_kind:     global_buffer
      - .offset:         96
        .size:           8
        .value_kind:     by_value
      - .offset:         104
        .size:           8
        .value_kind:     by_value
      - .address_space:  global
        .offset:         112
        .size:           8
        .value_kind:     global_buffer
      - .offset:         120
        .size:           8
        .value_kind:     by_value
      - .offset:         128
        .size:           8
        .value_kind:     by_value
      - .offset:         136
        .size:           4
        .value_kind:     by_value
    .group_segment_fixed_size: 4096
    .kernarg_segment_align: 8
    .kernarg_segment_size: 140
    .language:       OpenCL C
    .language_version:
      - 2
      - 0
    .max_flat_workgroup_size: 256
    .name:           _ZN12_GLOBAL__N_127rocblas_gemm_batched_kernelIdLi16ELi16ELi64ELi64ELi4ELi64ELi4ELi4ELi64ELc67ELc67EKdS1_dEEvlllT_PT11_llS4_llS2_PT12_llPT13_lli
    .private_segment_fixed_size: 0
    .sgpr_count:     46
    .sgpr_spill_count: 0
    .symbol:         _ZN12_GLOBAL__N_127rocblas_gemm_batched_kernelIdLi16ELi16ELi64ELi64ELi4ELi64ELi4ELi4ELi64ELc67ELc67EKdS1_dEEvlllT_PT11_llS4_llS2_PT12_llPT13_lli.kd
    .uniform_work_group_size: 1
    .uses_dynamic_stack: false
    .vgpr_count:     94
    .vgpr_spill_count: 0
    .wavefront_size: 32
  - .args:
      - .offset:         0
        .size:           8
        .value_kind:     by_value
      - .offset:         8
        .size:           8
        .value_kind:     by_value
      - .offset:         16
        .size:           8
        .value_kind:     by_value
      - .offset:         24
        .size:           8
        .value_kind:     by_value
      - .address_space:  global
        .offset:         32
        .size:           8
        .value_kind:     global_buffer
      - .offset:         40
        .size:           8
        .value_kind:     by_value
      - .offset:         48
        .size:           8
        .value_kind:     by_value
      - .address_space:  global
        .offset:         56
        .size:           8
        .value_kind:     global_buffer
      - .offset:         64
        .size:           8
        .value_kind:     by_value
      - .offset:         72
        .size:           8
        .value_kind:     by_value
      - .offset:         80
        .size:           8
        .value_kind:     by_value
      - .address_space:  global
        .offset:         88
        .size:           8
        .value_kind:     global_buffer
      - .offset:         96
        .size:           8
        .value_kind:     by_value
      - .offset:         104
        .size:           8
        .value_kind:     by_value
      - .address_space:  global
        .offset:         112
        .size:           8
        .value_kind:     global_buffer
      - .offset:         120
        .size:           8
        .value_kind:     by_value
      - .offset:         128
        .size:           8
        .value_kind:     by_value
      - .offset:         136
        .size:           4
        .value_kind:     by_value
    .group_segment_fixed_size: 4096
    .kernarg_segment_align: 8
    .kernarg_segment_size: 140
    .language:       OpenCL C
    .language_version:
      - 2
      - 0
    .max_flat_workgroup_size: 256
    .name:           _ZN12_GLOBAL__N_127rocblas_gemm_batched_kernelIdLi16ELi16ELi64ELi64ELi4ELi64ELi4ELi4ELi64ELc67ELc78EKdS1_dEEvlllT_PT11_llS4_llS2_PT12_llPT13_lli
    .private_segment_fixed_size: 0
    .sgpr_count:     46
    .sgpr_spill_count: 0
    .symbol:         _ZN12_GLOBAL__N_127rocblas_gemm_batched_kernelIdLi16ELi16ELi64ELi64ELi4ELi64ELi4ELi4ELi64ELc67ELc78EKdS1_dEEvlllT_PT11_llS4_llS2_PT12_llPT13_lli.kd
    .uniform_work_group_size: 1
    .uses_dynamic_stack: false
    .vgpr_count:     94
    .vgpr_spill_count: 0
    .wavefront_size: 32
  - .args:
      - .offset:         0
        .size:           8
        .value_kind:     by_value
      - .offset:         8
        .size:           8
        .value_kind:     by_value
      - .offset:         16
        .size:           8
        .value_kind:     by_value
      - .offset:         24
        .size:           8
        .value_kind:     by_value
      - .address_space:  global
        .offset:         32
        .size:           8
        .value_kind:     global_buffer
      - .offset:         40
        .size:           8
        .value_kind:     by_value
      - .offset:         48
        .size:           8
        .value_kind:     by_value
      - .address_space:  global
        .offset:         56
        .size:           8
        .value_kind:     global_buffer
      - .offset:         64
        .size:           8
        .value_kind:     by_value
      - .offset:         72
        .size:           8
        .value_kind:     by_value
      - .offset:         80
        .size:           8
        .value_kind:     by_value
      - .address_space:  global
        .offset:         88
        .size:           8
        .value_kind:     global_buffer
      - .offset:         96
        .size:           8
        .value_kind:     by_value
      - .offset:         104
        .size:           8
        .value_kind:     by_value
      - .address_space:  global
        .offset:         112
        .size:           8
        .value_kind:     global_buffer
      - .offset:         120
        .size:           8
        .value_kind:     by_value
      - .offset:         128
        .size:           8
        .value_kind:     by_value
      - .offset:         136
        .size:           4
        .value_kind:     by_value
    .group_segment_fixed_size: 4096
    .kernarg_segment_align: 8
    .kernarg_segment_size: 140
    .language:       OpenCL C
    .language_version:
      - 2
      - 0
    .max_flat_workgroup_size: 256
    .name:           _ZN12_GLOBAL__N_127rocblas_gemm_batched_kernelIdLi16ELi16ELi64ELi64ELi4ELi64ELi4ELi4ELi64ELc67ELc84EKdS1_dEEvlllT_PT11_llS4_llS2_PT12_llPT13_lli
    .private_segment_fixed_size: 0
    .sgpr_count:     46
    .sgpr_spill_count: 0
    .symbol:         _ZN12_GLOBAL__N_127rocblas_gemm_batched_kernelIdLi16ELi16ELi64ELi64ELi4ELi64ELi4ELi4ELi64ELc67ELc84EKdS1_dEEvlllT_PT11_llS4_llS2_PT12_llPT13_lli.kd
    .uniform_work_group_size: 1
    .uses_dynamic_stack: false
    .vgpr_count:     94
    .vgpr_spill_count: 0
    .wavefront_size: 32
  - .args:
      - .offset:         0
        .size:           8
        .value_kind:     by_value
      - .offset:         8
        .size:           8
        .value_kind:     by_value
      - .offset:         16
        .size:           8
        .value_kind:     by_value
      - .offset:         24
        .size:           8
        .value_kind:     by_value
      - .address_space:  global
        .offset:         32
        .size:           8
        .value_kind:     global_buffer
      - .offset:         40
        .size:           8
        .value_kind:     by_value
      - .offset:         48
        .size:           8
        .value_kind:     by_value
      - .address_space:  global
        .offset:         56
        .size:           8
        .value_kind:     global_buffer
      - .offset:         64
        .size:           8
        .value_kind:     by_value
      - .offset:         72
        .size:           8
        .value_kind:     by_value
      - .offset:         80
        .size:           8
        .value_kind:     by_value
      - .address_space:  global
        .offset:         88
        .size:           8
        .value_kind:     global_buffer
      - .offset:         96
        .size:           8
        .value_kind:     by_value
      - .offset:         104
        .size:           8
        .value_kind:     by_value
      - .address_space:  global
        .offset:         112
        .size:           8
        .value_kind:     global_buffer
      - .offset:         120
        .size:           8
        .value_kind:     by_value
      - .offset:         128
        .size:           8
        .value_kind:     by_value
      - .offset:         136
        .size:           4
        .value_kind:     by_value
    .group_segment_fixed_size: 4096
    .kernarg_segment_align: 8
    .kernarg_segment_size: 140
    .language:       OpenCL C
    .language_version:
      - 2
      - 0
    .max_flat_workgroup_size: 256
    .name:           _ZN12_GLOBAL__N_127rocblas_gemm_batched_kernelIdLi16ELi16ELi64ELi64ELi4ELi64ELi4ELi4ELi64ELc78ELc67EKdS1_dEEvlllT_PT11_llS4_llS2_PT12_llPT13_lli
    .private_segment_fixed_size: 0
    .sgpr_count:     46
    .sgpr_spill_count: 0
    .symbol:         _ZN12_GLOBAL__N_127rocblas_gemm_batched_kernelIdLi16ELi16ELi64ELi64ELi4ELi64ELi4ELi4ELi64ELc78ELc67EKdS1_dEEvlllT_PT11_llS4_llS2_PT12_llPT13_lli.kd
    .uniform_work_group_size: 1
    .uses_dynamic_stack: false
    .vgpr_count:     94
    .vgpr_spill_count: 0
    .wavefront_size: 32
  - .args:
      - .offset:         0
        .size:           8
        .value_kind:     by_value
      - .offset:         8
        .size:           8
        .value_kind:     by_value
      - .offset:         16
        .size:           8
        .value_kind:     by_value
      - .offset:         24
        .size:           8
        .value_kind:     by_value
      - .address_space:  global
        .offset:         32
        .size:           8
        .value_kind:     global_buffer
      - .offset:         40
        .size:           8
        .value_kind:     by_value
      - .offset:         48
        .size:           8
        .value_kind:     by_value
      - .address_space:  global
        .offset:         56
        .size:           8
        .value_kind:     global_buffer
      - .offset:         64
        .size:           8
        .value_kind:     by_value
      - .offset:         72
        .size:           8
        .value_kind:     by_value
      - .offset:         80
        .size:           8
        .value_kind:     by_value
      - .address_space:  global
        .offset:         88
        .size:           8
        .value_kind:     global_buffer
      - .offset:         96
        .size:           8
        .value_kind:     by_value
      - .offset:         104
        .size:           8
        .value_kind:     by_value
      - .address_space:  global
        .offset:         112
        .size:           8
        .value_kind:     global_buffer
      - .offset:         120
        .size:           8
        .value_kind:     by_value
      - .offset:         128
        .size:           8
        .value_kind:     by_value
      - .offset:         136
        .size:           4
        .value_kind:     by_value
    .group_segment_fixed_size: 4096
    .kernarg_segment_align: 8
    .kernarg_segment_size: 140
    .language:       OpenCL C
    .language_version:
      - 2
      - 0
    .max_flat_workgroup_size: 256
    .name:           _ZN12_GLOBAL__N_127rocblas_gemm_batched_kernelIdLi16ELi16ELi64ELi64ELi4ELi64ELi4ELi4ELi64ELc84ELc67EKdS1_dEEvlllT_PT11_llS4_llS2_PT12_llPT13_lli
    .private_segment_fixed_size: 0
    .sgpr_count:     46
    .sgpr_spill_count: 0
    .symbol:         _ZN12_GLOBAL__N_127rocblas_gemm_batched_kernelIdLi16ELi16ELi64ELi64ELi4ELi64ELi4ELi4ELi64ELc84ELc67EKdS1_dEEvlllT_PT11_llS4_llS2_PT12_llPT13_lli.kd
    .uniform_work_group_size: 1
    .uses_dynamic_stack: false
    .vgpr_count:     94
    .vgpr_spill_count: 0
    .wavefront_size: 32
  - .args:
      - .offset:         0
        .size:           8
        .value_kind:     by_value
      - .offset:         8
        .size:           8
        .value_kind:     by_value
      - .offset:         16
        .size:           8
        .value_kind:     by_value
      - .offset:         24
        .size:           8
        .value_kind:     by_value
      - .address_space:  global
        .offset:         32
        .size:           8
        .value_kind:     global_buffer
      - .offset:         40
        .size:           8
        .value_kind:     by_value
      - .offset:         48
        .size:           8
        .value_kind:     by_value
      - .address_space:  global
        .offset:         56
        .size:           8
        .value_kind:     global_buffer
      - .offset:         64
        .size:           8
        .value_kind:     by_value
      - .offset:         72
        .size:           8
        .value_kind:     by_value
      - .offset:         80
        .size:           8
        .value_kind:     by_value
      - .address_space:  global
        .offset:         88
        .size:           8
        .value_kind:     global_buffer
      - .offset:         96
        .size:           8
        .value_kind:     by_value
      - .offset:         104
        .size:           8
        .value_kind:     by_value
      - .address_space:  global
        .offset:         112
        .size:           8
        .value_kind:     global_buffer
      - .offset:         120
        .size:           8
        .value_kind:     by_value
      - .offset:         128
        .size:           8
        .value_kind:     by_value
      - .offset:         136
        .size:           4
        .value_kind:     by_value
    .group_segment_fixed_size: 4096
    .kernarg_segment_align: 8
    .kernarg_segment_size: 140
    .language:       OpenCL C
    .language_version:
      - 2
      - 0
    .max_flat_workgroup_size: 256
    .name:           _ZN12_GLOBAL__N_127rocblas_gemm_batched_kernelIdLi16ELi16ELi32ELi32ELi8ELi32ELi8ELi8ELi32ELc78ELc78EKdS1_dEEvlllT_PT11_llS4_llS2_PT12_llPT13_lli
    .private_segment_fixed_size: 0
    .sgpr_count:     46
    .sgpr_spill_count: 0
    .symbol:         _ZN12_GLOBAL__N_127rocblas_gemm_batched_kernelIdLi16ELi16ELi32ELi32ELi8ELi32ELi8ELi8ELi32ELc78ELc78EKdS1_dEEvlllT_PT11_llS4_llS2_PT12_llPT13_lli.kd
    .uniform_work_group_size: 1
    .uses_dynamic_stack: false
    .vgpr_count:     46
    .vgpr_spill_count: 0
    .wavefront_size: 32
  - .args:
      - .offset:         0
        .size:           8
        .value_kind:     by_value
      - .offset:         8
        .size:           8
        .value_kind:     by_value
      - .offset:         16
        .size:           8
        .value_kind:     by_value
      - .offset:         24
        .size:           8
        .value_kind:     by_value
      - .address_space:  global
        .offset:         32
        .size:           8
        .value_kind:     global_buffer
      - .offset:         40
        .size:           8
        .value_kind:     by_value
      - .offset:         48
        .size:           8
        .value_kind:     by_value
      - .address_space:  global
        .offset:         56
        .size:           8
        .value_kind:     global_buffer
      - .offset:         64
        .size:           8
        .value_kind:     by_value
      - .offset:         72
        .size:           8
        .value_kind:     by_value
      - .offset:         80
        .size:           8
        .value_kind:     by_value
      - .address_space:  global
        .offset:         88
        .size:           8
        .value_kind:     global_buffer
      - .offset:         96
        .size:           8
        .value_kind:     by_value
      - .offset:         104
        .size:           8
        .value_kind:     by_value
      - .address_space:  global
        .offset:         112
        .size:           8
        .value_kind:     global_buffer
      - .offset:         120
        .size:           8
        .value_kind:     by_value
      - .offset:         128
        .size:           8
        .value_kind:     by_value
      - .offset:         136
        .size:           4
        .value_kind:     by_value
    .group_segment_fixed_size: 4096
    .kernarg_segment_align: 8
    .kernarg_segment_size: 140
    .language:       OpenCL C
    .language_version:
      - 2
      - 0
    .max_flat_workgroup_size: 256
    .name:           _ZN12_GLOBAL__N_127rocblas_gemm_batched_kernelIdLi16ELi16ELi32ELi32ELi8ELi32ELi8ELi8ELi32ELc84ELc78EKdS1_dEEvlllT_PT11_llS4_llS2_PT12_llPT13_lli
    .private_segment_fixed_size: 0
    .sgpr_count:     46
    .sgpr_spill_count: 0
    .symbol:         _ZN12_GLOBAL__N_127rocblas_gemm_batched_kernelIdLi16ELi16ELi32ELi32ELi8ELi32ELi8ELi8ELi32ELc84ELc78EKdS1_dEEvlllT_PT11_llS4_llS2_PT12_llPT13_lli.kd
    .uniform_work_group_size: 1
    .uses_dynamic_stack: false
    .vgpr_count:     46
    .vgpr_spill_count: 0
    .wavefront_size: 32
  - .args:
      - .offset:         0
        .size:           8
        .value_kind:     by_value
      - .offset:         8
        .size:           8
        .value_kind:     by_value
      - .offset:         16
        .size:           8
        .value_kind:     by_value
      - .offset:         24
        .size:           8
        .value_kind:     by_value
      - .address_space:  global
        .offset:         32
        .size:           8
        .value_kind:     global_buffer
      - .offset:         40
        .size:           8
        .value_kind:     by_value
      - .offset:         48
        .size:           8
        .value_kind:     by_value
      - .address_space:  global
        .offset:         56
        .size:           8
        .value_kind:     global_buffer
      - .offset:         64
        .size:           8
        .value_kind:     by_value
      - .offset:         72
        .size:           8
        .value_kind:     by_value
      - .offset:         80
        .size:           8
        .value_kind:     by_value
      - .address_space:  global
        .offset:         88
        .size:           8
        .value_kind:     global_buffer
      - .offset:         96
        .size:           8
        .value_kind:     by_value
      - .offset:         104
        .size:           8
        .value_kind:     by_value
      - .address_space:  global
        .offset:         112
        .size:           8
        .value_kind:     global_buffer
      - .offset:         120
        .size:           8
        .value_kind:     by_value
      - .offset:         128
        .size:           8
        .value_kind:     by_value
      - .offset:         136
        .size:           4
        .value_kind:     by_value
    .group_segment_fixed_size: 4096
    .kernarg_segment_align: 8
    .kernarg_segment_size: 140
    .language:       OpenCL C
    .language_version:
      - 2
      - 0
    .max_flat_workgroup_size: 256
    .name:           _ZN12_GLOBAL__N_127rocblas_gemm_batched_kernelIdLi16ELi16ELi32ELi32ELi8ELi32ELi8ELi8ELi32ELc78ELc84EKdS1_dEEvlllT_PT11_llS4_llS2_PT12_llPT13_lli
    .private_segment_fixed_size: 0
    .sgpr_count:     46
    .sgpr_spill_count: 0
    .symbol:         _ZN12_GLOBAL__N_127rocblas_gemm_batched_kernelIdLi16ELi16ELi32ELi32ELi8ELi32ELi8ELi8ELi32ELc78ELc84EKdS1_dEEvlllT_PT11_llS4_llS2_PT12_llPT13_lli.kd
    .uniform_work_group_size: 1
    .uses_dynamic_stack: false
    .vgpr_count:     46
    .vgpr_spill_count: 0
    .wavefront_size: 32
  - .args:
      - .offset:         0
        .size:           8
        .value_kind:     by_value
      - .offset:         8
        .size:           8
        .value_kind:     by_value
      - .offset:         16
        .size:           8
        .value_kind:     by_value
      - .offset:         24
        .size:           8
        .value_kind:     by_value
      - .address_space:  global
        .offset:         32
        .size:           8
        .value_kind:     global_buffer
      - .offset:         40
        .size:           8
        .value_kind:     by_value
      - .offset:         48
        .size:           8
        .value_kind:     by_value
      - .address_space:  global
        .offset:         56
        .size:           8
        .value_kind:     global_buffer
      - .offset:         64
        .size:           8
        .value_kind:     by_value
      - .offset:         72
        .size:           8
        .value_kind:     by_value
      - .offset:         80
        .size:           8
        .value_kind:     by_value
      - .address_space:  global
        .offset:         88
        .size:           8
        .value_kind:     global_buffer
      - .offset:         96
        .size:           8
        .value_kind:     by_value
      - .offset:         104
        .size:           8
        .value_kind:     by_value
      - .address_space:  global
        .offset:         112
        .size:           8
        .value_kind:     global_buffer
      - .offset:         120
        .size:           8
        .value_kind:     by_value
      - .offset:         128
        .size:           8
        .value_kind:     by_value
      - .offset:         136
        .size:           4
        .value_kind:     by_value
    .group_segment_fixed_size: 4096
    .kernarg_segment_align: 8
    .kernarg_segment_size: 140
    .language:       OpenCL C
    .language_version:
      - 2
      - 0
    .max_flat_workgroup_size: 256
    .name:           _ZN12_GLOBAL__N_127rocblas_gemm_batched_kernelIdLi16ELi16ELi32ELi32ELi8ELi32ELi8ELi8ELi32ELc84ELc84EKdS1_dEEvlllT_PT11_llS4_llS2_PT12_llPT13_lli
    .private_segment_fixed_size: 0
    .sgpr_count:     46
    .sgpr_spill_count: 0
    .symbol:         _ZN12_GLOBAL__N_127rocblas_gemm_batched_kernelIdLi16ELi16ELi32ELi32ELi8ELi32ELi8ELi8ELi32ELc84ELc84EKdS1_dEEvlllT_PT11_llS4_llS2_PT12_llPT13_lli.kd
    .uniform_work_group_size: 1
    .uses_dynamic_stack: false
    .vgpr_count:     46
    .vgpr_spill_count: 0
    .wavefront_size: 32
  - .args:
      - .offset:         0
        .size:           8
        .value_kind:     by_value
      - .offset:         8
        .size:           8
        .value_kind:     by_value
      - .offset:         16
        .size:           8
        .value_kind:     by_value
      - .offset:         24
        .size:           8
        .value_kind:     by_value
      - .address_space:  global
        .offset:         32
        .size:           8
        .value_kind:     global_buffer
      - .offset:         40
        .size:           8
        .value_kind:     by_value
      - .offset:         48
        .size:           8
        .value_kind:     by_value
      - .address_space:  global
        .offset:         56
        .size:           8
        .value_kind:     global_buffer
      - .offset:         64
        .size:           8
        .value_kind:     by_value
      - .offset:         72
        .size:           8
        .value_kind:     by_value
      - .offset:         80
        .size:           8
        .value_kind:     by_value
      - .address_space:  global
        .offset:         88
        .size:           8
        .value_kind:     global_buffer
      - .offset:         96
        .size:           8
        .value_kind:     by_value
      - .offset:         104
        .size:           8
        .value_kind:     by_value
      - .address_space:  global
        .offset:         112
        .size:           8
        .value_kind:     global_buffer
      - .offset:         120
        .size:           8
        .value_kind:     by_value
      - .offset:         128
        .size:           8
        .value_kind:     by_value
      - .offset:         136
        .size:           4
        .value_kind:     by_value
    .group_segment_fixed_size: 4096
    .kernarg_segment_align: 8
    .kernarg_segment_size: 140
    .language:       OpenCL C
    .language_version:
      - 2
      - 0
    .max_flat_workgroup_size: 256
    .name:           _ZN12_GLOBAL__N_127rocblas_gemm_batched_kernelIdLi16ELi16ELi32ELi32ELi8ELi32ELi8ELi8ELi32ELc67ELc67EKdS1_dEEvlllT_PT11_llS4_llS2_PT12_llPT13_lli
    .private_segment_fixed_size: 0
    .sgpr_count:     46
    .sgpr_spill_count: 0
    .symbol:         _ZN12_GLOBAL__N_127rocblas_gemm_batched_kernelIdLi16ELi16ELi32ELi32ELi8ELi32ELi8ELi8ELi32ELc67ELc67EKdS1_dEEvlllT_PT11_llS4_llS2_PT12_llPT13_lli.kd
    .uniform_work_group_size: 1
    .uses_dynamic_stack: false
    .vgpr_count:     46
    .vgpr_spill_count: 0
    .wavefront_size: 32
  - .args:
      - .offset:         0
        .size:           8
        .value_kind:     by_value
      - .offset:         8
        .size:           8
        .value_kind:     by_value
      - .offset:         16
        .size:           8
        .value_kind:     by_value
      - .offset:         24
        .size:           8
        .value_kind:     by_value
      - .address_space:  global
        .offset:         32
        .size:           8
        .value_kind:     global_buffer
      - .offset:         40
        .size:           8
        .value_kind:     by_value
      - .offset:         48
        .size:           8
        .value_kind:     by_value
      - .address_space:  global
        .offset:         56
        .size:           8
        .value_kind:     global_buffer
      - .offset:         64
        .size:           8
        .value_kind:     by_value
      - .offset:         72
        .size:           8
        .value_kind:     by_value
      - .offset:         80
        .size:           8
        .value_kind:     by_value
      - .address_space:  global
        .offset:         88
        .size:           8
        .value_kind:     global_buffer
      - .offset:         96
        .size:           8
        .value_kind:     by_value
      - .offset:         104
        .size:           8
        .value_kind:     by_value
      - .address_space:  global
        .offset:         112
        .size:           8
        .value_kind:     global_buffer
      - .offset:         120
        .size:           8
        .value_kind:     by_value
      - .offset:         128
        .size:           8
        .value_kind:     by_value
      - .offset:         136
        .size:           4
        .value_kind:     by_value
    .group_segment_fixed_size: 4096
    .kernarg_segment_align: 8
    .kernarg_segment_size: 140
    .language:       OpenCL C
    .language_version:
      - 2
      - 0
    .max_flat_workgroup_size: 256
    .name:           _ZN12_GLOBAL__N_127rocblas_gemm_batched_kernelIdLi16ELi16ELi32ELi32ELi8ELi32ELi8ELi8ELi32ELc67ELc78EKdS1_dEEvlllT_PT11_llS4_llS2_PT12_llPT13_lli
    .private_segment_fixed_size: 0
    .sgpr_count:     46
    .sgpr_spill_count: 0
    .symbol:         _ZN12_GLOBAL__N_127rocblas_gemm_batched_kernelIdLi16ELi16ELi32ELi32ELi8ELi32ELi8ELi8ELi32ELc67ELc78EKdS1_dEEvlllT_PT11_llS4_llS2_PT12_llPT13_lli.kd
    .uniform_work_group_size: 1
    .uses_dynamic_stack: false
    .vgpr_count:     46
    .vgpr_spill_count: 0
    .wavefront_size: 32
  - .args:
      - .offset:         0
        .size:           8
        .value_kind:     by_value
      - .offset:         8
        .size:           8
        .value_kind:     by_value
      - .offset:         16
        .size:           8
        .value_kind:     by_value
      - .offset:         24
        .size:           8
        .value_kind:     by_value
      - .address_space:  global
        .offset:         32
        .size:           8
        .value_kind:     global_buffer
      - .offset:         40
        .size:           8
        .value_kind:     by_value
      - .offset:         48
        .size:           8
        .value_kind:     by_value
      - .address_space:  global
        .offset:         56
        .size:           8
        .value_kind:     global_buffer
      - .offset:         64
        .size:           8
        .value_kind:     by_value
      - .offset:         72
        .size:           8
        .value_kind:     by_value
      - .offset:         80
        .size:           8
        .value_kind:     by_value
      - .address_space:  global
        .offset:         88
        .size:           8
        .value_kind:     global_buffer
      - .offset:         96
        .size:           8
        .value_kind:     by_value
      - .offset:         104
        .size:           8
        .value_kind:     by_value
      - .address_space:  global
        .offset:         112
        .size:           8
        .value_kind:     global_buffer
      - .offset:         120
        .size:           8
        .value_kind:     by_value
      - .offset:         128
        .size:           8
        .value_kind:     by_value
      - .offset:         136
        .size:           4
        .value_kind:     by_value
    .group_segment_fixed_size: 4096
    .kernarg_segment_align: 8
    .kernarg_segment_size: 140
    .language:       OpenCL C
    .language_version:
      - 2
      - 0
    .max_flat_workgroup_size: 256
    .name:           _ZN12_GLOBAL__N_127rocblas_gemm_batched_kernelIdLi16ELi16ELi32ELi32ELi8ELi32ELi8ELi8ELi32ELc67ELc84EKdS1_dEEvlllT_PT11_llS4_llS2_PT12_llPT13_lli
    .private_segment_fixed_size: 0
    .sgpr_count:     46
    .sgpr_spill_count: 0
    .symbol:         _ZN12_GLOBAL__N_127rocblas_gemm_batched_kernelIdLi16ELi16ELi32ELi32ELi8ELi32ELi8ELi8ELi32ELc67ELc84EKdS1_dEEvlllT_PT11_llS4_llS2_PT12_llPT13_lli.kd
    .uniform_work_group_size: 1
    .uses_dynamic_stack: false
    .vgpr_count:     46
    .vgpr_spill_count: 0
    .wavefront_size: 32
  - .args:
      - .offset:         0
        .size:           8
        .value_kind:     by_value
      - .offset:         8
        .size:           8
        .value_kind:     by_value
      - .offset:         16
        .size:           8
        .value_kind:     by_value
      - .offset:         24
        .size:           8
        .value_kind:     by_value
      - .address_space:  global
        .offset:         32
        .size:           8
        .value_kind:     global_buffer
      - .offset:         40
        .size:           8
        .value_kind:     by_value
      - .offset:         48
        .size:           8
        .value_kind:     by_value
      - .address_space:  global
        .offset:         56
        .size:           8
        .value_kind:     global_buffer
      - .offset:         64
        .size:           8
        .value_kind:     by_value
      - .offset:         72
        .size:           8
        .value_kind:     by_value
      - .offset:         80
        .size:           8
        .value_kind:     by_value
      - .address_space:  global
        .offset:         88
        .size:           8
        .value_kind:     global_buffer
      - .offset:         96
        .size:           8
        .value_kind:     by_value
      - .offset:         104
        .size:           8
        .value_kind:     by_value
      - .address_space:  global
        .offset:         112
        .size:           8
        .value_kind:     global_buffer
      - .offset:         120
        .size:           8
        .value_kind:     by_value
      - .offset:         128
        .size:           8
        .value_kind:     by_value
      - .offset:         136
        .size:           4
        .value_kind:     by_value
    .group_segment_fixed_size: 4096
    .kernarg_segment_align: 8
    .kernarg_segment_size: 140
    .language:       OpenCL C
    .language_version:
      - 2
      - 0
    .max_flat_workgroup_size: 256
    .name:           _ZN12_GLOBAL__N_127rocblas_gemm_batched_kernelIdLi16ELi16ELi32ELi32ELi8ELi32ELi8ELi8ELi32ELc78ELc67EKdS1_dEEvlllT_PT11_llS4_llS2_PT12_llPT13_lli
    .private_segment_fixed_size: 0
    .sgpr_count:     46
    .sgpr_spill_count: 0
    .symbol:         _ZN12_GLOBAL__N_127rocblas_gemm_batched_kernelIdLi16ELi16ELi32ELi32ELi8ELi32ELi8ELi8ELi32ELc78ELc67EKdS1_dEEvlllT_PT11_llS4_llS2_PT12_llPT13_lli.kd
    .uniform_work_group_size: 1
    .uses_dynamic_stack: false
    .vgpr_count:     46
    .vgpr_spill_count: 0
    .wavefront_size: 32
  - .args:
      - .offset:         0
        .size:           8
        .value_kind:     by_value
      - .offset:         8
        .size:           8
        .value_kind:     by_value
      - .offset:         16
        .size:           8
        .value_kind:     by_value
      - .offset:         24
        .size:           8
        .value_kind:     by_value
      - .address_space:  global
        .offset:         32
        .size:           8
        .value_kind:     global_buffer
      - .offset:         40
        .size:           8
        .value_kind:     by_value
      - .offset:         48
        .size:           8
        .value_kind:     by_value
      - .address_space:  global
        .offset:         56
        .size:           8
        .value_kind:     global_buffer
      - .offset:         64
        .size:           8
        .value_kind:     by_value
      - .offset:         72
        .size:           8
        .value_kind:     by_value
      - .offset:         80
        .size:           8
        .value_kind:     by_value
      - .address_space:  global
        .offset:         88
        .size:           8
        .value_kind:     global_buffer
      - .offset:         96
        .size:           8
        .value_kind:     by_value
      - .offset:         104
        .size:           8
        .value_kind:     by_value
      - .address_space:  global
        .offset:         112
        .size:           8
        .value_kind:     global_buffer
      - .offset:         120
        .size:           8
        .value_kind:     by_value
      - .offset:         128
        .size:           8
        .value_kind:     by_value
      - .offset:         136
        .size:           4
        .value_kind:     by_value
    .group_segment_fixed_size: 4096
    .kernarg_segment_align: 8
    .kernarg_segment_size: 140
    .language:       OpenCL C
    .language_version:
      - 2
      - 0
    .max_flat_workgroup_size: 256
    .name:           _ZN12_GLOBAL__N_127rocblas_gemm_batched_kernelIdLi16ELi16ELi32ELi32ELi8ELi32ELi8ELi8ELi32ELc84ELc67EKdS1_dEEvlllT_PT11_llS4_llS2_PT12_llPT13_lli
    .private_segment_fixed_size: 0
    .sgpr_count:     46
    .sgpr_spill_count: 0
    .symbol:         _ZN12_GLOBAL__N_127rocblas_gemm_batched_kernelIdLi16ELi16ELi32ELi32ELi8ELi32ELi8ELi8ELi32ELc84ELc67EKdS1_dEEvlllT_PT11_llS4_llS2_PT12_llPT13_lli.kd
    .uniform_work_group_size: 1
    .uses_dynamic_stack: false
    .vgpr_count:     46
    .vgpr_spill_count: 0
    .wavefront_size: 32
  - .args:
      - .offset:         0
        .size:           8
        .value_kind:     by_value
      - .offset:         8
        .size:           8
        .value_kind:     by_value
      - .offset:         16
        .size:           8
        .value_kind:     by_value
      - .offset:         24
        .size:           8
        .value_kind:     by_value
      - .address_space:  global
        .offset:         32
        .size:           8
        .value_kind:     global_buffer
      - .offset:         40
        .size:           8
        .value_kind:     by_value
      - .offset:         48
        .size:           8
        .value_kind:     by_value
      - .address_space:  global
        .offset:         56
        .size:           8
        .value_kind:     global_buffer
      - .offset:         64
        .size:           8
        .value_kind:     by_value
      - .offset:         72
        .size:           8
        .value_kind:     by_value
      - .offset:         80
        .size:           8
        .value_kind:     by_value
      - .address_space:  global
        .offset:         88
        .size:           8
        .value_kind:     global_buffer
      - .offset:         96
        .size:           8
        .value_kind:     by_value
      - .offset:         104
        .size:           8
        .value_kind:     by_value
      - .address_space:  global
        .offset:         112
        .size:           8
        .value_kind:     global_buffer
      - .offset:         120
        .size:           8
        .value_kind:     by_value
      - .offset:         128
        .size:           8
        .value_kind:     by_value
      - .offset:         136
        .size:           4
        .value_kind:     by_value
    .group_segment_fixed_size: 4096
    .kernarg_segment_align: 8
    .kernarg_segment_size: 140
    .language:       OpenCL C
    .language_version:
      - 2
      - 0
    .max_flat_workgroup_size: 256
    .name:           _ZN12_GLOBAL__N_135rocblas_gemm_batched_general_kernelIdLi16ELi16ELi32ELi32ELi8ELi32ELi8ELi8ELi32ELc78ELc78EKdS1_dEEvlllT_PT11_llS4_llS2_PT12_llPT13_lli
    .private_segment_fixed_size: 0
    .sgpr_count:     54
    .sgpr_spill_count: 0
    .symbol:         _ZN12_GLOBAL__N_135rocblas_gemm_batched_general_kernelIdLi16ELi16ELi32ELi32ELi8ELi32ELi8ELi8ELi32ELc78ELc78EKdS1_dEEvlllT_PT11_llS4_llS2_PT12_llPT13_lli.kd
    .uniform_work_group_size: 1
    .uses_dynamic_stack: false
    .vgpr_count:     52
    .vgpr_spill_count: 0
    .wavefront_size: 32
  - .args:
      - .offset:         0
        .size:           8
        .value_kind:     by_value
      - .offset:         8
        .size:           8
        .value_kind:     by_value
      - .offset:         16
        .size:           8
        .value_kind:     by_value
      - .offset:         24
        .size:           8
        .value_kind:     by_value
      - .address_space:  global
        .offset:         32
        .size:           8
        .value_kind:     global_buffer
      - .offset:         40
        .size:           8
        .value_kind:     by_value
      - .offset:         48
        .size:           8
        .value_kind:     by_value
      - .address_space:  global
        .offset:         56
        .size:           8
        .value_kind:     global_buffer
      - .offset:         64
        .size:           8
        .value_kind:     by_value
      - .offset:         72
        .size:           8
        .value_kind:     by_value
      - .offset:         80
        .size:           8
        .value_kind:     by_value
      - .address_space:  global
        .offset:         88
        .size:           8
        .value_kind:     global_buffer
      - .offset:         96
        .size:           8
        .value_kind:     by_value
      - .offset:         104
        .size:           8
        .value_kind:     by_value
      - .address_space:  global
        .offset:         112
        .size:           8
        .value_kind:     global_buffer
      - .offset:         120
        .size:           8
        .value_kind:     by_value
      - .offset:         128
        .size:           8
        .value_kind:     by_value
      - .offset:         136
        .size:           4
        .value_kind:     by_value
    .group_segment_fixed_size: 4096
    .kernarg_segment_align: 8
    .kernarg_segment_size: 140
    .language:       OpenCL C
    .language_version:
      - 2
      - 0
    .max_flat_workgroup_size: 256
    .name:           _ZN12_GLOBAL__N_135rocblas_gemm_batched_general_kernelIdLi16ELi16ELi32ELi32ELi8ELi32ELi8ELi8ELi32ELc84ELc78EKdS1_dEEvlllT_PT11_llS4_llS2_PT12_llPT13_lli
    .private_segment_fixed_size: 0
    .sgpr_count:     54
    .sgpr_spill_count: 0
    .symbol:         _ZN12_GLOBAL__N_135rocblas_gemm_batched_general_kernelIdLi16ELi16ELi32ELi32ELi8ELi32ELi8ELi8ELi32ELc84ELc78EKdS1_dEEvlllT_PT11_llS4_llS2_PT12_llPT13_lli.kd
    .uniform_work_group_size: 1
    .uses_dynamic_stack: false
    .vgpr_count:     52
    .vgpr_spill_count: 0
    .wavefront_size: 32
  - .args:
      - .offset:         0
        .size:           8
        .value_kind:     by_value
      - .offset:         8
        .size:           8
        .value_kind:     by_value
      - .offset:         16
        .size:           8
        .value_kind:     by_value
      - .offset:         24
        .size:           8
        .value_kind:     by_value
      - .address_space:  global
        .offset:         32
        .size:           8
        .value_kind:     global_buffer
      - .offset:         40
        .size:           8
        .value_kind:     by_value
      - .offset:         48
        .size:           8
        .value_kind:     by_value
      - .address_space:  global
        .offset:         56
        .size:           8
        .value_kind:     global_buffer
      - .offset:         64
        .size:           8
        .value_kind:     by_value
      - .offset:         72
        .size:           8
        .value_kind:     by_value
      - .offset:         80
        .size:           8
        .value_kind:     by_value
      - .address_space:  global
        .offset:         88
        .size:           8
        .value_kind:     global_buffer
      - .offset:         96
        .size:           8
        .value_kind:     by_value
      - .offset:         104
        .size:           8
        .value_kind:     by_value
      - .address_space:  global
        .offset:         112
        .size:           8
        .value_kind:     global_buffer
      - .offset:         120
        .size:           8
        .value_kind:     by_value
      - .offset:         128
        .size:           8
        .value_kind:     by_value
      - .offset:         136
        .size:           4
        .value_kind:     by_value
    .group_segment_fixed_size: 4096
    .kernarg_segment_align: 8
    .kernarg_segment_size: 140
    .language:       OpenCL C
    .language_version:
      - 2
      - 0
    .max_flat_workgroup_size: 256
    .name:           _ZN12_GLOBAL__N_135rocblas_gemm_batched_general_kernelIdLi16ELi16ELi32ELi32ELi8ELi32ELi8ELi8ELi32ELc78ELc84EKdS1_dEEvlllT_PT11_llS4_llS2_PT12_llPT13_lli
    .private_segment_fixed_size: 0
    .sgpr_count:     54
    .sgpr_spill_count: 0
    .symbol:         _ZN12_GLOBAL__N_135rocblas_gemm_batched_general_kernelIdLi16ELi16ELi32ELi32ELi8ELi32ELi8ELi8ELi32ELc78ELc84EKdS1_dEEvlllT_PT11_llS4_llS2_PT12_llPT13_lli.kd
    .uniform_work_group_size: 1
    .uses_dynamic_stack: false
    .vgpr_count:     52
    .vgpr_spill_count: 0
    .wavefront_size: 32
  - .args:
      - .offset:         0
        .size:           8
        .value_kind:     by_value
      - .offset:         8
        .size:           8
        .value_kind:     by_value
      - .offset:         16
        .size:           8
        .value_kind:     by_value
      - .offset:         24
        .size:           8
        .value_kind:     by_value
      - .address_space:  global
        .offset:         32
        .size:           8
        .value_kind:     global_buffer
      - .offset:         40
        .size:           8
        .value_kind:     by_value
      - .offset:         48
        .size:           8
        .value_kind:     by_value
      - .address_space:  global
        .offset:         56
        .size:           8
        .value_kind:     global_buffer
      - .offset:         64
        .size:           8
        .value_kind:     by_value
      - .offset:         72
        .size:           8
        .value_kind:     by_value
      - .offset:         80
        .size:           8
        .value_kind:     by_value
      - .address_space:  global
        .offset:         88
        .size:           8
        .value_kind:     global_buffer
      - .offset:         96
        .size:           8
        .value_kind:     by_value
      - .offset:         104
        .size:           8
        .value_kind:     by_value
      - .address_space:  global
        .offset:         112
        .size:           8
        .value_kind:     global_buffer
      - .offset:         120
        .size:           8
        .value_kind:     by_value
      - .offset:         128
        .size:           8
        .value_kind:     by_value
      - .offset:         136
        .size:           4
        .value_kind:     by_value
    .group_segment_fixed_size: 4096
    .kernarg_segment_align: 8
    .kernarg_segment_size: 140
    .language:       OpenCL C
    .language_version:
      - 2
      - 0
    .max_flat_workgroup_size: 256
    .name:           _ZN12_GLOBAL__N_135rocblas_gemm_batched_general_kernelIdLi16ELi16ELi32ELi32ELi8ELi32ELi8ELi8ELi32ELc84ELc84EKdS1_dEEvlllT_PT11_llS4_llS2_PT12_llPT13_lli
    .private_segment_fixed_size: 0
    .sgpr_count:     54
    .sgpr_spill_count: 0
    .symbol:         _ZN12_GLOBAL__N_135rocblas_gemm_batched_general_kernelIdLi16ELi16ELi32ELi32ELi8ELi32ELi8ELi8ELi32ELc84ELc84EKdS1_dEEvlllT_PT11_llS4_llS2_PT12_llPT13_lli.kd
    .uniform_work_group_size: 1
    .uses_dynamic_stack: false
    .vgpr_count:     52
    .vgpr_spill_count: 0
    .wavefront_size: 32
  - .args:
      - .offset:         0
        .size:           8
        .value_kind:     by_value
      - .offset:         8
        .size:           8
        .value_kind:     by_value
      - .offset:         16
        .size:           8
        .value_kind:     by_value
      - .offset:         24
        .size:           8
        .value_kind:     by_value
      - .address_space:  global
        .offset:         32
        .size:           8
        .value_kind:     global_buffer
      - .offset:         40
        .size:           8
        .value_kind:     by_value
      - .offset:         48
        .size:           8
        .value_kind:     by_value
      - .address_space:  global
        .offset:         56
        .size:           8
        .value_kind:     global_buffer
      - .offset:         64
        .size:           8
        .value_kind:     by_value
      - .offset:         72
        .size:           8
        .value_kind:     by_value
      - .offset:         80
        .size:           8
        .value_kind:     by_value
      - .address_space:  global
        .offset:         88
        .size:           8
        .value_kind:     global_buffer
      - .offset:         96
        .size:           8
        .value_kind:     by_value
      - .offset:         104
        .size:           8
        .value_kind:     by_value
      - .address_space:  global
        .offset:         112
        .size:           8
        .value_kind:     global_buffer
      - .offset:         120
        .size:           8
        .value_kind:     by_value
      - .offset:         128
        .size:           8
        .value_kind:     by_value
      - .offset:         136
        .size:           4
        .value_kind:     by_value
    .group_segment_fixed_size: 4096
    .kernarg_segment_align: 8
    .kernarg_segment_size: 140
    .language:       OpenCL C
    .language_version:
      - 2
      - 0
    .max_flat_workgroup_size: 256
    .name:           _ZN12_GLOBAL__N_135rocblas_gemm_batched_general_kernelIdLi16ELi16ELi32ELi32ELi8ELi32ELi8ELi8ELi32ELc67ELc67EKdS1_dEEvlllT_PT11_llS4_llS2_PT12_llPT13_lli
    .private_segment_fixed_size: 0
    .sgpr_count:     54
    .sgpr_spill_count: 0
    .symbol:         _ZN12_GLOBAL__N_135rocblas_gemm_batched_general_kernelIdLi16ELi16ELi32ELi32ELi8ELi32ELi8ELi8ELi32ELc67ELc67EKdS1_dEEvlllT_PT11_llS4_llS2_PT12_llPT13_lli.kd
    .uniform_work_group_size: 1
    .uses_dynamic_stack: false
    .vgpr_count:     52
    .vgpr_spill_count: 0
    .wavefront_size: 32
  - .args:
      - .offset:         0
        .size:           8
        .value_kind:     by_value
      - .offset:         8
        .size:           8
        .value_kind:     by_value
      - .offset:         16
        .size:           8
        .value_kind:     by_value
      - .offset:         24
        .size:           8
        .value_kind:     by_value
      - .address_space:  global
        .offset:         32
        .size:           8
        .value_kind:     global_buffer
      - .offset:         40
        .size:           8
        .value_kind:     by_value
      - .offset:         48
        .size:           8
        .value_kind:     by_value
      - .address_space:  global
        .offset:         56
        .size:           8
        .value_kind:     global_buffer
      - .offset:         64
        .size:           8
        .value_kind:     by_value
      - .offset:         72
        .size:           8
        .value_kind:     by_value
      - .offset:         80
        .size:           8
        .value_kind:     by_value
      - .address_space:  global
        .offset:         88
        .size:           8
        .value_kind:     global_buffer
      - .offset:         96
        .size:           8
        .value_kind:     by_value
      - .offset:         104
        .size:           8
        .value_kind:     by_value
      - .address_space:  global
        .offset:         112
        .size:           8
        .value_kind:     global_buffer
      - .offset:         120
        .size:           8
        .value_kind:     by_value
      - .offset:         128
        .size:           8
        .value_kind:     by_value
      - .offset:         136
        .size:           4
        .value_kind:     by_value
    .group_segment_fixed_size: 4096
    .kernarg_segment_align: 8
    .kernarg_segment_size: 140
    .language:       OpenCL C
    .language_version:
      - 2
      - 0
    .max_flat_workgroup_size: 256
    .name:           _ZN12_GLOBAL__N_135rocblas_gemm_batched_general_kernelIdLi16ELi16ELi32ELi32ELi8ELi32ELi8ELi8ELi32ELc67ELc78EKdS1_dEEvlllT_PT11_llS4_llS2_PT12_llPT13_lli
    .private_segment_fixed_size: 0
    .sgpr_count:     54
    .sgpr_spill_count: 0
    .symbol:         _ZN12_GLOBAL__N_135rocblas_gemm_batched_general_kernelIdLi16ELi16ELi32ELi32ELi8ELi32ELi8ELi8ELi32ELc67ELc78EKdS1_dEEvlllT_PT11_llS4_llS2_PT12_llPT13_lli.kd
    .uniform_work_group_size: 1
    .uses_dynamic_stack: false
    .vgpr_count:     52
    .vgpr_spill_count: 0
    .wavefront_size: 32
  - .args:
      - .offset:         0
        .size:           8
        .value_kind:     by_value
      - .offset:         8
        .size:           8
        .value_kind:     by_value
      - .offset:         16
        .size:           8
        .value_kind:     by_value
      - .offset:         24
        .size:           8
        .value_kind:     by_value
      - .address_space:  global
        .offset:         32
        .size:           8
        .value_kind:     global_buffer
      - .offset:         40
        .size:           8
        .value_kind:     by_value
      - .offset:         48
        .size:           8
        .value_kind:     by_value
      - .address_space:  global
        .offset:         56
        .size:           8
        .value_kind:     global_buffer
      - .offset:         64
        .size:           8
        .value_kind:     by_value
      - .offset:         72
        .size:           8
        .value_kind:     by_value
      - .offset:         80
        .size:           8
        .value_kind:     by_value
      - .address_space:  global
        .offset:         88
        .size:           8
        .value_kind:     global_buffer
      - .offset:         96
        .size:           8
        .value_kind:     by_value
      - .offset:         104
        .size:           8
        .value_kind:     by_value
      - .address_space:  global
        .offset:         112
        .size:           8
        .value_kind:     global_buffer
      - .offset:         120
        .size:           8
        .value_kind:     by_value
      - .offset:         128
        .size:           8
        .value_kind:     by_value
      - .offset:         136
        .size:           4
        .value_kind:     by_value
    .group_segment_fixed_size: 4096
    .kernarg_segment_align: 8
    .kernarg_segment_size: 140
    .language:       OpenCL C
    .language_version:
      - 2
      - 0
    .max_flat_workgroup_size: 256
    .name:           _ZN12_GLOBAL__N_135rocblas_gemm_batched_general_kernelIdLi16ELi16ELi32ELi32ELi8ELi32ELi8ELi8ELi32ELc67ELc84EKdS1_dEEvlllT_PT11_llS4_llS2_PT12_llPT13_lli
    .private_segment_fixed_size: 0
    .sgpr_count:     54
    .sgpr_spill_count: 0
    .symbol:         _ZN12_GLOBAL__N_135rocblas_gemm_batched_general_kernelIdLi16ELi16ELi32ELi32ELi8ELi32ELi8ELi8ELi32ELc67ELc84EKdS1_dEEvlllT_PT11_llS4_llS2_PT12_llPT13_lli.kd
    .uniform_work_group_size: 1
    .uses_dynamic_stack: false
    .vgpr_count:     52
    .vgpr_spill_count: 0
    .wavefront_size: 32
  - .args:
      - .offset:         0
        .size:           8
        .value_kind:     by_value
      - .offset:         8
        .size:           8
        .value_kind:     by_value
      - .offset:         16
        .size:           8
        .value_kind:     by_value
      - .offset:         24
        .size:           8
        .value_kind:     by_value
      - .address_space:  global
        .offset:         32
        .size:           8
        .value_kind:     global_buffer
      - .offset:         40
        .size:           8
        .value_kind:     by_value
      - .offset:         48
        .size:           8
        .value_kind:     by_value
      - .address_space:  global
        .offset:         56
        .size:           8
        .value_kind:     global_buffer
      - .offset:         64
        .size:           8
        .value_kind:     by_value
      - .offset:         72
        .size:           8
        .value_kind:     by_value
      - .offset:         80
        .size:           8
        .value_kind:     by_value
      - .address_space:  global
        .offset:         88
        .size:           8
        .value_kind:     global_buffer
      - .offset:         96
        .size:           8
        .value_kind:     by_value
      - .offset:         104
        .size:           8
        .value_kind:     by_value
      - .address_space:  global
        .offset:         112
        .size:           8
        .value_kind:     global_buffer
      - .offset:         120
        .size:           8
        .value_kind:     by_value
      - .offset:         128
        .size:           8
        .value_kind:     by_value
      - .offset:         136
        .size:           4
        .value_kind:     by_value
    .group_segment_fixed_size: 4096
    .kernarg_segment_align: 8
    .kernarg_segment_size: 140
    .language:       OpenCL C
    .language_version:
      - 2
      - 0
    .max_flat_workgroup_size: 256
    .name:           _ZN12_GLOBAL__N_135rocblas_gemm_batched_general_kernelIdLi16ELi16ELi32ELi32ELi8ELi32ELi8ELi8ELi32ELc78ELc67EKdS1_dEEvlllT_PT11_llS4_llS2_PT12_llPT13_lli
    .private_segment_fixed_size: 0
    .sgpr_count:     54
    .sgpr_spill_count: 0
    .symbol:         _ZN12_GLOBAL__N_135rocblas_gemm_batched_general_kernelIdLi16ELi16ELi32ELi32ELi8ELi32ELi8ELi8ELi32ELc78ELc67EKdS1_dEEvlllT_PT11_llS4_llS2_PT12_llPT13_lli.kd
    .uniform_work_group_size: 1
    .uses_dynamic_stack: false
    .vgpr_count:     52
    .vgpr_spill_count: 0
    .wavefront_size: 32
  - .args:
      - .offset:         0
        .size:           8
        .value_kind:     by_value
      - .offset:         8
        .size:           8
        .value_kind:     by_value
      - .offset:         16
        .size:           8
        .value_kind:     by_value
      - .offset:         24
        .size:           8
        .value_kind:     by_value
      - .address_space:  global
        .offset:         32
        .size:           8
        .value_kind:     global_buffer
      - .offset:         40
        .size:           8
        .value_kind:     by_value
      - .offset:         48
        .size:           8
        .value_kind:     by_value
      - .address_space:  global
        .offset:         56
        .size:           8
        .value_kind:     global_buffer
      - .offset:         64
        .size:           8
        .value_kind:     by_value
      - .offset:         72
        .size:           8
        .value_kind:     by_value
      - .offset:         80
        .size:           8
        .value_kind:     by_value
      - .address_space:  global
        .offset:         88
        .size:           8
        .value_kind:     global_buffer
      - .offset:         96
        .size:           8
        .value_kind:     by_value
      - .offset:         104
        .size:           8
        .value_kind:     by_value
      - .address_space:  global
        .offset:         112
        .size:           8
        .value_kind:     global_buffer
      - .offset:         120
        .size:           8
        .value_kind:     by_value
      - .offset:         128
        .size:           8
        .value_kind:     by_value
      - .offset:         136
        .size:           4
        .value_kind:     by_value
    .group_segment_fixed_size: 4096
    .kernarg_segment_align: 8
    .kernarg_segment_size: 140
    .language:       OpenCL C
    .language_version:
      - 2
      - 0
    .max_flat_workgroup_size: 256
    .name:           _ZN12_GLOBAL__N_135rocblas_gemm_batched_general_kernelIdLi16ELi16ELi32ELi32ELi8ELi32ELi8ELi8ELi32ELc84ELc67EKdS1_dEEvlllT_PT11_llS4_llS2_PT12_llPT13_lli
    .private_segment_fixed_size: 0
    .sgpr_count:     54
    .sgpr_spill_count: 0
    .symbol:         _ZN12_GLOBAL__N_135rocblas_gemm_batched_general_kernelIdLi16ELi16ELi32ELi32ELi8ELi32ELi8ELi8ELi32ELc84ELc67EKdS1_dEEvlllT_PT11_llS4_llS2_PT12_llPT13_lli.kd
    .uniform_work_group_size: 1
    .uses_dynamic_stack: false
    .vgpr_count:     52
    .vgpr_spill_count: 0
    .wavefront_size: 32
  - .args:
      - .offset:         0
        .size:           4
        .value_kind:     by_value
      - .offset:         4
        .size:           4
        .value_kind:     by_value
      - .offset:         8
        .size:           4
        .value_kind:     by_value
      - .address_space:  global
        .offset:         16
        .size:           8
        .value_kind:     global_buffer
      - .offset:         24
        .size:           8
        .value_kind:     by_value
      - .offset:         32
        .size:           8
        .value_kind:     by_value
      - .offset:         40
        .size:           8
        .value_kind:     by_value
      - .address_space:  global
        .offset:         48
        .size:           8
        .value_kind:     global_buffer
      - .offset:         56
        .size:           8
        .value_kind:     by_value
      - .offset:         64
        .size:           8
        .value_kind:     by_value
      - .offset:         72
        .size:           8
        .value_kind:     by_value
      - .offset:         80
        .size:           4
        .value_kind:     by_value
    .group_segment_fixed_size: 0
    .kernarg_segment_align: 8
    .kernarg_segment_size: 84
    .language:       OpenCL C
    .language_version:
      - 2
      - 0
    .max_flat_workgroup_size: 1024
    .name:           _ZN12_GLOBAL__N_120gemm_ex_scale_kernelILi32ELi32EfPKfPfEEviiT1_T2_lllT3_llli
    .private_segment_fixed_size: 0
    .sgpr_count:     29
    .sgpr_spill_count: 0
    .symbol:         _ZN12_GLOBAL__N_120gemm_ex_scale_kernelILi32ELi32EfPKfPfEEviiT1_T2_lllT3_llli.kd
    .uniform_work_group_size: 1
    .uses_dynamic_stack: false
    .vgpr_count:     8
    .vgpr_spill_count: 0
    .wavefront_size: 32
  - .args:
      - .offset:         0
        .size:           8
        .value_kind:     by_value
      - .offset:         8
        .size:           8
        .value_kind:     by_value
      - .offset:         16
        .size:           8
        .value_kind:     by_value
      - .offset:         24
        .size:           4
        .value_kind:     by_value
      - .address_space:  global
        .offset:         32
        .size:           8
        .value_kind:     global_buffer
      - .offset:         40
        .size:           8
        .value_kind:     by_value
      - .offset:         48
        .size:           8
        .value_kind:     by_value
      - .address_space:  global
        .offset:         56
        .size:           8
        .value_kind:     global_buffer
      - .offset:         64
        .size:           8
        .value_kind:     by_value
      - .offset:         72
        .size:           8
        .value_kind:     by_value
      - .offset:         80
        .size:           4
        .value_kind:     by_value
      - .address_space:  global
        .offset:         88
        .size:           8
        .value_kind:     global_buffer
      - .offset:         96
        .size:           8
        .value_kind:     by_value
      - .offset:         104
        .size:           8
        .value_kind:     by_value
      - .address_space:  global
        .offset:         112
        .size:           8
        .value_kind:     global_buffer
      - .offset:         120
        .size:           8
        .value_kind:     by_value
      - .offset:         128
        .size:           8
        .value_kind:     by_value
      - .offset:         136
        .size:           4
        .value_kind:     by_value
    .group_segment_fixed_size: 2048
    .kernarg_segment_align: 8
    .kernarg_segment_size: 140
    .language:       OpenCL C
    .language_version:
      - 2
      - 0
    .max_flat_workgroup_size: 256
    .name:           _ZN12_GLOBAL__N_127rocblas_gemm_batched_kernelIfLi16ELi16ELi64ELi64ELi4ELi64ELi4ELi4ELi64ELc78ELc78EKfS1_fEEvlllT_PT11_llS4_llS2_PT12_llPT13_lli
    .private_segment_fixed_size: 0
    .sgpr_count:     38
    .sgpr_spill_count: 0
    .symbol:         _ZN12_GLOBAL__N_127rocblas_gemm_batched_kernelIfLi16ELi16ELi64ELi64ELi4ELi64ELi4ELi4ELi64ELc78ELc78EKfS1_fEEvlllT_PT11_llS4_llS2_PT12_llPT13_lli.kd
    .uniform_work_group_size: 1
    .uses_dynamic_stack: false
    .vgpr_count:     74
    .vgpr_spill_count: 0
    .wavefront_size: 32
  - .args:
      - .offset:         0
        .size:           8
        .value_kind:     by_value
      - .offset:         8
        .size:           8
        .value_kind:     by_value
      - .offset:         16
        .size:           8
        .value_kind:     by_value
      - .offset:         24
        .size:           4
        .value_kind:     by_value
      - .address_space:  global
        .offset:         32
        .size:           8
        .value_kind:     global_buffer
      - .offset:         40
        .size:           8
        .value_kind:     by_value
      - .offset:         48
        .size:           8
        .value_kind:     by_value
      - .address_space:  global
        .offset:         56
        .size:           8
        .value_kind:     global_buffer
      - .offset:         64
        .size:           8
        .value_kind:     by_value
      - .offset:         72
        .size:           8
        .value_kind:     by_value
      - .offset:         80
        .size:           4
        .value_kind:     by_value
      - .address_space:  global
        .offset:         88
        .size:           8
        .value_kind:     global_buffer
      - .offset:         96
        .size:           8
        .value_kind:     by_value
      - .offset:         104
        .size:           8
        .value_kind:     by_value
      - .address_space:  global
        .offset:         112
        .size:           8
        .value_kind:     global_buffer
      - .offset:         120
        .size:           8
        .value_kind:     by_value
      - .offset:         128
        .size:           8
        .value_kind:     by_value
      - .offset:         136
        .size:           4
        .value_kind:     by_value
    .group_segment_fixed_size: 2048
    .kernarg_segment_align: 8
    .kernarg_segment_size: 140
    .language:       OpenCL C
    .language_version:
      - 2
      - 0
    .max_flat_workgroup_size: 256
    .name:           _ZN12_GLOBAL__N_127rocblas_gemm_batched_kernelIfLi16ELi16ELi64ELi64ELi4ELi64ELi4ELi4ELi64ELc84ELc78EKfS1_fEEvlllT_PT11_llS4_llS2_PT12_llPT13_lli
    .private_segment_fixed_size: 0
    .sgpr_count:     40
    .sgpr_spill_count: 0
    .symbol:         _ZN12_GLOBAL__N_127rocblas_gemm_batched_kernelIfLi16ELi16ELi64ELi64ELi4ELi64ELi4ELi4ELi64ELc84ELc78EKfS1_fEEvlllT_PT11_llS4_llS2_PT12_llPT13_lli.kd
    .uniform_work_group_size: 1
    .uses_dynamic_stack: false
    .vgpr_count:     74
    .vgpr_spill_count: 0
    .wavefront_size: 32
  - .args:
      - .offset:         0
        .size:           8
        .value_kind:     by_value
      - .offset:         8
        .size:           8
        .value_kind:     by_value
      - .offset:         16
        .size:           8
        .value_kind:     by_value
      - .offset:         24
        .size:           4
        .value_kind:     by_value
      - .address_space:  global
        .offset:         32
        .size:           8
        .value_kind:     global_buffer
      - .offset:         40
        .size:           8
        .value_kind:     by_value
      - .offset:         48
        .size:           8
        .value_kind:     by_value
      - .address_space:  global
        .offset:         56
        .size:           8
        .value_kind:     global_buffer
      - .offset:         64
        .size:           8
        .value_kind:     by_value
      - .offset:         72
        .size:           8
        .value_kind:     by_value
      - .offset:         80
        .size:           4
        .value_kind:     by_value
      - .address_space:  global
        .offset:         88
        .size:           8
        .value_kind:     global_buffer
      - .offset:         96
        .size:           8
        .value_kind:     by_value
      - .offset:         104
        .size:           8
        .value_kind:     by_value
      - .address_space:  global
        .offset:         112
        .size:           8
        .value_kind:     global_buffer
      - .offset:         120
        .size:           8
        .value_kind:     by_value
      - .offset:         128
        .size:           8
        .value_kind:     by_value
      - .offset:         136
        .size:           4
        .value_kind:     by_value
    .group_segment_fixed_size: 2048
    .kernarg_segment_align: 8
    .kernarg_segment_size: 140
    .language:       OpenCL C
    .language_version:
      - 2
      - 0
    .max_flat_workgroup_size: 256
    .name:           _ZN12_GLOBAL__N_127rocblas_gemm_batched_kernelIfLi16ELi16ELi64ELi64ELi4ELi64ELi4ELi4ELi64ELc78ELc84EKfS1_fEEvlllT_PT11_llS4_llS2_PT12_llPT13_lli
    .private_segment_fixed_size: 0
    .sgpr_count:     40
    .sgpr_spill_count: 0
    .symbol:         _ZN12_GLOBAL__N_127rocblas_gemm_batched_kernelIfLi16ELi16ELi64ELi64ELi4ELi64ELi4ELi4ELi64ELc78ELc84EKfS1_fEEvlllT_PT11_llS4_llS2_PT12_llPT13_lli.kd
    .uniform_work_group_size: 1
    .uses_dynamic_stack: false
    .vgpr_count:     74
    .vgpr_spill_count: 0
    .wavefront_size: 32
  - .args:
      - .offset:         0
        .size:           8
        .value_kind:     by_value
      - .offset:         8
        .size:           8
        .value_kind:     by_value
      - .offset:         16
        .size:           8
        .value_kind:     by_value
      - .offset:         24
        .size:           4
        .value_kind:     by_value
      - .address_space:  global
        .offset:         32
        .size:           8
        .value_kind:     global_buffer
      - .offset:         40
        .size:           8
        .value_kind:     by_value
      - .offset:         48
        .size:           8
        .value_kind:     by_value
      - .address_space:  global
        .offset:         56
        .size:           8
        .value_kind:     global_buffer
      - .offset:         64
        .size:           8
        .value_kind:     by_value
      - .offset:         72
        .size:           8
        .value_kind:     by_value
      - .offset:         80
        .size:           4
        .value_kind:     by_value
      - .address_space:  global
        .offset:         88
        .size:           8
        .value_kind:     global_buffer
      - .offset:         96
        .size:           8
        .value_kind:     by_value
      - .offset:         104
        .size:           8
        .value_kind:     by_value
      - .address_space:  global
        .offset:         112
        .size:           8
        .value_kind:     global_buffer
      - .offset:         120
        .size:           8
        .value_kind:     by_value
      - .offset:         128
        .size:           8
        .value_kind:     by_value
      - .offset:         136
        .size:           4
        .value_kind:     by_value
    .group_segment_fixed_size: 2048
    .kernarg_segment_align: 8
    .kernarg_segment_size: 140
    .language:       OpenCL C
    .language_version:
      - 2
      - 0
    .max_flat_workgroup_size: 256
    .name:           _ZN12_GLOBAL__N_127rocblas_gemm_batched_kernelIfLi16ELi16ELi64ELi64ELi4ELi64ELi4ELi4ELi64ELc84ELc84EKfS1_fEEvlllT_PT11_llS4_llS2_PT12_llPT13_lli
    .private_segment_fixed_size: 0
    .sgpr_count:     40
    .sgpr_spill_count: 0
    .symbol:         _ZN12_GLOBAL__N_127rocblas_gemm_batched_kernelIfLi16ELi16ELi64ELi64ELi4ELi64ELi4ELi4ELi64ELc84ELc84EKfS1_fEEvlllT_PT11_llS4_llS2_PT12_llPT13_lli.kd
    .uniform_work_group_size: 1
    .uses_dynamic_stack: false
    .vgpr_count:     74
    .vgpr_spill_count: 0
    .wavefront_size: 32
  - .args:
      - .offset:         0
        .size:           8
        .value_kind:     by_value
      - .offset:         8
        .size:           8
        .value_kind:     by_value
      - .offset:         16
        .size:           8
        .value_kind:     by_value
      - .offset:         24
        .size:           4
        .value_kind:     by_value
      - .address_space:  global
        .offset:         32
        .size:           8
        .value_kind:     global_buffer
      - .offset:         40
        .size:           8
        .value_kind:     by_value
      - .offset:         48
        .size:           8
        .value_kind:     by_value
      - .address_space:  global
        .offset:         56
        .size:           8
        .value_kind:     global_buffer
      - .offset:         64
        .size:           8
        .value_kind:     by_value
      - .offset:         72
        .size:           8
        .value_kind:     by_value
      - .offset:         80
        .size:           4
        .value_kind:     by_value
      - .address_space:  global
        .offset:         88
        .size:           8
        .value_kind:     global_buffer
      - .offset:         96
        .size:           8
        .value_kind:     by_value
      - .offset:         104
        .size:           8
        .value_kind:     by_value
      - .address_space:  global
        .offset:         112
        .size:           8
        .value_kind:     global_buffer
      - .offset:         120
        .size:           8
        .value_kind:     by_value
      - .offset:         128
        .size:           8
        .value_kind:     by_value
      - .offset:         136
        .size:           4
        .value_kind:     by_value
    .group_segment_fixed_size: 2048
    .kernarg_segment_align: 8
    .kernarg_segment_size: 140
    .language:       OpenCL C
    .language_version:
      - 2
      - 0
    .max_flat_workgroup_size: 256
    .name:           _ZN12_GLOBAL__N_127rocblas_gemm_batched_kernelIfLi16ELi16ELi64ELi64ELi4ELi64ELi4ELi4ELi64ELc67ELc67EKfS1_fEEvlllT_PT11_llS4_llS2_PT12_llPT13_lli
    .private_segment_fixed_size: 0
    .sgpr_count:     40
    .sgpr_spill_count: 0
    .symbol:         _ZN12_GLOBAL__N_127rocblas_gemm_batched_kernelIfLi16ELi16ELi64ELi64ELi4ELi64ELi4ELi4ELi64ELc67ELc67EKfS1_fEEvlllT_PT11_llS4_llS2_PT12_llPT13_lli.kd
    .uniform_work_group_size: 1
    .uses_dynamic_stack: false
    .vgpr_count:     74
    .vgpr_spill_count: 0
    .wavefront_size: 32
  - .args:
      - .offset:         0
        .size:           8
        .value_kind:     by_value
      - .offset:         8
        .size:           8
        .value_kind:     by_value
      - .offset:         16
        .size:           8
        .value_kind:     by_value
      - .offset:         24
        .size:           4
        .value_kind:     by_value
      - .address_space:  global
        .offset:         32
        .size:           8
        .value_kind:     global_buffer
      - .offset:         40
        .size:           8
        .value_kind:     by_value
      - .offset:         48
        .size:           8
        .value_kind:     by_value
      - .address_space:  global
        .offset:         56
        .size:           8
        .value_kind:     global_buffer
      - .offset:         64
        .size:           8
        .value_kind:     by_value
      - .offset:         72
        .size:           8
        .value_kind:     by_value
      - .offset:         80
        .size:           4
        .value_kind:     by_value
      - .address_space:  global
        .offset:         88
        .size:           8
        .value_kind:     global_buffer
      - .offset:         96
        .size:           8
        .value_kind:     by_value
      - .offset:         104
        .size:           8
        .value_kind:     by_value
      - .address_space:  global
        .offset:         112
        .size:           8
        .value_kind:     global_buffer
      - .offset:         120
        .size:           8
        .value_kind:     by_value
      - .offset:         128
        .size:           8
        .value_kind:     by_value
      - .offset:         136
        .size:           4
        .value_kind:     by_value
    .group_segment_fixed_size: 2048
    .kernarg_segment_align: 8
    .kernarg_segment_size: 140
    .language:       OpenCL C
    .language_version:
      - 2
      - 0
    .max_flat_workgroup_size: 256
    .name:           _ZN12_GLOBAL__N_127rocblas_gemm_batched_kernelIfLi16ELi16ELi64ELi64ELi4ELi64ELi4ELi4ELi64ELc67ELc78EKfS1_fEEvlllT_PT11_llS4_llS2_PT12_llPT13_lli
    .private_segment_fixed_size: 0
    .sgpr_count:     40
    .sgpr_spill_count: 0
    .symbol:         _ZN12_GLOBAL__N_127rocblas_gemm_batched_kernelIfLi16ELi16ELi64ELi64ELi4ELi64ELi4ELi4ELi64ELc67ELc78EKfS1_fEEvlllT_PT11_llS4_llS2_PT12_llPT13_lli.kd
    .uniform_work_group_size: 1
    .uses_dynamic_stack: false
    .vgpr_count:     74
    .vgpr_spill_count: 0
    .wavefront_size: 32
  - .args:
      - .offset:         0
        .size:           8
        .value_kind:     by_value
      - .offset:         8
        .size:           8
        .value_kind:     by_value
      - .offset:         16
        .size:           8
        .value_kind:     by_value
      - .offset:         24
        .size:           4
        .value_kind:     by_value
      - .address_space:  global
        .offset:         32
        .size:           8
        .value_kind:     global_buffer
      - .offset:         40
        .size:           8
        .value_kind:     by_value
      - .offset:         48
        .size:           8
        .value_kind:     by_value
      - .address_space:  global
        .offset:         56
        .size:           8
        .value_kind:     global_buffer
      - .offset:         64
        .size:           8
        .value_kind:     by_value
      - .offset:         72
        .size:           8
        .value_kind:     by_value
      - .offset:         80
        .size:           4
        .value_kind:     by_value
      - .address_space:  global
        .offset:         88
        .size:           8
        .value_kind:     global_buffer
      - .offset:         96
        .size:           8
        .value_kind:     by_value
      - .offset:         104
        .size:           8
        .value_kind:     by_value
      - .address_space:  global
        .offset:         112
        .size:           8
        .value_kind:     global_buffer
      - .offset:         120
        .size:           8
        .value_kind:     by_value
      - .offset:         128
        .size:           8
        .value_kind:     by_value
      - .offset:         136
        .size:           4
        .value_kind:     by_value
    .group_segment_fixed_size: 2048
    .kernarg_segment_align: 8
    .kernarg_segment_size: 140
    .language:       OpenCL C
    .language_version:
      - 2
      - 0
    .max_flat_workgroup_size: 256
    .name:           _ZN12_GLOBAL__N_127rocblas_gemm_batched_kernelIfLi16ELi16ELi64ELi64ELi4ELi64ELi4ELi4ELi64ELc67ELc84EKfS1_fEEvlllT_PT11_llS4_llS2_PT12_llPT13_lli
    .private_segment_fixed_size: 0
    .sgpr_count:     40
    .sgpr_spill_count: 0
    .symbol:         _ZN12_GLOBAL__N_127rocblas_gemm_batched_kernelIfLi16ELi16ELi64ELi64ELi4ELi64ELi4ELi4ELi64ELc67ELc84EKfS1_fEEvlllT_PT11_llS4_llS2_PT12_llPT13_lli.kd
    .uniform_work_group_size: 1
    .uses_dynamic_stack: false
    .vgpr_count:     74
    .vgpr_spill_count: 0
    .wavefront_size: 32
  - .args:
      - .offset:         0
        .size:           8
        .value_kind:     by_value
      - .offset:         8
        .size:           8
        .value_kind:     by_value
      - .offset:         16
        .size:           8
        .value_kind:     by_value
      - .offset:         24
        .size:           4
        .value_kind:     by_value
      - .address_space:  global
        .offset:         32
        .size:           8
        .value_kind:     global_buffer
      - .offset:         40
        .size:           8
        .value_kind:     by_value
      - .offset:         48
        .size:           8
        .value_kind:     by_value
      - .address_space:  global
        .offset:         56
        .size:           8
        .value_kind:     global_buffer
      - .offset:         64
        .size:           8
        .value_kind:     by_value
      - .offset:         72
        .size:           8
        .value_kind:     by_value
      - .offset:         80
        .size:           4
        .value_kind:     by_value
      - .address_space:  global
        .offset:         88
        .size:           8
        .value_kind:     global_buffer
      - .offset:         96
        .size:           8
        .value_kind:     by_value
      - .offset:         104
        .size:           8
        .value_kind:     by_value
      - .address_space:  global
        .offset:         112
        .size:           8
        .value_kind:     global_buffer
      - .offset:         120
        .size:           8
        .value_kind:     by_value
      - .offset:         128
        .size:           8
        .value_kind:     by_value
      - .offset:         136
        .size:           4
        .value_kind:     by_value
    .group_segment_fixed_size: 2048
    .kernarg_segment_align: 8
    .kernarg_segment_size: 140
    .language:       OpenCL C
    .language_version:
      - 2
      - 0
    .max_flat_workgroup_size: 256
    .name:           _ZN12_GLOBAL__N_127rocblas_gemm_batched_kernelIfLi16ELi16ELi64ELi64ELi4ELi64ELi4ELi4ELi64ELc78ELc67EKfS1_fEEvlllT_PT11_llS4_llS2_PT12_llPT13_lli
    .private_segment_fixed_size: 0
    .sgpr_count:     40
    .sgpr_spill_count: 0
    .symbol:         _ZN12_GLOBAL__N_127rocblas_gemm_batched_kernelIfLi16ELi16ELi64ELi64ELi4ELi64ELi4ELi4ELi64ELc78ELc67EKfS1_fEEvlllT_PT11_llS4_llS2_PT12_llPT13_lli.kd
    .uniform_work_group_size: 1
    .uses_dynamic_stack: false
    .vgpr_count:     74
    .vgpr_spill_count: 0
    .wavefront_size: 32
  - .args:
      - .offset:         0
        .size:           8
        .value_kind:     by_value
      - .offset:         8
        .size:           8
        .value_kind:     by_value
      - .offset:         16
        .size:           8
        .value_kind:     by_value
      - .offset:         24
        .size:           4
        .value_kind:     by_value
      - .address_space:  global
        .offset:         32
        .size:           8
        .value_kind:     global_buffer
      - .offset:         40
        .size:           8
        .value_kind:     by_value
      - .offset:         48
        .size:           8
        .value_kind:     by_value
      - .address_space:  global
        .offset:         56
        .size:           8
        .value_kind:     global_buffer
      - .offset:         64
        .size:           8
        .value_kind:     by_value
      - .offset:         72
        .size:           8
        .value_kind:     by_value
      - .offset:         80
        .size:           4
        .value_kind:     by_value
      - .address_space:  global
        .offset:         88
        .size:           8
        .value_kind:     global_buffer
      - .offset:         96
        .size:           8
        .value_kind:     by_value
      - .offset:         104
        .size:           8
        .value_kind:     by_value
      - .address_space:  global
        .offset:         112
        .size:           8
        .value_kind:     global_buffer
      - .offset:         120
        .size:           8
        .value_kind:     by_value
      - .offset:         128
        .size:           8
        .value_kind:     by_value
      - .offset:         136
        .size:           4
        .value_kind:     by_value
    .group_segment_fixed_size: 2048
    .kernarg_segment_align: 8
    .kernarg_segment_size: 140
    .language:       OpenCL C
    .language_version:
      - 2
      - 0
    .max_flat_workgroup_size: 256
    .name:           _ZN12_GLOBAL__N_127rocblas_gemm_batched_kernelIfLi16ELi16ELi64ELi64ELi4ELi64ELi4ELi4ELi64ELc84ELc67EKfS1_fEEvlllT_PT11_llS4_llS2_PT12_llPT13_lli
    .private_segment_fixed_size: 0
    .sgpr_count:     40
    .sgpr_spill_count: 0
    .symbol:         _ZN12_GLOBAL__N_127rocblas_gemm_batched_kernelIfLi16ELi16ELi64ELi64ELi4ELi64ELi4ELi4ELi64ELc84ELc67EKfS1_fEEvlllT_PT11_llS4_llS2_PT12_llPT13_lli.kd
    .uniform_work_group_size: 1
    .uses_dynamic_stack: false
    .vgpr_count:     74
    .vgpr_spill_count: 0
    .wavefront_size: 32
  - .args:
      - .offset:         0
        .size:           8
        .value_kind:     by_value
      - .offset:         8
        .size:           8
        .value_kind:     by_value
      - .offset:         16
        .size:           8
        .value_kind:     by_value
      - .offset:         24
        .size:           4
        .value_kind:     by_value
      - .address_space:  global
        .offset:         32
        .size:           8
        .value_kind:     global_buffer
      - .offset:         40
        .size:           8
        .value_kind:     by_value
      - .offset:         48
        .size:           8
        .value_kind:     by_value
      - .address_space:  global
        .offset:         56
        .size:           8
        .value_kind:     global_buffer
      - .offset:         64
        .size:           8
        .value_kind:     by_value
      - .offset:         72
        .size:           8
        .value_kind:     by_value
      - .offset:         80
        .size:           4
        .value_kind:     by_value
      - .address_space:  global
        .offset:         88
        .size:           8
        .value_kind:     global_buffer
      - .offset:         96
        .size:           8
        .value_kind:     by_value
      - .offset:         104
        .size:           8
        .value_kind:     by_value
      - .address_space:  global
        .offset:         112
        .size:           8
        .value_kind:     global_buffer
      - .offset:         120
        .size:           8
        .value_kind:     by_value
      - .offset:         128
        .size:           8
        .value_kind:     by_value
      - .offset:         136
        .size:           4
        .value_kind:     by_value
    .group_segment_fixed_size: 2048
    .kernarg_segment_align: 8
    .kernarg_segment_size: 140
    .language:       OpenCL C
    .language_version:
      - 2
      - 0
    .max_flat_workgroup_size: 256
    .name:           _ZN12_GLOBAL__N_127rocblas_gemm_batched_kernelIfLi16ELi16ELi32ELi32ELi8ELi32ELi8ELi8ELi32ELc78ELc78EKfS1_fEEvlllT_PT11_llS4_llS2_PT12_llPT13_lli
    .private_segment_fixed_size: 0
    .sgpr_count:     38
    .sgpr_spill_count: 0
    .symbol:         _ZN12_GLOBAL__N_127rocblas_gemm_batched_kernelIfLi16ELi16ELi32ELi32ELi8ELi32ELi8ELi8ELi32ELc78ELc78EKfS1_fEEvlllT_PT11_llS4_llS2_PT12_llPT13_lli.kd
    .uniform_work_group_size: 1
    .uses_dynamic_stack: false
    .vgpr_count:     56
    .vgpr_spill_count: 0
    .wavefront_size: 32
  - .args:
      - .offset:         0
        .size:           8
        .value_kind:     by_value
      - .offset:         8
        .size:           8
        .value_kind:     by_value
      - .offset:         16
        .size:           8
        .value_kind:     by_value
      - .offset:         24
        .size:           4
        .value_kind:     by_value
      - .address_space:  global
        .offset:         32
        .size:           8
        .value_kind:     global_buffer
      - .offset:         40
        .size:           8
        .value_kind:     by_value
      - .offset:         48
        .size:           8
        .value_kind:     by_value
      - .address_space:  global
        .offset:         56
        .size:           8
        .value_kind:     global_buffer
      - .offset:         64
        .size:           8
        .value_kind:     by_value
      - .offset:         72
        .size:           8
        .value_kind:     by_value
      - .offset:         80
        .size:           4
        .value_kind:     by_value
      - .address_space:  global
        .offset:         88
        .size:           8
        .value_kind:     global_buffer
      - .offset:         96
        .size:           8
        .value_kind:     by_value
      - .offset:         104
        .size:           8
        .value_kind:     by_value
      - .address_space:  global
        .offset:         112
        .size:           8
        .value_kind:     global_buffer
      - .offset:         120
        .size:           8
        .value_kind:     by_value
      - .offset:         128
        .size:           8
        .value_kind:     by_value
      - .offset:         136
        .size:           4
        .value_kind:     by_value
    .group_segment_fixed_size: 2048
    .kernarg_segment_align: 8
    .kernarg_segment_size: 140
    .language:       OpenCL C
    .language_version:
      - 2
      - 0
    .max_flat_workgroup_size: 256
    .name:           _ZN12_GLOBAL__N_127rocblas_gemm_batched_kernelIfLi16ELi16ELi32ELi32ELi8ELi32ELi8ELi8ELi32ELc84ELc78EKfS1_fEEvlllT_PT11_llS4_llS2_PT12_llPT13_lli
    .private_segment_fixed_size: 0
    .sgpr_count:     40
    .sgpr_spill_count: 0
    .symbol:         _ZN12_GLOBAL__N_127rocblas_gemm_batched_kernelIfLi16ELi16ELi32ELi32ELi8ELi32ELi8ELi8ELi32ELc84ELc78EKfS1_fEEvlllT_PT11_llS4_llS2_PT12_llPT13_lli.kd
    .uniform_work_group_size: 1
    .uses_dynamic_stack: false
    .vgpr_count:     56
    .vgpr_spill_count: 0
    .wavefront_size: 32
  - .args:
      - .offset:         0
        .size:           8
        .value_kind:     by_value
      - .offset:         8
        .size:           8
        .value_kind:     by_value
      - .offset:         16
        .size:           8
        .value_kind:     by_value
      - .offset:         24
        .size:           4
        .value_kind:     by_value
      - .address_space:  global
        .offset:         32
        .size:           8
        .value_kind:     global_buffer
      - .offset:         40
        .size:           8
        .value_kind:     by_value
      - .offset:         48
        .size:           8
        .value_kind:     by_value
      - .address_space:  global
        .offset:         56
        .size:           8
        .value_kind:     global_buffer
      - .offset:         64
        .size:           8
        .value_kind:     by_value
      - .offset:         72
        .size:           8
        .value_kind:     by_value
      - .offset:         80
        .size:           4
        .value_kind:     by_value
      - .address_space:  global
        .offset:         88
        .size:           8
        .value_kind:     global_buffer
      - .offset:         96
        .size:           8
        .value_kind:     by_value
      - .offset:         104
        .size:           8
        .value_kind:     by_value
      - .address_space:  global
        .offset:         112
        .size:           8
        .value_kind:     global_buffer
      - .offset:         120
        .size:           8
        .value_kind:     by_value
      - .offset:         128
        .size:           8
        .value_kind:     by_value
      - .offset:         136
        .size:           4
        .value_kind:     by_value
    .group_segment_fixed_size: 2048
    .kernarg_segment_align: 8
    .kernarg_segment_size: 140
    .language:       OpenCL C
    .language_version:
      - 2
      - 0
    .max_flat_workgroup_size: 256
    .name:           _ZN12_GLOBAL__N_127rocblas_gemm_batched_kernelIfLi16ELi16ELi32ELi32ELi8ELi32ELi8ELi8ELi32ELc78ELc84EKfS1_fEEvlllT_PT11_llS4_llS2_PT12_llPT13_lli
    .private_segment_fixed_size: 0
    .sgpr_count:     40
    .sgpr_spill_count: 0
    .symbol:         _ZN12_GLOBAL__N_127rocblas_gemm_batched_kernelIfLi16ELi16ELi32ELi32ELi8ELi32ELi8ELi8ELi32ELc78ELc84EKfS1_fEEvlllT_PT11_llS4_llS2_PT12_llPT13_lli.kd
    .uniform_work_group_size: 1
    .uses_dynamic_stack: false
    .vgpr_count:     56
    .vgpr_spill_count: 0
    .wavefront_size: 32
  - .args:
      - .offset:         0
        .size:           8
        .value_kind:     by_value
      - .offset:         8
        .size:           8
        .value_kind:     by_value
      - .offset:         16
        .size:           8
        .value_kind:     by_value
      - .offset:         24
        .size:           4
        .value_kind:     by_value
      - .address_space:  global
        .offset:         32
        .size:           8
        .value_kind:     global_buffer
      - .offset:         40
        .size:           8
        .value_kind:     by_value
      - .offset:         48
        .size:           8
        .value_kind:     by_value
      - .address_space:  global
        .offset:         56
        .size:           8
        .value_kind:     global_buffer
      - .offset:         64
        .size:           8
        .value_kind:     by_value
      - .offset:         72
        .size:           8
        .value_kind:     by_value
      - .offset:         80
        .size:           4
        .value_kind:     by_value
      - .address_space:  global
        .offset:         88
        .size:           8
        .value_kind:     global_buffer
      - .offset:         96
        .size:           8
        .value_kind:     by_value
      - .offset:         104
        .size:           8
        .value_kind:     by_value
      - .address_space:  global
        .offset:         112
        .size:           8
        .value_kind:     global_buffer
      - .offset:         120
        .size:           8
        .value_kind:     by_value
      - .offset:         128
        .size:           8
        .value_kind:     by_value
      - .offset:         136
        .size:           4
        .value_kind:     by_value
    .group_segment_fixed_size: 2048
    .kernarg_segment_align: 8
    .kernarg_segment_size: 140
    .language:       OpenCL C
    .language_version:
      - 2
      - 0
    .max_flat_workgroup_size: 256
    .name:           _ZN12_GLOBAL__N_127rocblas_gemm_batched_kernelIfLi16ELi16ELi32ELi32ELi8ELi32ELi8ELi8ELi32ELc84ELc84EKfS1_fEEvlllT_PT11_llS4_llS2_PT12_llPT13_lli
    .private_segment_fixed_size: 0
    .sgpr_count:     40
    .sgpr_spill_count: 0
    .symbol:         _ZN12_GLOBAL__N_127rocblas_gemm_batched_kernelIfLi16ELi16ELi32ELi32ELi8ELi32ELi8ELi8ELi32ELc84ELc84EKfS1_fEEvlllT_PT11_llS4_llS2_PT12_llPT13_lli.kd
    .uniform_work_group_size: 1
    .uses_dynamic_stack: false
    .vgpr_count:     56
    .vgpr_spill_count: 0
    .wavefront_size: 32
  - .args:
      - .offset:         0
        .size:           8
        .value_kind:     by_value
      - .offset:         8
        .size:           8
        .value_kind:     by_value
      - .offset:         16
        .size:           8
        .value_kind:     by_value
      - .offset:         24
        .size:           4
        .value_kind:     by_value
      - .address_space:  global
        .offset:         32
        .size:           8
        .value_kind:     global_buffer
      - .offset:         40
        .size:           8
        .value_kind:     by_value
      - .offset:         48
        .size:           8
        .value_kind:     by_value
      - .address_space:  global
        .offset:         56
        .size:           8
        .value_kind:     global_buffer
      - .offset:         64
        .size:           8
        .value_kind:     by_value
      - .offset:         72
        .size:           8
        .value_kind:     by_value
      - .offset:         80
        .size:           4
        .value_kind:     by_value
      - .address_space:  global
        .offset:         88
        .size:           8
        .value_kind:     global_buffer
      - .offset:         96
        .size:           8
        .value_kind:     by_value
      - .offset:         104
        .size:           8
        .value_kind:     by_value
      - .address_space:  global
        .offset:         112
        .size:           8
        .value_kind:     global_buffer
      - .offset:         120
        .size:           8
        .value_kind:     by_value
      - .offset:         128
        .size:           8
        .value_kind:     by_value
      - .offset:         136
        .size:           4
        .value_kind:     by_value
    .group_segment_fixed_size: 2048
    .kernarg_segment_align: 8
    .kernarg_segment_size: 140
    .language:       OpenCL C
    .language_version:
      - 2
      - 0
    .max_flat_workgroup_size: 256
    .name:           _ZN12_GLOBAL__N_127rocblas_gemm_batched_kernelIfLi16ELi16ELi32ELi32ELi8ELi32ELi8ELi8ELi32ELc67ELc67EKfS1_fEEvlllT_PT11_llS4_llS2_PT12_llPT13_lli
    .private_segment_fixed_size: 0
    .sgpr_count:     40
    .sgpr_spill_count: 0
    .symbol:         _ZN12_GLOBAL__N_127rocblas_gemm_batched_kernelIfLi16ELi16ELi32ELi32ELi8ELi32ELi8ELi8ELi32ELc67ELc67EKfS1_fEEvlllT_PT11_llS4_llS2_PT12_llPT13_lli.kd
    .uniform_work_group_size: 1
    .uses_dynamic_stack: false
    .vgpr_count:     56
    .vgpr_spill_count: 0
    .wavefront_size: 32
  - .args:
      - .offset:         0
        .size:           8
        .value_kind:     by_value
      - .offset:         8
        .size:           8
        .value_kind:     by_value
      - .offset:         16
        .size:           8
        .value_kind:     by_value
      - .offset:         24
        .size:           4
        .value_kind:     by_value
      - .address_space:  global
        .offset:         32
        .size:           8
        .value_kind:     global_buffer
      - .offset:         40
        .size:           8
        .value_kind:     by_value
      - .offset:         48
        .size:           8
        .value_kind:     by_value
      - .address_space:  global
        .offset:         56
        .size:           8
        .value_kind:     global_buffer
      - .offset:         64
        .size:           8
        .value_kind:     by_value
      - .offset:         72
        .size:           8
        .value_kind:     by_value
      - .offset:         80
        .size:           4
        .value_kind:     by_value
      - .address_space:  global
        .offset:         88
        .size:           8
        .value_kind:     global_buffer
      - .offset:         96
        .size:           8
        .value_kind:     by_value
      - .offset:         104
        .size:           8
        .value_kind:     by_value
      - .address_space:  global
        .offset:         112
        .size:           8
        .value_kind:     global_buffer
      - .offset:         120
        .size:           8
        .value_kind:     by_value
      - .offset:         128
        .size:           8
        .value_kind:     by_value
      - .offset:         136
        .size:           4
        .value_kind:     by_value
    .group_segment_fixed_size: 2048
    .kernarg_segment_align: 8
    .kernarg_segment_size: 140
    .language:       OpenCL C
    .language_version:
      - 2
      - 0
    .max_flat_workgroup_size: 256
    .name:           _ZN12_GLOBAL__N_127rocblas_gemm_batched_kernelIfLi16ELi16ELi32ELi32ELi8ELi32ELi8ELi8ELi32ELc67ELc78EKfS1_fEEvlllT_PT11_llS4_llS2_PT12_llPT13_lli
    .private_segment_fixed_size: 0
    .sgpr_count:     40
    .sgpr_spill_count: 0
    .symbol:         _ZN12_GLOBAL__N_127rocblas_gemm_batched_kernelIfLi16ELi16ELi32ELi32ELi8ELi32ELi8ELi8ELi32ELc67ELc78EKfS1_fEEvlllT_PT11_llS4_llS2_PT12_llPT13_lli.kd
    .uniform_work_group_size: 1
    .uses_dynamic_stack: false
    .vgpr_count:     56
    .vgpr_spill_count: 0
    .wavefront_size: 32
  - .args:
      - .offset:         0
        .size:           8
        .value_kind:     by_value
      - .offset:         8
        .size:           8
        .value_kind:     by_value
      - .offset:         16
        .size:           8
        .value_kind:     by_value
      - .offset:         24
        .size:           4
        .value_kind:     by_value
      - .address_space:  global
        .offset:         32
        .size:           8
        .value_kind:     global_buffer
      - .offset:         40
        .size:           8
        .value_kind:     by_value
      - .offset:         48
        .size:           8
        .value_kind:     by_value
      - .address_space:  global
        .offset:         56
        .size:           8
        .value_kind:     global_buffer
      - .offset:         64
        .size:           8
        .value_kind:     by_value
      - .offset:         72
        .size:           8
        .value_kind:     by_value
      - .offset:         80
        .size:           4
        .value_kind:     by_value
      - .address_space:  global
        .offset:         88
        .size:           8
        .value_kind:     global_buffer
      - .offset:         96
        .size:           8
        .value_kind:     by_value
      - .offset:         104
        .size:           8
        .value_kind:     by_value
      - .address_space:  global
        .offset:         112
        .size:           8
        .value_kind:     global_buffer
      - .offset:         120
        .size:           8
        .value_kind:     by_value
      - .offset:         128
        .size:           8
        .value_kind:     by_value
      - .offset:         136
        .size:           4
        .value_kind:     by_value
    .group_segment_fixed_size: 2048
    .kernarg_segment_align: 8
    .kernarg_segment_size: 140
    .language:       OpenCL C
    .language_version:
      - 2
      - 0
    .max_flat_workgroup_size: 256
    .name:           _ZN12_GLOBAL__N_127rocblas_gemm_batched_kernelIfLi16ELi16ELi32ELi32ELi8ELi32ELi8ELi8ELi32ELc67ELc84EKfS1_fEEvlllT_PT11_llS4_llS2_PT12_llPT13_lli
    .private_segment_fixed_size: 0
    .sgpr_count:     40
    .sgpr_spill_count: 0
    .symbol:         _ZN12_GLOBAL__N_127rocblas_gemm_batched_kernelIfLi16ELi16ELi32ELi32ELi8ELi32ELi8ELi8ELi32ELc67ELc84EKfS1_fEEvlllT_PT11_llS4_llS2_PT12_llPT13_lli.kd
    .uniform_work_group_size: 1
    .uses_dynamic_stack: false
    .vgpr_count:     56
    .vgpr_spill_count: 0
    .wavefront_size: 32
  - .args:
      - .offset:         0
        .size:           8
        .value_kind:     by_value
      - .offset:         8
        .size:           8
        .value_kind:     by_value
      - .offset:         16
        .size:           8
        .value_kind:     by_value
      - .offset:         24
        .size:           4
        .value_kind:     by_value
      - .address_space:  global
        .offset:         32
        .size:           8
        .value_kind:     global_buffer
      - .offset:         40
        .size:           8
        .value_kind:     by_value
      - .offset:         48
        .size:           8
        .value_kind:     by_value
      - .address_space:  global
        .offset:         56
        .size:           8
        .value_kind:     global_buffer
      - .offset:         64
        .size:           8
        .value_kind:     by_value
      - .offset:         72
        .size:           8
        .value_kind:     by_value
      - .offset:         80
        .size:           4
        .value_kind:     by_value
      - .address_space:  global
        .offset:         88
        .size:           8
        .value_kind:     global_buffer
      - .offset:         96
        .size:           8
        .value_kind:     by_value
      - .offset:         104
        .size:           8
        .value_kind:     by_value
      - .address_space:  global
        .offset:         112
        .size:           8
        .value_kind:     global_buffer
      - .offset:         120
        .size:           8
        .value_kind:     by_value
      - .offset:         128
        .size:           8
        .value_kind:     by_value
      - .offset:         136
        .size:           4
        .value_kind:     by_value
    .group_segment_fixed_size: 2048
    .kernarg_segment_align: 8
    .kernarg_segment_size: 140
    .language:       OpenCL C
    .language_version:
      - 2
      - 0
    .max_flat_workgroup_size: 256
    .name:           _ZN12_GLOBAL__N_127rocblas_gemm_batched_kernelIfLi16ELi16ELi32ELi32ELi8ELi32ELi8ELi8ELi32ELc78ELc67EKfS1_fEEvlllT_PT11_llS4_llS2_PT12_llPT13_lli
    .private_segment_fixed_size: 0
    .sgpr_count:     40
    .sgpr_spill_count: 0
    .symbol:         _ZN12_GLOBAL__N_127rocblas_gemm_batched_kernelIfLi16ELi16ELi32ELi32ELi8ELi32ELi8ELi8ELi32ELc78ELc67EKfS1_fEEvlllT_PT11_llS4_llS2_PT12_llPT13_lli.kd
    .uniform_work_group_size: 1
    .uses_dynamic_stack: false
    .vgpr_count:     56
    .vgpr_spill_count: 0
    .wavefront_size: 32
  - .args:
      - .offset:         0
        .size:           8
        .value_kind:     by_value
      - .offset:         8
        .size:           8
        .value_kind:     by_value
      - .offset:         16
        .size:           8
        .value_kind:     by_value
      - .offset:         24
        .size:           4
        .value_kind:     by_value
      - .address_space:  global
        .offset:         32
        .size:           8
        .value_kind:     global_buffer
      - .offset:         40
        .size:           8
        .value_kind:     by_value
      - .offset:         48
        .size:           8
        .value_kind:     by_value
      - .address_space:  global
        .offset:         56
        .size:           8
        .value_kind:     global_buffer
      - .offset:         64
        .size:           8
        .value_kind:     by_value
      - .offset:         72
        .size:           8
        .value_kind:     by_value
      - .offset:         80
        .size:           4
        .value_kind:     by_value
      - .address_space:  global
        .offset:         88
        .size:           8
        .value_kind:     global_buffer
      - .offset:         96
        .size:           8
        .value_kind:     by_value
      - .offset:         104
        .size:           8
        .value_kind:     by_value
      - .address_space:  global
        .offset:         112
        .size:           8
        .value_kind:     global_buffer
      - .offset:         120
        .size:           8
        .value_kind:     by_value
      - .offset:         128
        .size:           8
        .value_kind:     by_value
      - .offset:         136
        .size:           4
        .value_kind:     by_value
    .group_segment_fixed_size: 2048
    .kernarg_segment_align: 8
    .kernarg_segment_size: 140
    .language:       OpenCL C
    .language_version:
      - 2
      - 0
    .max_flat_workgroup_size: 256
    .name:           _ZN12_GLOBAL__N_127rocblas_gemm_batched_kernelIfLi16ELi16ELi32ELi32ELi8ELi32ELi8ELi8ELi32ELc84ELc67EKfS1_fEEvlllT_PT11_llS4_llS2_PT12_llPT13_lli
    .private_segment_fixed_size: 0
    .sgpr_count:     40
    .sgpr_spill_count: 0
    .symbol:         _ZN12_GLOBAL__N_127rocblas_gemm_batched_kernelIfLi16ELi16ELi32ELi32ELi8ELi32ELi8ELi8ELi32ELc84ELc67EKfS1_fEEvlllT_PT11_llS4_llS2_PT12_llPT13_lli.kd
    .uniform_work_group_size: 1
    .uses_dynamic_stack: false
    .vgpr_count:     56
    .vgpr_spill_count: 0
    .wavefront_size: 32
  - .args:
      - .offset:         0
        .size:           8
        .value_kind:     by_value
      - .offset:         8
        .size:           8
        .value_kind:     by_value
      - .offset:         16
        .size:           8
        .value_kind:     by_value
      - .offset:         24
        .size:           4
        .value_kind:     by_value
      - .address_space:  global
        .offset:         32
        .size:           8
        .value_kind:     global_buffer
      - .offset:         40
        .size:           8
        .value_kind:     by_value
      - .offset:         48
        .size:           8
        .value_kind:     by_value
      - .address_space:  global
        .offset:         56
        .size:           8
        .value_kind:     global_buffer
      - .offset:         64
        .size:           8
        .value_kind:     by_value
      - .offset:         72
        .size:           8
        .value_kind:     by_value
      - .offset:         80
        .size:           4
        .value_kind:     by_value
      - .address_space:  global
        .offset:         88
        .size:           8
        .value_kind:     global_buffer
      - .offset:         96
        .size:           8
        .value_kind:     by_value
      - .offset:         104
        .size:           8
        .value_kind:     by_value
      - .address_space:  global
        .offset:         112
        .size:           8
        .value_kind:     global_buffer
      - .offset:         120
        .size:           8
        .value_kind:     by_value
      - .offset:         128
        .size:           8
        .value_kind:     by_value
      - .offset:         136
        .size:           4
        .value_kind:     by_value
    .group_segment_fixed_size: 2048
    .kernarg_segment_align: 8
    .kernarg_segment_size: 140
    .language:       OpenCL C
    .language_version:
      - 2
      - 0
    .max_flat_workgroup_size: 256
    .name:           _ZN12_GLOBAL__N_135rocblas_gemm_batched_general_kernelIfLi16ELi16ELi32ELi32ELi8ELi32ELi8ELi8ELi32ELc78ELc78EKfS1_fEEvlllT_PT11_llS4_llS2_PT12_llPT13_lli
    .private_segment_fixed_size: 0
    .sgpr_count:     46
    .sgpr_spill_count: 0
    .symbol:         _ZN12_GLOBAL__N_135rocblas_gemm_batched_general_kernelIfLi16ELi16ELi32ELi32ELi8ELi32ELi8ELi8ELi32ELc78ELc78EKfS1_fEEvlllT_PT11_llS4_llS2_PT12_llPT13_lli.kd
    .uniform_work_group_size: 1
    .uses_dynamic_stack: false
    .vgpr_count:     52
    .vgpr_spill_count: 0
    .wavefront_size: 32
  - .args:
      - .offset:         0
        .size:           8
        .value_kind:     by_value
      - .offset:         8
        .size:           8
        .value_kind:     by_value
      - .offset:         16
        .size:           8
        .value_kind:     by_value
      - .offset:         24
        .size:           4
        .value_kind:     by_value
      - .address_space:  global
        .offset:         32
        .size:           8
        .value_kind:     global_buffer
      - .offset:         40
        .size:           8
        .value_kind:     by_value
      - .offset:         48
        .size:           8
        .value_kind:     by_value
      - .address_space:  global
        .offset:         56
        .size:           8
        .value_kind:     global_buffer
      - .offset:         64
        .size:           8
        .value_kind:     by_value
      - .offset:         72
        .size:           8
        .value_kind:     by_value
      - .offset:         80
        .size:           4
        .value_kind:     by_value
      - .address_space:  global
        .offset:         88
        .size:           8
        .value_kind:     global_buffer
      - .offset:         96
        .size:           8
        .value_kind:     by_value
      - .offset:         104
        .size:           8
        .value_kind:     by_value
      - .address_space:  global
        .offset:         112
        .size:           8
        .value_kind:     global_buffer
      - .offset:         120
        .size:           8
        .value_kind:     by_value
      - .offset:         128
        .size:           8
        .value_kind:     by_value
      - .offset:         136
        .size:           4
        .value_kind:     by_value
    .group_segment_fixed_size: 2048
    .kernarg_segment_align: 8
    .kernarg_segment_size: 140
    .language:       OpenCL C
    .language_version:
      - 2
      - 0
    .max_flat_workgroup_size: 256
    .name:           _ZN12_GLOBAL__N_135rocblas_gemm_batched_general_kernelIfLi16ELi16ELi32ELi32ELi8ELi32ELi8ELi8ELi32ELc84ELc78EKfS1_fEEvlllT_PT11_llS4_llS2_PT12_llPT13_lli
    .private_segment_fixed_size: 0
    .sgpr_count:     44
    .sgpr_spill_count: 0
    .symbol:         _ZN12_GLOBAL__N_135rocblas_gemm_batched_general_kernelIfLi16ELi16ELi32ELi32ELi8ELi32ELi8ELi8ELi32ELc84ELc78EKfS1_fEEvlllT_PT11_llS4_llS2_PT12_llPT13_lli.kd
    .uniform_work_group_size: 1
    .uses_dynamic_stack: false
    .vgpr_count:     52
    .vgpr_spill_count: 0
    .wavefront_size: 32
  - .args:
      - .offset:         0
        .size:           8
        .value_kind:     by_value
      - .offset:         8
        .size:           8
        .value_kind:     by_value
      - .offset:         16
        .size:           8
        .value_kind:     by_value
      - .offset:         24
        .size:           4
        .value_kind:     by_value
      - .address_space:  global
        .offset:         32
        .size:           8
        .value_kind:     global_buffer
      - .offset:         40
        .size:           8
        .value_kind:     by_value
      - .offset:         48
        .size:           8
        .value_kind:     by_value
      - .address_space:  global
        .offset:         56
        .size:           8
        .value_kind:     global_buffer
      - .offset:         64
        .size:           8
        .value_kind:     by_value
      - .offset:         72
        .size:           8
        .value_kind:     by_value
      - .offset:         80
        .size:           4
        .value_kind:     by_value
      - .address_space:  global
        .offset:         88
        .size:           8
        .value_kind:     global_buffer
      - .offset:         96
        .size:           8
        .value_kind:     by_value
      - .offset:         104
        .size:           8
        .value_kind:     by_value
      - .address_space:  global
        .offset:         112
        .size:           8
        .value_kind:     global_buffer
      - .offset:         120
        .size:           8
        .value_kind:     by_value
      - .offset:         128
        .size:           8
        .value_kind:     by_value
      - .offset:         136
        .size:           4
        .value_kind:     by_value
    .group_segment_fixed_size: 2048
    .kernarg_segment_align: 8
    .kernarg_segment_size: 140
    .language:       OpenCL C
    .language_version:
      - 2
      - 0
    .max_flat_workgroup_size: 256
    .name:           _ZN12_GLOBAL__N_135rocblas_gemm_batched_general_kernelIfLi16ELi16ELi32ELi32ELi8ELi32ELi8ELi8ELi32ELc78ELc84EKfS1_fEEvlllT_PT11_llS4_llS2_PT12_llPT13_lli
    .private_segment_fixed_size: 0
    .sgpr_count:     48
    .sgpr_spill_count: 0
    .symbol:         _ZN12_GLOBAL__N_135rocblas_gemm_batched_general_kernelIfLi16ELi16ELi32ELi32ELi8ELi32ELi8ELi8ELi32ELc78ELc84EKfS1_fEEvlllT_PT11_llS4_llS2_PT12_llPT13_lli.kd
    .uniform_work_group_size: 1
    .uses_dynamic_stack: false
    .vgpr_count:     52
    .vgpr_spill_count: 0
    .wavefront_size: 32
  - .args:
      - .offset:         0
        .size:           8
        .value_kind:     by_value
      - .offset:         8
        .size:           8
        .value_kind:     by_value
      - .offset:         16
        .size:           8
        .value_kind:     by_value
      - .offset:         24
        .size:           4
        .value_kind:     by_value
      - .address_space:  global
        .offset:         32
        .size:           8
        .value_kind:     global_buffer
      - .offset:         40
        .size:           8
        .value_kind:     by_value
      - .offset:         48
        .size:           8
        .value_kind:     by_value
      - .address_space:  global
        .offset:         56
        .size:           8
        .value_kind:     global_buffer
      - .offset:         64
        .size:           8
        .value_kind:     by_value
      - .offset:         72
        .size:           8
        .value_kind:     by_value
      - .offset:         80
        .size:           4
        .value_kind:     by_value
      - .address_space:  global
        .offset:         88
        .size:           8
        .value_kind:     global_buffer
      - .offset:         96
        .size:           8
        .value_kind:     by_value
      - .offset:         104
        .size:           8
        .value_kind:     by_value
      - .address_space:  global
        .offset:         112
        .size:           8
        .value_kind:     global_buffer
      - .offset:         120
        .size:           8
        .value_kind:     by_value
      - .offset:         128
        .size:           8
        .value_kind:     by_value
      - .offset:         136
        .size:           4
        .value_kind:     by_value
    .group_segment_fixed_size: 2048
    .kernarg_segment_align: 8
    .kernarg_segment_size: 140
    .language:       OpenCL C
    .language_version:
      - 2
      - 0
    .max_flat_workgroup_size: 256
    .name:           _ZN12_GLOBAL__N_135rocblas_gemm_batched_general_kernelIfLi16ELi16ELi32ELi32ELi8ELi32ELi8ELi8ELi32ELc84ELc84EKfS1_fEEvlllT_PT11_llS4_llS2_PT12_llPT13_lli
    .private_segment_fixed_size: 0
    .sgpr_count:     46
    .sgpr_spill_count: 0
    .symbol:         _ZN12_GLOBAL__N_135rocblas_gemm_batched_general_kernelIfLi16ELi16ELi32ELi32ELi8ELi32ELi8ELi8ELi32ELc84ELc84EKfS1_fEEvlllT_PT11_llS4_llS2_PT12_llPT13_lli.kd
    .uniform_work_group_size: 1
    .uses_dynamic_stack: false
    .vgpr_count:     52
    .vgpr_spill_count: 0
    .wavefront_size: 32
  - .args:
      - .offset:         0
        .size:           8
        .value_kind:     by_value
      - .offset:         8
        .size:           8
        .value_kind:     by_value
      - .offset:         16
        .size:           8
        .value_kind:     by_value
      - .offset:         24
        .size:           4
        .value_kind:     by_value
      - .address_space:  global
        .offset:         32
        .size:           8
        .value_kind:     global_buffer
      - .offset:         40
        .size:           8
        .value_kind:     by_value
      - .offset:         48
        .size:           8
        .value_kind:     by_value
      - .address_space:  global
        .offset:         56
        .size:           8
        .value_kind:     global_buffer
      - .offset:         64
        .size:           8
        .value_kind:     by_value
      - .offset:         72
        .size:           8
        .value_kind:     by_value
      - .offset:         80
        .size:           4
        .value_kind:     by_value
      - .address_space:  global
        .offset:         88
        .size:           8
        .value_kind:     global_buffer
      - .offset:         96
        .size:           8
        .value_kind:     by_value
      - .offset:         104
        .size:           8
        .value_kind:     by_value
      - .address_space:  global
        .offset:         112
        .size:           8
        .value_kind:     global_buffer
      - .offset:         120
        .size:           8
        .value_kind:     by_value
      - .offset:         128
        .size:           8
        .value_kind:     by_value
      - .offset:         136
        .size:           4
        .value_kind:     by_value
    .group_segment_fixed_size: 2048
    .kernarg_segment_align: 8
    .kernarg_segment_size: 140
    .language:       OpenCL C
    .language_version:
      - 2
      - 0
    .max_flat_workgroup_size: 256
    .name:           _ZN12_GLOBAL__N_135rocblas_gemm_batched_general_kernelIfLi16ELi16ELi32ELi32ELi8ELi32ELi8ELi8ELi32ELc67ELc67EKfS1_fEEvlllT_PT11_llS4_llS2_PT12_llPT13_lli
    .private_segment_fixed_size: 0
    .sgpr_count:     46
    .sgpr_spill_count: 0
    .symbol:         _ZN12_GLOBAL__N_135rocblas_gemm_batched_general_kernelIfLi16ELi16ELi32ELi32ELi8ELi32ELi8ELi8ELi32ELc67ELc67EKfS1_fEEvlllT_PT11_llS4_llS2_PT12_llPT13_lli.kd
    .uniform_work_group_size: 1
    .uses_dynamic_stack: false
    .vgpr_count:     52
    .vgpr_spill_count: 0
    .wavefront_size: 32
  - .args:
      - .offset:         0
        .size:           8
        .value_kind:     by_value
      - .offset:         8
        .size:           8
        .value_kind:     by_value
      - .offset:         16
        .size:           8
        .value_kind:     by_value
      - .offset:         24
        .size:           4
        .value_kind:     by_value
      - .address_space:  global
        .offset:         32
        .size:           8
        .value_kind:     global_buffer
      - .offset:         40
        .size:           8
        .value_kind:     by_value
      - .offset:         48
        .size:           8
        .value_kind:     by_value
      - .address_space:  global
        .offset:         56
        .size:           8
        .value_kind:     global_buffer
      - .offset:         64
        .size:           8
        .value_kind:     by_value
      - .offset:         72
        .size:           8
        .value_kind:     by_value
      - .offset:         80
        .size:           4
        .value_kind:     by_value
      - .address_space:  global
        .offset:         88
        .size:           8
        .value_kind:     global_buffer
      - .offset:         96
        .size:           8
        .value_kind:     by_value
      - .offset:         104
        .size:           8
        .value_kind:     by_value
      - .address_space:  global
        .offset:         112
        .size:           8
        .value_kind:     global_buffer
      - .offset:         120
        .size:           8
        .value_kind:     by_value
      - .offset:         128
        .size:           8
        .value_kind:     by_value
      - .offset:         136
        .size:           4
        .value_kind:     by_value
    .group_segment_fixed_size: 2048
    .kernarg_segment_align: 8
    .kernarg_segment_size: 140
    .language:       OpenCL C
    .language_version:
      - 2
      - 0
    .max_flat_workgroup_size: 256
    .name:           _ZN12_GLOBAL__N_135rocblas_gemm_batched_general_kernelIfLi16ELi16ELi32ELi32ELi8ELi32ELi8ELi8ELi32ELc67ELc78EKfS1_fEEvlllT_PT11_llS4_llS2_PT12_llPT13_lli
    .private_segment_fixed_size: 0
    .sgpr_count:     44
    .sgpr_spill_count: 0
    .symbol:         _ZN12_GLOBAL__N_135rocblas_gemm_batched_general_kernelIfLi16ELi16ELi32ELi32ELi8ELi32ELi8ELi8ELi32ELc67ELc78EKfS1_fEEvlllT_PT11_llS4_llS2_PT12_llPT13_lli.kd
    .uniform_work_group_size: 1
    .uses_dynamic_stack: false
    .vgpr_count:     52
    .vgpr_spill_count: 0
    .wavefront_size: 32
  - .args:
      - .offset:         0
        .size:           8
        .value_kind:     by_value
      - .offset:         8
        .size:           8
        .value_kind:     by_value
      - .offset:         16
        .size:           8
        .value_kind:     by_value
      - .offset:         24
        .size:           4
        .value_kind:     by_value
      - .address_space:  global
        .offset:         32
        .size:           8
        .value_kind:     global_buffer
      - .offset:         40
        .size:           8
        .value_kind:     by_value
      - .offset:         48
        .size:           8
        .value_kind:     by_value
      - .address_space:  global
        .offset:         56
        .size:           8
        .value_kind:     global_buffer
      - .offset:         64
        .size:           8
        .value_kind:     by_value
      - .offset:         72
        .size:           8
        .value_kind:     by_value
      - .offset:         80
        .size:           4
        .value_kind:     by_value
      - .address_space:  global
        .offset:         88
        .size:           8
        .value_kind:     global_buffer
      - .offset:         96
        .size:           8
        .value_kind:     by_value
      - .offset:         104
        .size:           8
        .value_kind:     by_value
      - .address_space:  global
        .offset:         112
        .size:           8
        .value_kind:     global_buffer
      - .offset:         120
        .size:           8
        .value_kind:     by_value
      - .offset:         128
        .size:           8
        .value_kind:     by_value
      - .offset:         136
        .size:           4
        .value_kind:     by_value
    .group_segment_fixed_size: 2048
    .kernarg_segment_align: 8
    .kernarg_segment_size: 140
    .language:       OpenCL C
    .language_version:
      - 2
      - 0
    .max_flat_workgroup_size: 256
    .name:           _ZN12_GLOBAL__N_135rocblas_gemm_batched_general_kernelIfLi16ELi16ELi32ELi32ELi8ELi32ELi8ELi8ELi32ELc67ELc84EKfS1_fEEvlllT_PT11_llS4_llS2_PT12_llPT13_lli
    .private_segment_fixed_size: 0
    .sgpr_count:     46
    .sgpr_spill_count: 0
    .symbol:         _ZN12_GLOBAL__N_135rocblas_gemm_batched_general_kernelIfLi16ELi16ELi32ELi32ELi8ELi32ELi8ELi8ELi32ELc67ELc84EKfS1_fEEvlllT_PT11_llS4_llS2_PT12_llPT13_lli.kd
    .uniform_work_group_size: 1
    .uses_dynamic_stack: false
    .vgpr_count:     52
    .vgpr_spill_count: 0
    .wavefront_size: 32
  - .args:
      - .offset:         0
        .size:           8
        .value_kind:     by_value
      - .offset:         8
        .size:           8
        .value_kind:     by_value
      - .offset:         16
        .size:           8
        .value_kind:     by_value
      - .offset:         24
        .size:           4
        .value_kind:     by_value
      - .address_space:  global
        .offset:         32
        .size:           8
        .value_kind:     global_buffer
      - .offset:         40
        .size:           8
        .value_kind:     by_value
      - .offset:         48
        .size:           8
        .value_kind:     by_value
      - .address_space:  global
        .offset:         56
        .size:           8
        .value_kind:     global_buffer
      - .offset:         64
        .size:           8
        .value_kind:     by_value
      - .offset:         72
        .size:           8
        .value_kind:     by_value
      - .offset:         80
        .size:           4
        .value_kind:     by_value
      - .address_space:  global
        .offset:         88
        .size:           8
        .value_kind:     global_buffer
      - .offset:         96
        .size:           8
        .value_kind:     by_value
      - .offset:         104
        .size:           8
        .value_kind:     by_value
      - .address_space:  global
        .offset:         112
        .size:           8
        .value_kind:     global_buffer
      - .offset:         120
        .size:           8
        .value_kind:     by_value
      - .offset:         128
        .size:           8
        .value_kind:     by_value
      - .offset:         136
        .size:           4
        .value_kind:     by_value
    .group_segment_fixed_size: 2048
    .kernarg_segment_align: 8
    .kernarg_segment_size: 140
    .language:       OpenCL C
    .language_version:
      - 2
      - 0
    .max_flat_workgroup_size: 256
    .name:           _ZN12_GLOBAL__N_135rocblas_gemm_batched_general_kernelIfLi16ELi16ELi32ELi32ELi8ELi32ELi8ELi8ELi32ELc78ELc67EKfS1_fEEvlllT_PT11_llS4_llS2_PT12_llPT13_lli
    .private_segment_fixed_size: 0
    .sgpr_count:     48
    .sgpr_spill_count: 0
    .symbol:         _ZN12_GLOBAL__N_135rocblas_gemm_batched_general_kernelIfLi16ELi16ELi32ELi32ELi8ELi32ELi8ELi8ELi32ELc78ELc67EKfS1_fEEvlllT_PT11_llS4_llS2_PT12_llPT13_lli.kd
    .uniform_work_group_size: 1
    .uses_dynamic_stack: false
    .vgpr_count:     52
    .vgpr_spill_count: 0
    .wavefront_size: 32
  - .args:
      - .offset:         0
        .size:           8
        .value_kind:     by_value
      - .offset:         8
        .size:           8
        .value_kind:     by_value
      - .offset:         16
        .size:           8
        .value_kind:     by_value
      - .offset:         24
        .size:           4
        .value_kind:     by_value
      - .address_space:  global
        .offset:         32
        .size:           8
        .value_kind:     global_buffer
      - .offset:         40
        .size:           8
        .value_kind:     by_value
      - .offset:         48
        .size:           8
        .value_kind:     by_value
      - .address_space:  global
        .offset:         56
        .size:           8
        .value_kind:     global_buffer
      - .offset:         64
        .size:           8
        .value_kind:     by_value
      - .offset:         72
        .size:           8
        .value_kind:     by_value
      - .offset:         80
        .size:           4
        .value_kind:     by_value
      - .address_space:  global
        .offset:         88
        .size:           8
        .value_kind:     global_buffer
      - .offset:         96
        .size:           8
        .value_kind:     by_value
      - .offset:         104
        .size:           8
        .value_kind:     by_value
      - .address_space:  global
        .offset:         112
        .size:           8
        .value_kind:     global_buffer
      - .offset:         120
        .size:           8
        .value_kind:     by_value
      - .offset:         128
        .size:           8
        .value_kind:     by_value
      - .offset:         136
        .size:           4
        .value_kind:     by_value
    .group_segment_fixed_size: 2048
    .kernarg_segment_align: 8
    .kernarg_segment_size: 140
    .language:       OpenCL C
    .language_version:
      - 2
      - 0
    .max_flat_workgroup_size: 256
    .name:           _ZN12_GLOBAL__N_135rocblas_gemm_batched_general_kernelIfLi16ELi16ELi32ELi32ELi8ELi32ELi8ELi8ELi32ELc84ELc67EKfS1_fEEvlllT_PT11_llS4_llS2_PT12_llPT13_lli
    .private_segment_fixed_size: 0
    .sgpr_count:     46
    .sgpr_spill_count: 0
    .symbol:         _ZN12_GLOBAL__N_135rocblas_gemm_batched_general_kernelIfLi16ELi16ELi32ELi32ELi8ELi32ELi8ELi8ELi32ELc84ELc67EKfS1_fEEvlllT_PT11_llS4_llS2_PT12_llPT13_lli.kd
    .uniform_work_group_size: 1
    .uses_dynamic_stack: false
    .vgpr_count:     52
    .vgpr_spill_count: 0
    .wavefront_size: 32
  - .args:
      - .offset:         0
        .size:           4
        .value_kind:     by_value
      - .offset:         4
        .size:           4
        .value_kind:     by_value
      - .offset:         8
        .size:           2
        .value_kind:     by_value
      - .address_space:  global
        .offset:         16
        .size:           8
        .value_kind:     global_buffer
      - .offset:         24
        .size:           8
        .value_kind:     by_value
      - .offset:         32
        .size:           8
        .value_kind:     by_value
      - .offset:         40
        .size:           8
        .value_kind:     by_value
      - .address_space:  global
        .offset:         48
        .size:           8
        .value_kind:     global_buffer
      - .offset:         56
        .size:           8
        .value_kind:     by_value
      - .offset:         64
        .size:           8
        .value_kind:     by_value
      - .offset:         72
        .size:           8
        .value_kind:     by_value
      - .offset:         80
        .size:           4
        .value_kind:     by_value
    .group_segment_fixed_size: 0
    .kernarg_segment_align: 8
    .kernarg_segment_size: 84
    .language:       OpenCL C
    .language_version:
      - 2
      - 0
    .max_flat_workgroup_size: 1024
    .name:           _ZN12_GLOBAL__N_120gemm_ex_scale_kernelILi32ELi32EDF16_PKDF16_PDF16_EEviiT1_T2_lllT3_llli
    .private_segment_fixed_size: 0
    .sgpr_count:     29
    .sgpr_spill_count: 0
    .symbol:         _ZN12_GLOBAL__N_120gemm_ex_scale_kernelILi32ELi32EDF16_PKDF16_PDF16_EEviiT1_T2_lllT3_llli.kd
    .uniform_work_group_size: 1
    .uses_dynamic_stack: false
    .vgpr_count:     8
    .vgpr_spill_count: 0
    .wavefront_size: 32
  - .args:
      - .offset:         0
        .size:           8
        .value_kind:     by_value
      - .offset:         8
        .size:           8
        .value_kind:     by_value
      - .offset:         16
        .size:           8
        .value_kind:     by_value
      - .offset:         24
        .size:           2
        .value_kind:     by_value
      - .address_space:  global
        .offset:         32
        .size:           8
        .value_kind:     global_buffer
      - .offset:         40
        .size:           8
        .value_kind:     by_value
      - .offset:         48
        .size:           8
        .value_kind:     by_value
      - .address_space:  global
        .offset:         56
        .size:           8
        .value_kind:     global_buffer
      - .offset:         64
        .size:           8
        .value_kind:     by_value
      - .offset:         72
        .size:           8
        .value_kind:     by_value
      - .offset:         80
        .size:           2
        .value_kind:     by_value
      - .address_space:  global
        .offset:         88
        .size:           8
        .value_kind:     global_buffer
      - .offset:         96
        .size:           8
        .value_kind:     by_value
      - .offset:         104
        .size:           8
        .value_kind:     by_value
      - .address_space:  global
        .offset:         112
        .size:           8
        .value_kind:     global_buffer
      - .offset:         120
        .size:           8
        .value_kind:     by_value
      - .offset:         128
        .size:           8
        .value_kind:     by_value
      - .offset:         136
        .size:           4
        .value_kind:     by_value
    .group_segment_fixed_size: 1024
    .kernarg_segment_align: 8
    .kernarg_segment_size: 140
    .language:       OpenCL C
    .language_version:
      - 2
      - 0
    .max_flat_workgroup_size: 256
    .name:           _ZN12_GLOBAL__N_127rocblas_gemm_batched_kernelIDF16_Li16ELi16ELi64ELi64ELi4ELi64ELi4ELi4ELi64ELc78ELc78EKDF16_S1_DF16_EEvlllT_PT11_llS4_llS2_PT12_llPT13_lli
    .private_segment_fixed_size: 0
    .sgpr_count:     38
    .sgpr_spill_count: 0
    .symbol:         _ZN12_GLOBAL__N_127rocblas_gemm_batched_kernelIDF16_Li16ELi16ELi64ELi64ELi4ELi64ELi4ELi4ELi64ELc78ELc78EKDF16_S1_DF16_EEvlllT_PT11_llS4_llS2_PT12_llPT13_lli.kd
    .uniform_work_group_size: 1
    .uses_dynamic_stack: false
    .vgpr_count:     50
    .vgpr_spill_count: 0
    .wavefront_size: 32
  - .args:
      - .offset:         0
        .size:           8
        .value_kind:     by_value
      - .offset:         8
        .size:           8
        .value_kind:     by_value
      - .offset:         16
        .size:           8
        .value_kind:     by_value
      - .offset:         24
        .size:           2
        .value_kind:     by_value
      - .address_space:  global
        .offset:         32
        .size:           8
        .value_kind:     global_buffer
      - .offset:         40
        .size:           8
        .value_kind:     by_value
      - .offset:         48
        .size:           8
        .value_kind:     by_value
      - .address_space:  global
        .offset:         56
        .size:           8
        .value_kind:     global_buffer
      - .offset:         64
        .size:           8
        .value_kind:     by_value
      - .offset:         72
        .size:           8
        .value_kind:     by_value
      - .offset:         80
        .size:           2
        .value_kind:     by_value
      - .address_space:  global
        .offset:         88
        .size:           8
        .value_kind:     global_buffer
      - .offset:         96
        .size:           8
        .value_kind:     by_value
      - .offset:         104
        .size:           8
        .value_kind:     by_value
      - .address_space:  global
        .offset:         112
        .size:           8
        .value_kind:     global_buffer
      - .offset:         120
        .size:           8
        .value_kind:     by_value
      - .offset:         128
        .size:           8
        .value_kind:     by_value
      - .offset:         136
        .size:           4
        .value_kind:     by_value
    .group_segment_fixed_size: 1024
    .kernarg_segment_align: 8
    .kernarg_segment_size: 140
    .language:       OpenCL C
    .language_version:
      - 2
      - 0
    .max_flat_workgroup_size: 256
    .name:           _ZN12_GLOBAL__N_127rocblas_gemm_batched_kernelIDF16_Li16ELi16ELi64ELi64ELi4ELi64ELi4ELi4ELi64ELc84ELc78EKDF16_S1_DF16_EEvlllT_PT11_llS4_llS2_PT12_llPT13_lli
    .private_segment_fixed_size: 0
    .sgpr_count:     40
    .sgpr_spill_count: 0
    .symbol:         _ZN12_GLOBAL__N_127rocblas_gemm_batched_kernelIDF16_Li16ELi16ELi64ELi64ELi4ELi64ELi4ELi4ELi64ELc84ELc78EKDF16_S1_DF16_EEvlllT_PT11_llS4_llS2_PT12_llPT13_lli.kd
    .uniform_work_group_size: 1
    .uses_dynamic_stack: false
    .vgpr_count:     50
    .vgpr_spill_count: 0
    .wavefront_size: 32
  - .args:
      - .offset:         0
        .size:           8
        .value_kind:     by_value
      - .offset:         8
        .size:           8
        .value_kind:     by_value
      - .offset:         16
        .size:           8
        .value_kind:     by_value
      - .offset:         24
        .size:           2
        .value_kind:     by_value
      - .address_space:  global
        .offset:         32
        .size:           8
        .value_kind:     global_buffer
      - .offset:         40
        .size:           8
        .value_kind:     by_value
      - .offset:         48
        .size:           8
        .value_kind:     by_value
      - .address_space:  global
        .offset:         56
        .size:           8
        .value_kind:     global_buffer
      - .offset:         64
        .size:           8
        .value_kind:     by_value
      - .offset:         72
        .size:           8
        .value_kind:     by_value
      - .offset:         80
        .size:           2
        .value_kind:     by_value
      - .address_space:  global
        .offset:         88
        .size:           8
        .value_kind:     global_buffer
      - .offset:         96
        .size:           8
        .value_kind:     by_value
      - .offset:         104
        .size:           8
        .value_kind:     by_value
      - .address_space:  global
        .offset:         112
        .size:           8
        .value_kind:     global_buffer
      - .offset:         120
        .size:           8
        .value_kind:     by_value
      - .offset:         128
        .size:           8
        .value_kind:     by_value
      - .offset:         136
        .size:           4
        .value_kind:     by_value
    .group_segment_fixed_size: 1024
    .kernarg_segment_align: 8
    .kernarg_segment_size: 140
    .language:       OpenCL C
    .language_version:
      - 2
      - 0
    .max_flat_workgroup_size: 256
    .name:           _ZN12_GLOBAL__N_127rocblas_gemm_batched_kernelIDF16_Li16ELi16ELi64ELi64ELi4ELi64ELi4ELi4ELi64ELc78ELc84EKDF16_S1_DF16_EEvlllT_PT11_llS4_llS2_PT12_llPT13_lli
    .private_segment_fixed_size: 0
    .sgpr_count:     40
    .sgpr_spill_count: 0
    .symbol:         _ZN12_GLOBAL__N_127rocblas_gemm_batched_kernelIDF16_Li16ELi16ELi64ELi64ELi4ELi64ELi4ELi4ELi64ELc78ELc84EKDF16_S1_DF16_EEvlllT_PT11_llS4_llS2_PT12_llPT13_lli.kd
    .uniform_work_group_size: 1
    .uses_dynamic_stack: false
    .vgpr_count:     50
    .vgpr_spill_count: 0
    .wavefront_size: 32
  - .args:
      - .offset:         0
        .size:           8
        .value_kind:     by_value
      - .offset:         8
        .size:           8
        .value_kind:     by_value
      - .offset:         16
        .size:           8
        .value_kind:     by_value
      - .offset:         24
        .size:           2
        .value_kind:     by_value
      - .address_space:  global
        .offset:         32
        .size:           8
        .value_kind:     global_buffer
      - .offset:         40
        .size:           8
        .value_kind:     by_value
      - .offset:         48
        .size:           8
        .value_kind:     by_value
      - .address_space:  global
        .offset:         56
        .size:           8
        .value_kind:     global_buffer
      - .offset:         64
        .size:           8
        .value_kind:     by_value
      - .offset:         72
        .size:           8
        .value_kind:     by_value
      - .offset:         80
        .size:           2
        .value_kind:     by_value
      - .address_space:  global
        .offset:         88
        .size:           8
        .value_kind:     global_buffer
      - .offset:         96
        .size:           8
        .value_kind:     by_value
      - .offset:         104
        .size:           8
        .value_kind:     by_value
      - .address_space:  global
        .offset:         112
        .size:           8
        .value_kind:     global_buffer
      - .offset:         120
        .size:           8
        .value_kind:     by_value
      - .offset:         128
        .size:           8
        .value_kind:     by_value
      - .offset:         136
        .size:           4
        .value_kind:     by_value
    .group_segment_fixed_size: 1024
    .kernarg_segment_align: 8
    .kernarg_segment_size: 140
    .language:       OpenCL C
    .language_version:
      - 2
      - 0
    .max_flat_workgroup_size: 256
    .name:           _ZN12_GLOBAL__N_127rocblas_gemm_batched_kernelIDF16_Li16ELi16ELi64ELi64ELi4ELi64ELi4ELi4ELi64ELc84ELc84EKDF16_S1_DF16_EEvlllT_PT11_llS4_llS2_PT12_llPT13_lli
    .private_segment_fixed_size: 0
    .sgpr_count:     40
    .sgpr_spill_count: 0
    .symbol:         _ZN12_GLOBAL__N_127rocblas_gemm_batched_kernelIDF16_Li16ELi16ELi64ELi64ELi4ELi64ELi4ELi4ELi64ELc84ELc84EKDF16_S1_DF16_EEvlllT_PT11_llS4_llS2_PT12_llPT13_lli.kd
    .uniform_work_group_size: 1
    .uses_dynamic_stack: false
    .vgpr_count:     50
    .vgpr_spill_count: 0
    .wavefront_size: 32
  - .args:
      - .offset:         0
        .size:           8
        .value_kind:     by_value
      - .offset:         8
        .size:           8
        .value_kind:     by_value
      - .offset:         16
        .size:           8
        .value_kind:     by_value
      - .offset:         24
        .size:           2
        .value_kind:     by_value
      - .address_space:  global
        .offset:         32
        .size:           8
        .value_kind:     global_buffer
      - .offset:         40
        .size:           8
        .value_kind:     by_value
      - .offset:         48
        .size:           8
        .value_kind:     by_value
      - .address_space:  global
        .offset:         56
        .size:           8
        .value_kind:     global_buffer
      - .offset:         64
        .size:           8
        .value_kind:     by_value
      - .offset:         72
        .size:           8
        .value_kind:     by_value
      - .offset:         80
        .size:           2
        .value_kind:     by_value
      - .address_space:  global
        .offset:         88
        .size:           8
        .value_kind:     global_buffer
      - .offset:         96
        .size:           8
        .value_kind:     by_value
      - .offset:         104
        .size:           8
        .value_kind:     by_value
      - .address_space:  global
        .offset:         112
        .size:           8
        .value_kind:     global_buffer
      - .offset:         120
        .size:           8
        .value_kind:     by_value
      - .offset:         128
        .size:           8
        .value_kind:     by_value
      - .offset:         136
        .size:           4
        .value_kind:     by_value
    .group_segment_fixed_size: 1024
    .kernarg_segment_align: 8
    .kernarg_segment_size: 140
    .language:       OpenCL C
    .language_version:
      - 2
      - 0
    .max_flat_workgroup_size: 256
    .name:           _ZN12_GLOBAL__N_127rocblas_gemm_batched_kernelIDF16_Li16ELi16ELi64ELi64ELi4ELi64ELi4ELi4ELi64ELc67ELc67EKDF16_S1_DF16_EEvlllT_PT11_llS4_llS2_PT12_llPT13_lli
    .private_segment_fixed_size: 0
    .sgpr_count:     40
    .sgpr_spill_count: 0
    .symbol:         _ZN12_GLOBAL__N_127rocblas_gemm_batched_kernelIDF16_Li16ELi16ELi64ELi64ELi4ELi64ELi4ELi4ELi64ELc67ELc67EKDF16_S1_DF16_EEvlllT_PT11_llS4_llS2_PT12_llPT13_lli.kd
    .uniform_work_group_size: 1
    .uses_dynamic_stack: false
    .vgpr_count:     50
    .vgpr_spill_count: 0
    .wavefront_size: 32
  - .args:
      - .offset:         0
        .size:           8
        .value_kind:     by_value
      - .offset:         8
        .size:           8
        .value_kind:     by_value
      - .offset:         16
        .size:           8
        .value_kind:     by_value
      - .offset:         24
        .size:           2
        .value_kind:     by_value
      - .address_space:  global
        .offset:         32
        .size:           8
        .value_kind:     global_buffer
      - .offset:         40
        .size:           8
        .value_kind:     by_value
      - .offset:         48
        .size:           8
        .value_kind:     by_value
      - .address_space:  global
        .offset:         56
        .size:           8
        .value_kind:     global_buffer
      - .offset:         64
        .size:           8
        .value_kind:     by_value
      - .offset:         72
        .size:           8
        .value_kind:     by_value
      - .offset:         80
        .size:           2
        .value_kind:     by_value
      - .address_space:  global
        .offset:         88
        .size:           8
        .value_kind:     global_buffer
      - .offset:         96
        .size:           8
        .value_kind:     by_value
      - .offset:         104
        .size:           8
        .value_kind:     by_value
      - .address_space:  global
        .offset:         112
        .size:           8
        .value_kind:     global_buffer
      - .offset:         120
        .size:           8
        .value_kind:     by_value
      - .offset:         128
        .size:           8
        .value_kind:     by_value
      - .offset:         136
        .size:           4
        .value_kind:     by_value
    .group_segment_fixed_size: 1024
    .kernarg_segment_align: 8
    .kernarg_segment_size: 140
    .language:       OpenCL C
    .language_version:
      - 2
      - 0
    .max_flat_workgroup_size: 256
    .name:           _ZN12_GLOBAL__N_127rocblas_gemm_batched_kernelIDF16_Li16ELi16ELi64ELi64ELi4ELi64ELi4ELi4ELi64ELc67ELc78EKDF16_S1_DF16_EEvlllT_PT11_llS4_llS2_PT12_llPT13_lli
    .private_segment_fixed_size: 0
    .sgpr_count:     40
    .sgpr_spill_count: 0
    .symbol:         _ZN12_GLOBAL__N_127rocblas_gemm_batched_kernelIDF16_Li16ELi16ELi64ELi64ELi4ELi64ELi4ELi4ELi64ELc67ELc78EKDF16_S1_DF16_EEvlllT_PT11_llS4_llS2_PT12_llPT13_lli.kd
    .uniform_work_group_size: 1
    .uses_dynamic_stack: false
    .vgpr_count:     50
    .vgpr_spill_count: 0
    .wavefront_size: 32
  - .args:
      - .offset:         0
        .size:           8
        .value_kind:     by_value
      - .offset:         8
        .size:           8
        .value_kind:     by_value
      - .offset:         16
        .size:           8
        .value_kind:     by_value
      - .offset:         24
        .size:           2
        .value_kind:     by_value
      - .address_space:  global
        .offset:         32
        .size:           8
        .value_kind:     global_buffer
      - .offset:         40
        .size:           8
        .value_kind:     by_value
      - .offset:         48
        .size:           8
        .value_kind:     by_value
      - .address_space:  global
        .offset:         56
        .size:           8
        .value_kind:     global_buffer
      - .offset:         64
        .size:           8
        .value_kind:     by_value
      - .offset:         72
        .size:           8
        .value_kind:     by_value
      - .offset:         80
        .size:           2
        .value_kind:     by_value
      - .address_space:  global
        .offset:         88
        .size:           8
        .value_kind:     global_buffer
      - .offset:         96
        .size:           8
        .value_kind:     by_value
      - .offset:         104
        .size:           8
        .value_kind:     by_value
      - .address_space:  global
        .offset:         112
        .size:           8
        .value_kind:     global_buffer
      - .offset:         120
        .size:           8
        .value_kind:     by_value
      - .offset:         128
        .size:           8
        .value_kind:     by_value
      - .offset:         136
        .size:           4
        .value_kind:     by_value
    .group_segment_fixed_size: 1024
    .kernarg_segment_align: 8
    .kernarg_segment_size: 140
    .language:       OpenCL C
    .language_version:
      - 2
      - 0
    .max_flat_workgroup_size: 256
    .name:           _ZN12_GLOBAL__N_127rocblas_gemm_batched_kernelIDF16_Li16ELi16ELi64ELi64ELi4ELi64ELi4ELi4ELi64ELc67ELc84EKDF16_S1_DF16_EEvlllT_PT11_llS4_llS2_PT12_llPT13_lli
    .private_segment_fixed_size: 0
    .sgpr_count:     40
    .sgpr_spill_count: 0
    .symbol:         _ZN12_GLOBAL__N_127rocblas_gemm_batched_kernelIDF16_Li16ELi16ELi64ELi64ELi4ELi64ELi4ELi4ELi64ELc67ELc84EKDF16_S1_DF16_EEvlllT_PT11_llS4_llS2_PT12_llPT13_lli.kd
    .uniform_work_group_size: 1
    .uses_dynamic_stack: false
    .vgpr_count:     50
    .vgpr_spill_count: 0
    .wavefront_size: 32
  - .args:
      - .offset:         0
        .size:           8
        .value_kind:     by_value
      - .offset:         8
        .size:           8
        .value_kind:     by_value
      - .offset:         16
        .size:           8
        .value_kind:     by_value
      - .offset:         24
        .size:           2
        .value_kind:     by_value
      - .address_space:  global
        .offset:         32
        .size:           8
        .value_kind:     global_buffer
      - .offset:         40
        .size:           8
        .value_kind:     by_value
      - .offset:         48
        .size:           8
        .value_kind:     by_value
      - .address_space:  global
        .offset:         56
        .size:           8
        .value_kind:     global_buffer
      - .offset:         64
        .size:           8
        .value_kind:     by_value
      - .offset:         72
        .size:           8
        .value_kind:     by_value
      - .offset:         80
        .size:           2
        .value_kind:     by_value
      - .address_space:  global
        .offset:         88
        .size:           8
        .value_kind:     global_buffer
      - .offset:         96
        .size:           8
        .value_kind:     by_value
      - .offset:         104
        .size:           8
        .value_kind:     by_value
      - .address_space:  global
        .offset:         112
        .size:           8
        .value_kind:     global_buffer
      - .offset:         120
        .size:           8
        .value_kind:     by_value
      - .offset:         128
        .size:           8
        .value_kind:     by_value
      - .offset:         136
        .size:           4
        .value_kind:     by_value
    .group_segment_fixed_size: 1024
    .kernarg_segment_align: 8
    .kernarg_segment_size: 140
    .language:       OpenCL C
    .language_version:
      - 2
      - 0
    .max_flat_workgroup_size: 256
    .name:           _ZN12_GLOBAL__N_127rocblas_gemm_batched_kernelIDF16_Li16ELi16ELi64ELi64ELi4ELi64ELi4ELi4ELi64ELc78ELc67EKDF16_S1_DF16_EEvlllT_PT11_llS4_llS2_PT12_llPT13_lli
    .private_segment_fixed_size: 0
    .sgpr_count:     40
    .sgpr_spill_count: 0
    .symbol:         _ZN12_GLOBAL__N_127rocblas_gemm_batched_kernelIDF16_Li16ELi16ELi64ELi64ELi4ELi64ELi4ELi4ELi64ELc78ELc67EKDF16_S1_DF16_EEvlllT_PT11_llS4_llS2_PT12_llPT13_lli.kd
    .uniform_work_group_size: 1
    .uses_dynamic_stack: false
    .vgpr_count:     50
    .vgpr_spill_count: 0
    .wavefront_size: 32
  - .args:
      - .offset:         0
        .size:           8
        .value_kind:     by_value
      - .offset:         8
        .size:           8
        .value_kind:     by_value
      - .offset:         16
        .size:           8
        .value_kind:     by_value
      - .offset:         24
        .size:           2
        .value_kind:     by_value
      - .address_space:  global
        .offset:         32
        .size:           8
        .value_kind:     global_buffer
      - .offset:         40
        .size:           8
        .value_kind:     by_value
      - .offset:         48
        .size:           8
        .value_kind:     by_value
      - .address_space:  global
        .offset:         56
        .size:           8
        .value_kind:     global_buffer
      - .offset:         64
        .size:           8
        .value_kind:     by_value
      - .offset:         72
        .size:           8
        .value_kind:     by_value
      - .offset:         80
        .size:           2
        .value_kind:     by_value
      - .address_space:  global
        .offset:         88
        .size:           8
        .value_kind:     global_buffer
      - .offset:         96
        .size:           8
        .value_kind:     by_value
      - .offset:         104
        .size:           8
        .value_kind:     by_value
      - .address_space:  global
        .offset:         112
        .size:           8
        .value_kind:     global_buffer
      - .offset:         120
        .size:           8
        .value_kind:     by_value
      - .offset:         128
        .size:           8
        .value_kind:     by_value
      - .offset:         136
        .size:           4
        .value_kind:     by_value
    .group_segment_fixed_size: 1024
    .kernarg_segment_align: 8
    .kernarg_segment_size: 140
    .language:       OpenCL C
    .language_version:
      - 2
      - 0
    .max_flat_workgroup_size: 256
    .name:           _ZN12_GLOBAL__N_127rocblas_gemm_batched_kernelIDF16_Li16ELi16ELi64ELi64ELi4ELi64ELi4ELi4ELi64ELc84ELc67EKDF16_S1_DF16_EEvlllT_PT11_llS4_llS2_PT12_llPT13_lli
    .private_segment_fixed_size: 0
    .sgpr_count:     40
    .sgpr_spill_count: 0
    .symbol:         _ZN12_GLOBAL__N_127rocblas_gemm_batched_kernelIDF16_Li16ELi16ELi64ELi64ELi4ELi64ELi4ELi4ELi64ELc84ELc67EKDF16_S1_DF16_EEvlllT_PT11_llS4_llS2_PT12_llPT13_lli.kd
    .uniform_work_group_size: 1
    .uses_dynamic_stack: false
    .vgpr_count:     50
    .vgpr_spill_count: 0
    .wavefront_size: 32
  - .args:
      - .offset:         0
        .size:           8
        .value_kind:     by_value
      - .offset:         8
        .size:           8
        .value_kind:     by_value
      - .offset:         16
        .size:           8
        .value_kind:     by_value
      - .offset:         24
        .size:           2
        .value_kind:     by_value
      - .address_space:  global
        .offset:         32
        .size:           8
        .value_kind:     global_buffer
      - .offset:         40
        .size:           8
        .value_kind:     by_value
      - .offset:         48
        .size:           8
        .value_kind:     by_value
      - .address_space:  global
        .offset:         56
        .size:           8
        .value_kind:     global_buffer
      - .offset:         64
        .size:           8
        .value_kind:     by_value
      - .offset:         72
        .size:           8
        .value_kind:     by_value
      - .offset:         80
        .size:           2
        .value_kind:     by_value
      - .address_space:  global
        .offset:         88
        .size:           8
        .value_kind:     global_buffer
      - .offset:         96
        .size:           8
        .value_kind:     by_value
      - .offset:         104
        .size:           8
        .value_kind:     by_value
      - .address_space:  global
        .offset:         112
        .size:           8
        .value_kind:     global_buffer
      - .offset:         120
        .size:           8
        .value_kind:     by_value
      - .offset:         128
        .size:           8
        .value_kind:     by_value
      - .offset:         136
        .size:           4
        .value_kind:     by_value
    .group_segment_fixed_size: 1024
    .kernarg_segment_align: 8
    .kernarg_segment_size: 140
    .language:       OpenCL C
    .language_version:
      - 2
      - 0
    .max_flat_workgroup_size: 256
    .name:           _ZN12_GLOBAL__N_127rocblas_gemm_batched_kernelIDF16_Li16ELi16ELi32ELi32ELi8ELi32ELi8ELi8ELi32ELc78ELc78EKDF16_S1_DF16_EEvlllT_PT11_llS4_llS2_PT12_llPT13_lli
    .private_segment_fixed_size: 0
    .sgpr_count:     38
    .sgpr_spill_count: 0
    .symbol:         _ZN12_GLOBAL__N_127rocblas_gemm_batched_kernelIDF16_Li16ELi16ELi32ELi32ELi8ELi32ELi8ELi8ELi32ELc78ELc78EKDF16_S1_DF16_EEvlllT_PT11_llS4_llS2_PT12_llPT13_lli.kd
    .uniform_work_group_size: 1
    .uses_dynamic_stack: false
    .vgpr_count:     44
    .vgpr_spill_count: 0
    .wavefront_size: 32
  - .args:
      - .offset:         0
        .size:           8
        .value_kind:     by_value
      - .offset:         8
        .size:           8
        .value_kind:     by_value
      - .offset:         16
        .size:           8
        .value_kind:     by_value
      - .offset:         24
        .size:           2
        .value_kind:     by_value
      - .address_space:  global
        .offset:         32
        .size:           8
        .value_kind:     global_buffer
      - .offset:         40
        .size:           8
        .value_kind:     by_value
      - .offset:         48
        .size:           8
        .value_kind:     by_value
      - .address_space:  global
        .offset:         56
        .size:           8
        .value_kind:     global_buffer
      - .offset:         64
        .size:           8
        .value_kind:     by_value
      - .offset:         72
        .size:           8
        .value_kind:     by_value
      - .offset:         80
        .size:           2
        .value_kind:     by_value
      - .address_space:  global
        .offset:         88
        .size:           8
        .value_kind:     global_buffer
      - .offset:         96
        .size:           8
        .value_kind:     by_value
      - .offset:         104
        .size:           8
        .value_kind:     by_value
      - .address_space:  global
        .offset:         112
        .size:           8
        .value_kind:     global_buffer
      - .offset:         120
        .size:           8
        .value_kind:     by_value
      - .offset:         128
        .size:           8
        .value_kind:     by_value
      - .offset:         136
        .size:           4
        .value_kind:     by_value
    .group_segment_fixed_size: 1024
    .kernarg_segment_align: 8
    .kernarg_segment_size: 140
    .language:       OpenCL C
    .language_version:
      - 2
      - 0
    .max_flat_workgroup_size: 256
    .name:           _ZN12_GLOBAL__N_127rocblas_gemm_batched_kernelIDF16_Li16ELi16ELi32ELi32ELi8ELi32ELi8ELi8ELi32ELc84ELc78EKDF16_S1_DF16_EEvlllT_PT11_llS4_llS2_PT12_llPT13_lli
    .private_segment_fixed_size: 0
    .sgpr_count:     40
    .sgpr_spill_count: 0
    .symbol:         _ZN12_GLOBAL__N_127rocblas_gemm_batched_kernelIDF16_Li16ELi16ELi32ELi32ELi8ELi32ELi8ELi8ELi32ELc84ELc78EKDF16_S1_DF16_EEvlllT_PT11_llS4_llS2_PT12_llPT13_lli.kd
    .uniform_work_group_size: 1
    .uses_dynamic_stack: false
    .vgpr_count:     44
    .vgpr_spill_count: 0
    .wavefront_size: 32
  - .args:
      - .offset:         0
        .size:           8
        .value_kind:     by_value
      - .offset:         8
        .size:           8
        .value_kind:     by_value
      - .offset:         16
        .size:           8
        .value_kind:     by_value
      - .offset:         24
        .size:           2
        .value_kind:     by_value
      - .address_space:  global
        .offset:         32
        .size:           8
        .value_kind:     global_buffer
      - .offset:         40
        .size:           8
        .value_kind:     by_value
      - .offset:         48
        .size:           8
        .value_kind:     by_value
      - .address_space:  global
        .offset:         56
        .size:           8
        .value_kind:     global_buffer
      - .offset:         64
        .size:           8
        .value_kind:     by_value
      - .offset:         72
        .size:           8
        .value_kind:     by_value
      - .offset:         80
        .size:           2
        .value_kind:     by_value
      - .address_space:  global
        .offset:         88
        .size:           8
        .value_kind:     global_buffer
      - .offset:         96
        .size:           8
        .value_kind:     by_value
      - .offset:         104
        .size:           8
        .value_kind:     by_value
      - .address_space:  global
        .offset:         112
        .size:           8
        .value_kind:     global_buffer
      - .offset:         120
        .size:           8
        .value_kind:     by_value
      - .offset:         128
        .size:           8
        .value_kind:     by_value
      - .offset:         136
        .size:           4
        .value_kind:     by_value
    .group_segment_fixed_size: 1024
    .kernarg_segment_align: 8
    .kernarg_segment_size: 140
    .language:       OpenCL C
    .language_version:
      - 2
      - 0
    .max_flat_workgroup_size: 256
    .name:           _ZN12_GLOBAL__N_127rocblas_gemm_batched_kernelIDF16_Li16ELi16ELi32ELi32ELi8ELi32ELi8ELi8ELi32ELc78ELc84EKDF16_S1_DF16_EEvlllT_PT11_llS4_llS2_PT12_llPT13_lli
    .private_segment_fixed_size: 0
    .sgpr_count:     40
    .sgpr_spill_count: 0
    .symbol:         _ZN12_GLOBAL__N_127rocblas_gemm_batched_kernelIDF16_Li16ELi16ELi32ELi32ELi8ELi32ELi8ELi8ELi32ELc78ELc84EKDF16_S1_DF16_EEvlllT_PT11_llS4_llS2_PT12_llPT13_lli.kd
    .uniform_work_group_size: 1
    .uses_dynamic_stack: false
    .vgpr_count:     44
    .vgpr_spill_count: 0
    .wavefront_size: 32
  - .args:
      - .offset:         0
        .size:           8
        .value_kind:     by_value
      - .offset:         8
        .size:           8
        .value_kind:     by_value
      - .offset:         16
        .size:           8
        .value_kind:     by_value
      - .offset:         24
        .size:           2
        .value_kind:     by_value
      - .address_space:  global
        .offset:         32
        .size:           8
        .value_kind:     global_buffer
      - .offset:         40
        .size:           8
        .value_kind:     by_value
      - .offset:         48
        .size:           8
        .value_kind:     by_value
      - .address_space:  global
        .offset:         56
        .size:           8
        .value_kind:     global_buffer
      - .offset:         64
        .size:           8
        .value_kind:     by_value
      - .offset:         72
        .size:           8
        .value_kind:     by_value
      - .offset:         80
        .size:           2
        .value_kind:     by_value
      - .address_space:  global
        .offset:         88
        .size:           8
        .value_kind:     global_buffer
      - .offset:         96
        .size:           8
        .value_kind:     by_value
      - .offset:         104
        .size:           8
        .value_kind:     by_value
      - .address_space:  global
        .offset:         112
        .size:           8
        .value_kind:     global_buffer
      - .offset:         120
        .size:           8
        .value_kind:     by_value
      - .offset:         128
        .size:           8
        .value_kind:     by_value
      - .offset:         136
        .size:           4
        .value_kind:     by_value
    .group_segment_fixed_size: 1024
    .kernarg_segment_align: 8
    .kernarg_segment_size: 140
    .language:       OpenCL C
    .language_version:
      - 2
      - 0
    .max_flat_workgroup_size: 256
    .name:           _ZN12_GLOBAL__N_127rocblas_gemm_batched_kernelIDF16_Li16ELi16ELi32ELi32ELi8ELi32ELi8ELi8ELi32ELc84ELc84EKDF16_S1_DF16_EEvlllT_PT11_llS4_llS2_PT12_llPT13_lli
    .private_segment_fixed_size: 0
    .sgpr_count:     40
    .sgpr_spill_count: 0
    .symbol:         _ZN12_GLOBAL__N_127rocblas_gemm_batched_kernelIDF16_Li16ELi16ELi32ELi32ELi8ELi32ELi8ELi8ELi32ELc84ELc84EKDF16_S1_DF16_EEvlllT_PT11_llS4_llS2_PT12_llPT13_lli.kd
    .uniform_work_group_size: 1
    .uses_dynamic_stack: false
    .vgpr_count:     44
    .vgpr_spill_count: 0
    .wavefront_size: 32
  - .args:
      - .offset:         0
        .size:           8
        .value_kind:     by_value
      - .offset:         8
        .size:           8
        .value_kind:     by_value
      - .offset:         16
        .size:           8
        .value_kind:     by_value
      - .offset:         24
        .size:           2
        .value_kind:     by_value
      - .address_space:  global
        .offset:         32
        .size:           8
        .value_kind:     global_buffer
      - .offset:         40
        .size:           8
        .value_kind:     by_value
      - .offset:         48
        .size:           8
        .value_kind:     by_value
      - .address_space:  global
        .offset:         56
        .size:           8
        .value_kind:     global_buffer
      - .offset:         64
        .size:           8
        .value_kind:     by_value
      - .offset:         72
        .size:           8
        .value_kind:     by_value
      - .offset:         80
        .size:           2
        .value_kind:     by_value
      - .address_space:  global
        .offset:         88
        .size:           8
        .value_kind:     global_buffer
      - .offset:         96
        .size:           8
        .value_kind:     by_value
      - .offset:         104
        .size:           8
        .value_kind:     by_value
      - .address_space:  global
        .offset:         112
        .size:           8
        .value_kind:     global_buffer
      - .offset:         120
        .size:           8
        .value_kind:     by_value
      - .offset:         128
        .size:           8
        .value_kind:     by_value
      - .offset:         136
        .size:           4
        .value_kind:     by_value
    .group_segment_fixed_size: 1024
    .kernarg_segment_align: 8
    .kernarg_segment_size: 140
    .language:       OpenCL C
    .language_version:
      - 2
      - 0
    .max_flat_workgroup_size: 256
    .name:           _ZN12_GLOBAL__N_127rocblas_gemm_batched_kernelIDF16_Li16ELi16ELi32ELi32ELi8ELi32ELi8ELi8ELi32ELc67ELc67EKDF16_S1_DF16_EEvlllT_PT11_llS4_llS2_PT12_llPT13_lli
    .private_segment_fixed_size: 0
    .sgpr_count:     40
    .sgpr_spill_count: 0
    .symbol:         _ZN12_GLOBAL__N_127rocblas_gemm_batched_kernelIDF16_Li16ELi16ELi32ELi32ELi8ELi32ELi8ELi8ELi32ELc67ELc67EKDF16_S1_DF16_EEvlllT_PT11_llS4_llS2_PT12_llPT13_lli.kd
    .uniform_work_group_size: 1
    .uses_dynamic_stack: false
    .vgpr_count:     44
    .vgpr_spill_count: 0
    .wavefront_size: 32
  - .args:
      - .offset:         0
        .size:           8
        .value_kind:     by_value
      - .offset:         8
        .size:           8
        .value_kind:     by_value
      - .offset:         16
        .size:           8
        .value_kind:     by_value
      - .offset:         24
        .size:           2
        .value_kind:     by_value
      - .address_space:  global
        .offset:         32
        .size:           8
        .value_kind:     global_buffer
      - .offset:         40
        .size:           8
        .value_kind:     by_value
      - .offset:         48
        .size:           8
        .value_kind:     by_value
      - .address_space:  global
        .offset:         56
        .size:           8
        .value_kind:     global_buffer
      - .offset:         64
        .size:           8
        .value_kind:     by_value
      - .offset:         72
        .size:           8
        .value_kind:     by_value
      - .offset:         80
        .size:           2
        .value_kind:     by_value
      - .address_space:  global
        .offset:         88
        .size:           8
        .value_kind:     global_buffer
      - .offset:         96
        .size:           8
        .value_kind:     by_value
      - .offset:         104
        .size:           8
        .value_kind:     by_value
      - .address_space:  global
        .offset:         112
        .size:           8
        .value_kind:     global_buffer
      - .offset:         120
        .size:           8
        .value_kind:     by_value
      - .offset:         128
        .size:           8
        .value_kind:     by_value
      - .offset:         136
        .size:           4
        .value_kind:     by_value
    .group_segment_fixed_size: 1024
    .kernarg_segment_align: 8
    .kernarg_segment_size: 140
    .language:       OpenCL C
    .language_version:
      - 2
      - 0
    .max_flat_workgroup_size: 256
    .name:           _ZN12_GLOBAL__N_127rocblas_gemm_batched_kernelIDF16_Li16ELi16ELi32ELi32ELi8ELi32ELi8ELi8ELi32ELc67ELc78EKDF16_S1_DF16_EEvlllT_PT11_llS4_llS2_PT12_llPT13_lli
    .private_segment_fixed_size: 0
    .sgpr_count:     40
    .sgpr_spill_count: 0
    .symbol:         _ZN12_GLOBAL__N_127rocblas_gemm_batched_kernelIDF16_Li16ELi16ELi32ELi32ELi8ELi32ELi8ELi8ELi32ELc67ELc78EKDF16_S1_DF16_EEvlllT_PT11_llS4_llS2_PT12_llPT13_lli.kd
    .uniform_work_group_size: 1
    .uses_dynamic_stack: false
    .vgpr_count:     44
    .vgpr_spill_count: 0
    .wavefront_size: 32
  - .args:
      - .offset:         0
        .size:           8
        .value_kind:     by_value
      - .offset:         8
        .size:           8
        .value_kind:     by_value
      - .offset:         16
        .size:           8
        .value_kind:     by_value
      - .offset:         24
        .size:           2
        .value_kind:     by_value
      - .address_space:  global
        .offset:         32
        .size:           8
        .value_kind:     global_buffer
      - .offset:         40
        .size:           8
        .value_kind:     by_value
      - .offset:         48
        .size:           8
        .value_kind:     by_value
      - .address_space:  global
        .offset:         56
        .size:           8
        .value_kind:     global_buffer
      - .offset:         64
        .size:           8
        .value_kind:     by_value
      - .offset:         72
        .size:           8
        .value_kind:     by_value
      - .offset:         80
        .size:           2
        .value_kind:     by_value
      - .address_space:  global
        .offset:         88
        .size:           8
        .value_kind:     global_buffer
      - .offset:         96
        .size:           8
        .value_kind:     by_value
      - .offset:         104
        .size:           8
        .value_kind:     by_value
      - .address_space:  global
        .offset:         112
        .size:           8
        .value_kind:     global_buffer
      - .offset:         120
        .size:           8
        .value_kind:     by_value
      - .offset:         128
        .size:           8
        .value_kind:     by_value
      - .offset:         136
        .size:           4
        .value_kind:     by_value
    .group_segment_fixed_size: 1024
    .kernarg_segment_align: 8
    .kernarg_segment_size: 140
    .language:       OpenCL C
    .language_version:
      - 2
      - 0
    .max_flat_workgroup_size: 256
    .name:           _ZN12_GLOBAL__N_127rocblas_gemm_batched_kernelIDF16_Li16ELi16ELi32ELi32ELi8ELi32ELi8ELi8ELi32ELc67ELc84EKDF16_S1_DF16_EEvlllT_PT11_llS4_llS2_PT12_llPT13_lli
    .private_segment_fixed_size: 0
    .sgpr_count:     40
    .sgpr_spill_count: 0
    .symbol:         _ZN12_GLOBAL__N_127rocblas_gemm_batched_kernelIDF16_Li16ELi16ELi32ELi32ELi8ELi32ELi8ELi8ELi32ELc67ELc84EKDF16_S1_DF16_EEvlllT_PT11_llS4_llS2_PT12_llPT13_lli.kd
    .uniform_work_group_size: 1
    .uses_dynamic_stack: false
    .vgpr_count:     44
    .vgpr_spill_count: 0
    .wavefront_size: 32
  - .args:
      - .offset:         0
        .size:           8
        .value_kind:     by_value
      - .offset:         8
        .size:           8
        .value_kind:     by_value
      - .offset:         16
        .size:           8
        .value_kind:     by_value
      - .offset:         24
        .size:           2
        .value_kind:     by_value
      - .address_space:  global
        .offset:         32
        .size:           8
        .value_kind:     global_buffer
      - .offset:         40
        .size:           8
        .value_kind:     by_value
      - .offset:         48
        .size:           8
        .value_kind:     by_value
      - .address_space:  global
        .offset:         56
        .size:           8
        .value_kind:     global_buffer
      - .offset:         64
        .size:           8
        .value_kind:     by_value
      - .offset:         72
        .size:           8
        .value_kind:     by_value
      - .offset:         80
        .size:           2
        .value_kind:     by_value
      - .address_space:  global
        .offset:         88
        .size:           8
        .value_kind:     global_buffer
      - .offset:         96
        .size:           8
        .value_kind:     by_value
      - .offset:         104
        .size:           8
        .value_kind:     by_value
      - .address_space:  global
        .offset:         112
        .size:           8
        .value_kind:     global_buffer
      - .offset:         120
        .size:           8
        .value_kind:     by_value
      - .offset:         128
        .size:           8
        .value_kind:     by_value
      - .offset:         136
        .size:           4
        .value_kind:     by_value
    .group_segment_fixed_size: 1024
    .kernarg_segment_align: 8
    .kernarg_segment_size: 140
    .language:       OpenCL C
    .language_version:
      - 2
      - 0
    .max_flat_workgroup_size: 256
    .name:           _ZN12_GLOBAL__N_127rocblas_gemm_batched_kernelIDF16_Li16ELi16ELi32ELi32ELi8ELi32ELi8ELi8ELi32ELc78ELc67EKDF16_S1_DF16_EEvlllT_PT11_llS4_llS2_PT12_llPT13_lli
    .private_segment_fixed_size: 0
    .sgpr_count:     40
    .sgpr_spill_count: 0
    .symbol:         _ZN12_GLOBAL__N_127rocblas_gemm_batched_kernelIDF16_Li16ELi16ELi32ELi32ELi8ELi32ELi8ELi8ELi32ELc78ELc67EKDF16_S1_DF16_EEvlllT_PT11_llS4_llS2_PT12_llPT13_lli.kd
    .uniform_work_group_size: 1
    .uses_dynamic_stack: false
    .vgpr_count:     44
    .vgpr_spill_count: 0
    .wavefront_size: 32
  - .args:
      - .offset:         0
        .size:           8
        .value_kind:     by_value
      - .offset:         8
        .size:           8
        .value_kind:     by_value
      - .offset:         16
        .size:           8
        .value_kind:     by_value
      - .offset:         24
        .size:           2
        .value_kind:     by_value
      - .address_space:  global
        .offset:         32
        .size:           8
        .value_kind:     global_buffer
      - .offset:         40
        .size:           8
        .value_kind:     by_value
      - .offset:         48
        .size:           8
        .value_kind:     by_value
      - .address_space:  global
        .offset:         56
        .size:           8
        .value_kind:     global_buffer
      - .offset:         64
        .size:           8
        .value_kind:     by_value
      - .offset:         72
        .size:           8
        .value_kind:     by_value
      - .offset:         80
        .size:           2
        .value_kind:     by_value
      - .address_space:  global
        .offset:         88
        .size:           8
        .value_kind:     global_buffer
      - .offset:         96
        .size:           8
        .value_kind:     by_value
      - .offset:         104
        .size:           8
        .value_kind:     by_value
      - .address_space:  global
        .offset:         112
        .size:           8
        .value_kind:     global_buffer
      - .offset:         120
        .size:           8
        .value_kind:     by_value
      - .offset:         128
        .size:           8
        .value_kind:     by_value
      - .offset:         136
        .size:           4
        .value_kind:     by_value
    .group_segment_fixed_size: 1024
    .kernarg_segment_align: 8
    .kernarg_segment_size: 140
    .language:       OpenCL C
    .language_version:
      - 2
      - 0
    .max_flat_workgroup_size: 256
    .name:           _ZN12_GLOBAL__N_127rocblas_gemm_batched_kernelIDF16_Li16ELi16ELi32ELi32ELi8ELi32ELi8ELi8ELi32ELc84ELc67EKDF16_S1_DF16_EEvlllT_PT11_llS4_llS2_PT12_llPT13_lli
    .private_segment_fixed_size: 0
    .sgpr_count:     40
    .sgpr_spill_count: 0
    .symbol:         _ZN12_GLOBAL__N_127rocblas_gemm_batched_kernelIDF16_Li16ELi16ELi32ELi32ELi8ELi32ELi8ELi8ELi32ELc84ELc67EKDF16_S1_DF16_EEvlllT_PT11_llS4_llS2_PT12_llPT13_lli.kd
    .uniform_work_group_size: 1
    .uses_dynamic_stack: false
    .vgpr_count:     44
    .vgpr_spill_count: 0
    .wavefront_size: 32
  - .args:
      - .offset:         0
        .size:           8
        .value_kind:     by_value
      - .offset:         8
        .size:           8
        .value_kind:     by_value
      - .offset:         16
        .size:           8
        .value_kind:     by_value
      - .offset:         24
        .size:           2
        .value_kind:     by_value
      - .address_space:  global
        .offset:         32
        .size:           8
        .value_kind:     global_buffer
      - .offset:         40
        .size:           8
        .value_kind:     by_value
      - .offset:         48
        .size:           8
        .value_kind:     by_value
      - .address_space:  global
        .offset:         56
        .size:           8
        .value_kind:     global_buffer
      - .offset:         64
        .size:           8
        .value_kind:     by_value
      - .offset:         72
        .size:           8
        .value_kind:     by_value
      - .offset:         80
        .size:           2
        .value_kind:     by_value
      - .address_space:  global
        .offset:         88
        .size:           8
        .value_kind:     global_buffer
      - .offset:         96
        .size:           8
        .value_kind:     by_value
      - .offset:         104
        .size:           8
        .value_kind:     by_value
      - .address_space:  global
        .offset:         112
        .size:           8
        .value_kind:     global_buffer
      - .offset:         120
        .size:           8
        .value_kind:     by_value
      - .offset:         128
        .size:           8
        .value_kind:     by_value
      - .offset:         136
        .size:           4
        .value_kind:     by_value
    .group_segment_fixed_size: 1024
    .kernarg_segment_align: 8
    .kernarg_segment_size: 140
    .language:       OpenCL C
    .language_version:
      - 2
      - 0
    .max_flat_workgroup_size: 256
    .name:           _ZN12_GLOBAL__N_135rocblas_gemm_batched_general_kernelIDF16_Li16ELi16ELi32ELi32ELi8ELi32ELi8ELi8ELi32ELc78ELc78EKDF16_S1_DF16_EEvlllT_PT11_llS4_llS2_PT12_llPT13_lli
    .private_segment_fixed_size: 0
    .sgpr_count:     43
    .sgpr_spill_count: 0
    .symbol:         _ZN12_GLOBAL__N_135rocblas_gemm_batched_general_kernelIDF16_Li16ELi16ELi32ELi32ELi8ELi32ELi8ELi8ELi32ELc78ELc78EKDF16_S1_DF16_EEvlllT_PT11_llS4_llS2_PT12_llPT13_lli.kd
    .uniform_work_group_size: 1
    .uses_dynamic_stack: false
    .vgpr_count:     43
    .vgpr_spill_count: 0
    .wavefront_size: 32
  - .args:
      - .offset:         0
        .size:           8
        .value_kind:     by_value
      - .offset:         8
        .size:           8
        .value_kind:     by_value
      - .offset:         16
        .size:           8
        .value_kind:     by_value
      - .offset:         24
        .size:           2
        .value_kind:     by_value
      - .address_space:  global
        .offset:         32
        .size:           8
        .value_kind:     global_buffer
      - .offset:         40
        .size:           8
        .value_kind:     by_value
      - .offset:         48
        .size:           8
        .value_kind:     by_value
      - .address_space:  global
        .offset:         56
        .size:           8
        .value_kind:     global_buffer
      - .offset:         64
        .size:           8
        .value_kind:     by_value
      - .offset:         72
        .size:           8
        .value_kind:     by_value
      - .offset:         80
        .size:           2
        .value_kind:     by_value
      - .address_space:  global
        .offset:         88
        .size:           8
        .value_kind:     global_buffer
      - .offset:         96
        .size:           8
        .value_kind:     by_value
      - .offset:         104
        .size:           8
        .value_kind:     by_value
      - .address_space:  global
        .offset:         112
        .size:           8
        .value_kind:     global_buffer
      - .offset:         120
        .size:           8
        .value_kind:     by_value
      - .offset:         128
        .size:           8
        .value_kind:     by_value
      - .offset:         136
        .size:           4
        .value_kind:     by_value
    .group_segment_fixed_size: 1024
    .kernarg_segment_align: 8
    .kernarg_segment_size: 140
    .language:       OpenCL C
    .language_version:
      - 2
      - 0
    .max_flat_workgroup_size: 256
    .name:           _ZN12_GLOBAL__N_135rocblas_gemm_batched_general_kernelIDF16_Li16ELi16ELi32ELi32ELi8ELi32ELi8ELi8ELi32ELc84ELc78EKDF16_S1_DF16_EEvlllT_PT11_llS4_llS2_PT12_llPT13_lli
    .private_segment_fixed_size: 0
    .sgpr_count:     43
    .sgpr_spill_count: 0
    .symbol:         _ZN12_GLOBAL__N_135rocblas_gemm_batched_general_kernelIDF16_Li16ELi16ELi32ELi32ELi8ELi32ELi8ELi8ELi32ELc84ELc78EKDF16_S1_DF16_EEvlllT_PT11_llS4_llS2_PT12_llPT13_lli.kd
    .uniform_work_group_size: 1
    .uses_dynamic_stack: false
    .vgpr_count:     43
    .vgpr_spill_count: 0
    .wavefront_size: 32
  - .args:
      - .offset:         0
        .size:           8
        .value_kind:     by_value
      - .offset:         8
        .size:           8
        .value_kind:     by_value
      - .offset:         16
        .size:           8
        .value_kind:     by_value
      - .offset:         24
        .size:           2
        .value_kind:     by_value
      - .address_space:  global
        .offset:         32
        .size:           8
        .value_kind:     global_buffer
      - .offset:         40
        .size:           8
        .value_kind:     by_value
      - .offset:         48
        .size:           8
        .value_kind:     by_value
      - .address_space:  global
        .offset:         56
        .size:           8
        .value_kind:     global_buffer
      - .offset:         64
        .size:           8
        .value_kind:     by_value
      - .offset:         72
        .size:           8
        .value_kind:     by_value
      - .offset:         80
        .size:           2
        .value_kind:     by_value
      - .address_space:  global
        .offset:         88
        .size:           8
        .value_kind:     global_buffer
      - .offset:         96
        .size:           8
        .value_kind:     by_value
      - .offset:         104
        .size:           8
        .value_kind:     by_value
      - .address_space:  global
        .offset:         112
        .size:           8
        .value_kind:     global_buffer
      - .offset:         120
        .size:           8
        .value_kind:     by_value
      - .offset:         128
        .size:           8
        .value_kind:     by_value
      - .offset:         136
        .size:           4
        .value_kind:     by_value
    .group_segment_fixed_size: 1024
    .kernarg_segment_align: 8
    .kernarg_segment_size: 140
    .language:       OpenCL C
    .language_version:
      - 2
      - 0
    .max_flat_workgroup_size: 256
    .name:           _ZN12_GLOBAL__N_135rocblas_gemm_batched_general_kernelIDF16_Li16ELi16ELi32ELi32ELi8ELi32ELi8ELi8ELi32ELc78ELc84EKDF16_S1_DF16_EEvlllT_PT11_llS4_llS2_PT12_llPT13_lli
    .private_segment_fixed_size: 0
    .sgpr_count:     46
    .sgpr_spill_count: 0
    .symbol:         _ZN12_GLOBAL__N_135rocblas_gemm_batched_general_kernelIDF16_Li16ELi16ELi32ELi32ELi8ELi32ELi8ELi8ELi32ELc78ELc84EKDF16_S1_DF16_EEvlllT_PT11_llS4_llS2_PT12_llPT13_lli.kd
    .uniform_work_group_size: 1
    .uses_dynamic_stack: false
    .vgpr_count:     43
    .vgpr_spill_count: 0
    .wavefront_size: 32
  - .args:
      - .offset:         0
        .size:           8
        .value_kind:     by_value
      - .offset:         8
        .size:           8
        .value_kind:     by_value
      - .offset:         16
        .size:           8
        .value_kind:     by_value
      - .offset:         24
        .size:           2
        .value_kind:     by_value
      - .address_space:  global
        .offset:         32
        .size:           8
        .value_kind:     global_buffer
      - .offset:         40
        .size:           8
        .value_kind:     by_value
      - .offset:         48
        .size:           8
        .value_kind:     by_value
      - .address_space:  global
        .offset:         56
        .size:           8
        .value_kind:     global_buffer
      - .offset:         64
        .size:           8
        .value_kind:     by_value
      - .offset:         72
        .size:           8
        .value_kind:     by_value
      - .offset:         80
        .size:           2
        .value_kind:     by_value
      - .address_space:  global
        .offset:         88
        .size:           8
        .value_kind:     global_buffer
      - .offset:         96
        .size:           8
        .value_kind:     by_value
      - .offset:         104
        .size:           8
        .value_kind:     by_value
      - .address_space:  global
        .offset:         112
        .size:           8
        .value_kind:     global_buffer
      - .offset:         120
        .size:           8
        .value_kind:     by_value
      - .offset:         128
        .size:           8
        .value_kind:     by_value
      - .offset:         136
        .size:           4
        .value_kind:     by_value
    .group_segment_fixed_size: 1024
    .kernarg_segment_align: 8
    .kernarg_segment_size: 140
    .language:       OpenCL C
    .language_version:
      - 2
      - 0
    .max_flat_workgroup_size: 256
    .name:           _ZN12_GLOBAL__N_135rocblas_gemm_batched_general_kernelIDF16_Li16ELi16ELi32ELi32ELi8ELi32ELi8ELi8ELi32ELc84ELc84EKDF16_S1_DF16_EEvlllT_PT11_llS4_llS2_PT12_llPT13_lli
    .private_segment_fixed_size: 0
    .sgpr_count:     45
    .sgpr_spill_count: 0
    .symbol:         _ZN12_GLOBAL__N_135rocblas_gemm_batched_general_kernelIDF16_Li16ELi16ELi32ELi32ELi8ELi32ELi8ELi8ELi32ELc84ELc84EKDF16_S1_DF16_EEvlllT_PT11_llS4_llS2_PT12_llPT13_lli.kd
    .uniform_work_group_size: 1
    .uses_dynamic_stack: false
    .vgpr_count:     43
    .vgpr_spill_count: 0
    .wavefront_size: 32
  - .args:
      - .offset:         0
        .size:           8
        .value_kind:     by_value
      - .offset:         8
        .size:           8
        .value_kind:     by_value
      - .offset:         16
        .size:           8
        .value_kind:     by_value
      - .offset:         24
        .size:           2
        .value_kind:     by_value
      - .address_space:  global
        .offset:         32
        .size:           8
        .value_kind:     global_buffer
      - .offset:         40
        .size:           8
        .value_kind:     by_value
      - .offset:         48
        .size:           8
        .value_kind:     by_value
      - .address_space:  global
        .offset:         56
        .size:           8
        .value_kind:     global_buffer
      - .offset:         64
        .size:           8
        .value_kind:     by_value
      - .offset:         72
        .size:           8
        .value_kind:     by_value
      - .offset:         80
        .size:           2
        .value_kind:     by_value
      - .address_space:  global
        .offset:         88
        .size:           8
        .value_kind:     global_buffer
      - .offset:         96
        .size:           8
        .value_kind:     by_value
      - .offset:         104
        .size:           8
        .value_kind:     by_value
      - .address_space:  global
        .offset:         112
        .size:           8
        .value_kind:     global_buffer
      - .offset:         120
        .size:           8
        .value_kind:     by_value
      - .offset:         128
        .size:           8
        .value_kind:     by_value
      - .offset:         136
        .size:           4
        .value_kind:     by_value
    .group_segment_fixed_size: 1024
    .kernarg_segment_align: 8
    .kernarg_segment_size: 140
    .language:       OpenCL C
    .language_version:
      - 2
      - 0
    .max_flat_workgroup_size: 256
    .name:           _ZN12_GLOBAL__N_135rocblas_gemm_batched_general_kernelIDF16_Li16ELi16ELi32ELi32ELi8ELi32ELi8ELi8ELi32ELc67ELc67EKDF16_S1_DF16_EEvlllT_PT11_llS4_llS2_PT12_llPT13_lli
    .private_segment_fixed_size: 0
    .sgpr_count:     45
    .sgpr_spill_count: 0
    .symbol:         _ZN12_GLOBAL__N_135rocblas_gemm_batched_general_kernelIDF16_Li16ELi16ELi32ELi32ELi8ELi32ELi8ELi8ELi32ELc67ELc67EKDF16_S1_DF16_EEvlllT_PT11_llS4_llS2_PT12_llPT13_lli.kd
    .uniform_work_group_size: 1
    .uses_dynamic_stack: false
    .vgpr_count:     43
    .vgpr_spill_count: 0
    .wavefront_size: 32
  - .args:
      - .offset:         0
        .size:           8
        .value_kind:     by_value
      - .offset:         8
        .size:           8
        .value_kind:     by_value
      - .offset:         16
        .size:           8
        .value_kind:     by_value
      - .offset:         24
        .size:           2
        .value_kind:     by_value
      - .address_space:  global
        .offset:         32
        .size:           8
        .value_kind:     global_buffer
      - .offset:         40
        .size:           8
        .value_kind:     by_value
      - .offset:         48
        .size:           8
        .value_kind:     by_value
      - .address_space:  global
        .offset:         56
        .size:           8
        .value_kind:     global_buffer
      - .offset:         64
        .size:           8
        .value_kind:     by_value
      - .offset:         72
        .size:           8
        .value_kind:     by_value
      - .offset:         80
        .size:           2
        .value_kind:     by_value
      - .address_space:  global
        .offset:         88
        .size:           8
        .value_kind:     global_buffer
      - .offset:         96
        .size:           8
        .value_kind:     by_value
      - .offset:         104
        .size:           8
        .value_kind:     by_value
      - .address_space:  global
        .offset:         112
        .size:           8
        .value_kind:     global_buffer
      - .offset:         120
        .size:           8
        .value_kind:     by_value
      - .offset:         128
        .size:           8
        .value_kind:     by_value
      - .offset:         136
        .size:           4
        .value_kind:     by_value
    .group_segment_fixed_size: 1024
    .kernarg_segment_align: 8
    .kernarg_segment_size: 140
    .language:       OpenCL C
    .language_version:
      - 2
      - 0
    .max_flat_workgroup_size: 256
    .name:           _ZN12_GLOBAL__N_135rocblas_gemm_batched_general_kernelIDF16_Li16ELi16ELi32ELi32ELi8ELi32ELi8ELi8ELi32ELc67ELc78EKDF16_S1_DF16_EEvlllT_PT11_llS4_llS2_PT12_llPT13_lli
    .private_segment_fixed_size: 0
    .sgpr_count:     43
    .sgpr_spill_count: 0
    .symbol:         _ZN12_GLOBAL__N_135rocblas_gemm_batched_general_kernelIDF16_Li16ELi16ELi32ELi32ELi8ELi32ELi8ELi8ELi32ELc67ELc78EKDF16_S1_DF16_EEvlllT_PT11_llS4_llS2_PT12_llPT13_lli.kd
    .uniform_work_group_size: 1
    .uses_dynamic_stack: false
    .vgpr_count:     43
    .vgpr_spill_count: 0
    .wavefront_size: 32
  - .args:
      - .offset:         0
        .size:           8
        .value_kind:     by_value
      - .offset:         8
        .size:           8
        .value_kind:     by_value
      - .offset:         16
        .size:           8
        .value_kind:     by_value
      - .offset:         24
        .size:           2
        .value_kind:     by_value
      - .address_space:  global
        .offset:         32
        .size:           8
        .value_kind:     global_buffer
      - .offset:         40
        .size:           8
        .value_kind:     by_value
      - .offset:         48
        .size:           8
        .value_kind:     by_value
      - .address_space:  global
        .offset:         56
        .size:           8
        .value_kind:     global_buffer
      - .offset:         64
        .size:           8
        .value_kind:     by_value
      - .offset:         72
        .size:           8
        .value_kind:     by_value
      - .offset:         80
        .size:           2
        .value_kind:     by_value
      - .address_space:  global
        .offset:         88
        .size:           8
        .value_kind:     global_buffer
      - .offset:         96
        .size:           8
        .value_kind:     by_value
      - .offset:         104
        .size:           8
        .value_kind:     by_value
      - .address_space:  global
        .offset:         112
        .size:           8
        .value_kind:     global_buffer
      - .offset:         120
        .size:           8
        .value_kind:     by_value
      - .offset:         128
        .size:           8
        .value_kind:     by_value
      - .offset:         136
        .size:           4
        .value_kind:     by_value
    .group_segment_fixed_size: 1024
    .kernarg_segment_align: 8
    .kernarg_segment_size: 140
    .language:       OpenCL C
    .language_version:
      - 2
      - 0
    .max_flat_workgroup_size: 256
    .name:           _ZN12_GLOBAL__N_135rocblas_gemm_batched_general_kernelIDF16_Li16ELi16ELi32ELi32ELi8ELi32ELi8ELi8ELi32ELc67ELc84EKDF16_S1_DF16_EEvlllT_PT11_llS4_llS2_PT12_llPT13_lli
    .private_segment_fixed_size: 0
    .sgpr_count:     45
    .sgpr_spill_count: 0
    .symbol:         _ZN12_GLOBAL__N_135rocblas_gemm_batched_general_kernelIDF16_Li16ELi16ELi32ELi32ELi8ELi32ELi8ELi8ELi32ELc67ELc84EKDF16_S1_DF16_EEvlllT_PT11_llS4_llS2_PT12_llPT13_lli.kd
    .uniform_work_group_size: 1
    .uses_dynamic_stack: false
    .vgpr_count:     43
    .vgpr_spill_count: 0
    .wavefront_size: 32
  - .args:
      - .offset:         0
        .size:           8
        .value_kind:     by_value
      - .offset:         8
        .size:           8
        .value_kind:     by_value
      - .offset:         16
        .size:           8
        .value_kind:     by_value
      - .offset:         24
        .size:           2
        .value_kind:     by_value
      - .address_space:  global
        .offset:         32
        .size:           8
        .value_kind:     global_buffer
      - .offset:         40
        .size:           8
        .value_kind:     by_value
      - .offset:         48
        .size:           8
        .value_kind:     by_value
      - .address_space:  global
        .offset:         56
        .size:           8
        .value_kind:     global_buffer
      - .offset:         64
        .size:           8
        .value_kind:     by_value
      - .offset:         72
        .size:           8
        .value_kind:     by_value
      - .offset:         80
        .size:           2
        .value_kind:     by_value
      - .address_space:  global
        .offset:         88
        .size:           8
        .value_kind:     global_buffer
      - .offset:         96
        .size:           8
        .value_kind:     by_value
      - .offset:         104
        .size:           8
        .value_kind:     by_value
      - .address_space:  global
        .offset:         112
        .size:           8
        .value_kind:     global_buffer
      - .offset:         120
        .size:           8
        .value_kind:     by_value
      - .offset:         128
        .size:           8
        .value_kind:     by_value
      - .offset:         136
        .size:           4
        .value_kind:     by_value
    .group_segment_fixed_size: 1024
    .kernarg_segment_align: 8
    .kernarg_segment_size: 140
    .language:       OpenCL C
    .language_version:
      - 2
      - 0
    .max_flat_workgroup_size: 256
    .name:           _ZN12_GLOBAL__N_135rocblas_gemm_batched_general_kernelIDF16_Li16ELi16ELi32ELi32ELi8ELi32ELi8ELi8ELi32ELc78ELc67EKDF16_S1_DF16_EEvlllT_PT11_llS4_llS2_PT12_llPT13_lli
    .private_segment_fixed_size: 0
    .sgpr_count:     46
    .sgpr_spill_count: 0
    .symbol:         _ZN12_GLOBAL__N_135rocblas_gemm_batched_general_kernelIDF16_Li16ELi16ELi32ELi32ELi8ELi32ELi8ELi8ELi32ELc78ELc67EKDF16_S1_DF16_EEvlllT_PT11_llS4_llS2_PT12_llPT13_lli.kd
    .uniform_work_group_size: 1
    .uses_dynamic_stack: false
    .vgpr_count:     43
    .vgpr_spill_count: 0
    .wavefront_size: 32
  - .args:
      - .offset:         0
        .size:           8
        .value_kind:     by_value
      - .offset:         8
        .size:           8
        .value_kind:     by_value
      - .offset:         16
        .size:           8
        .value_kind:     by_value
      - .offset:         24
        .size:           2
        .value_kind:     by_value
      - .address_space:  global
        .offset:         32
        .size:           8
        .value_kind:     global_buffer
      - .offset:         40
        .size:           8
        .value_kind:     by_value
      - .offset:         48
        .size:           8
        .value_kind:     by_value
      - .address_space:  global
        .offset:         56
        .size:           8
        .value_kind:     global_buffer
      - .offset:         64
        .size:           8
        .value_kind:     by_value
      - .offset:         72
        .size:           8
        .value_kind:     by_value
      - .offset:         80
        .size:           2
        .value_kind:     by_value
      - .address_space:  global
        .offset:         88
        .size:           8
        .value_kind:     global_buffer
      - .offset:         96
        .size:           8
        .value_kind:     by_value
      - .offset:         104
        .size:           8
        .value_kind:     by_value
      - .address_space:  global
        .offset:         112
        .size:           8
        .value_kind:     global_buffer
      - .offset:         120
        .size:           8
        .value_kind:     by_value
      - .offset:         128
        .size:           8
        .value_kind:     by_value
      - .offset:         136
        .size:           4
        .value_kind:     by_value
    .group_segment_fixed_size: 1024
    .kernarg_segment_align: 8
    .kernarg_segment_size: 140
    .language:       OpenCL C
    .language_version:
      - 2
      - 0
    .max_flat_workgroup_size: 256
    .name:           _ZN12_GLOBAL__N_135rocblas_gemm_batched_general_kernelIDF16_Li16ELi16ELi32ELi32ELi8ELi32ELi8ELi8ELi32ELc84ELc67EKDF16_S1_DF16_EEvlllT_PT11_llS4_llS2_PT12_llPT13_lli
    .private_segment_fixed_size: 0
    .sgpr_count:     45
    .sgpr_spill_count: 0
    .symbol:         _ZN12_GLOBAL__N_135rocblas_gemm_batched_general_kernelIDF16_Li16ELi16ELi32ELi32ELi8ELi32ELi8ELi8ELi32ELc84ELc67EKDF16_S1_DF16_EEvlllT_PT11_llS4_llS2_PT12_llPT13_lli.kd
    .uniform_work_group_size: 1
    .uses_dynamic_stack: false
    .vgpr_count:     43
    .vgpr_spill_count: 0
    .wavefront_size: 32
  - .args:
      - .offset:         0
        .size:           4
        .value_kind:     by_value
      - .offset:         4
        .size:           4
        .value_kind:     by_value
      - .offset:         8
        .size:           4
        .value_kind:     by_value
      - .address_space:  global
        .offset:         16
        .size:           8
        .value_kind:     global_buffer
      - .offset:         24
        .size:           8
        .value_kind:     by_value
      - .offset:         32
        .size:           8
        .value_kind:     by_value
      - .offset:         40
        .size:           8
        .value_kind:     by_value
      - .address_space:  global
        .offset:         48
        .size:           8
        .value_kind:     global_buffer
      - .offset:         56
        .size:           8
        .value_kind:     by_value
      - .offset:         64
        .size:           8
        .value_kind:     by_value
      - .offset:         72
        .size:           8
        .value_kind:     by_value
      - .offset:         80
        .size:           4
        .value_kind:     by_value
    .group_segment_fixed_size: 0
    .kernarg_segment_align: 8
    .kernarg_segment_size: 84
    .language:       OpenCL C
    .language_version:
      - 2
      - 0
    .max_flat_workgroup_size: 1024
    .name:           _ZN12_GLOBAL__N_120gemm_ex_scale_kernelILi32ELi32EfPKDF16_PDF16_EEviiT1_T2_lllT3_llli
    .private_segment_fixed_size: 0
    .sgpr_count:     29
    .sgpr_spill_count: 0
    .symbol:         _ZN12_GLOBAL__N_120gemm_ex_scale_kernelILi32ELi32EfPKDF16_PDF16_EEviiT1_T2_lllT3_llli.kd
    .uniform_work_group_size: 1
    .uses_dynamic_stack: false
    .vgpr_count:     8
    .vgpr_spill_count: 0
    .wavefront_size: 32
  - .args:
      - .offset:         0
        .size:           8
        .value_kind:     by_value
      - .offset:         8
        .size:           8
        .value_kind:     by_value
      - .offset:         16
        .size:           8
        .value_kind:     by_value
      - .offset:         24
        .size:           4
        .value_kind:     by_value
      - .address_space:  global
        .offset:         32
        .size:           8
        .value_kind:     global_buffer
      - .offset:         40
        .size:           8
        .value_kind:     by_value
      - .offset:         48
        .size:           8
        .value_kind:     by_value
      - .address_space:  global
        .offset:         56
        .size:           8
        .value_kind:     global_buffer
      - .offset:         64
        .size:           8
        .value_kind:     by_value
      - .offset:         72
        .size:           8
        .value_kind:     by_value
      - .offset:         80
        .size:           4
        .value_kind:     by_value
      - .address_space:  global
        .offset:         88
        .size:           8
        .value_kind:     global_buffer
      - .offset:         96
        .size:           8
        .value_kind:     by_value
      - .offset:         104
        .size:           8
        .value_kind:     by_value
      - .address_space:  global
        .offset:         112
        .size:           8
        .value_kind:     global_buffer
      - .offset:         120
        .size:           8
        .value_kind:     by_value
      - .offset:         128
        .size:           8
        .value_kind:     by_value
      - .offset:         136
        .size:           4
        .value_kind:     by_value
    .group_segment_fixed_size: 2048
    .kernarg_segment_align: 8
    .kernarg_segment_size: 140
    .language:       OpenCL C
    .language_version:
      - 2
      - 0
    .max_flat_workgroup_size: 256
    .name:           _ZN12_GLOBAL__N_127rocblas_gemm_batched_kernelIfLi16ELi16ELi64ELi64ELi4ELi64ELi4ELi4ELi64ELc78ELc78EKDF16_S1_DF16_EEvlllT_PT11_llS4_llS2_PT12_llPT13_lli
    .private_segment_fixed_size: 0
    .sgpr_count:     38
    .sgpr_spill_count: 0
    .symbol:         _ZN12_GLOBAL__N_127rocblas_gemm_batched_kernelIfLi16ELi16ELi64ELi64ELi4ELi64ELi4ELi4ELi64ELc78ELc78EKDF16_S1_DF16_EEvlllT_PT11_llS4_llS2_PT12_llPT13_lli.kd
    .uniform_work_group_size: 1
    .uses_dynamic_stack: false
    .vgpr_count:     74
    .vgpr_spill_count: 0
    .wavefront_size: 32
  - .args:
      - .offset:         0
        .size:           8
        .value_kind:     by_value
      - .offset:         8
        .size:           8
        .value_kind:     by_value
      - .offset:         16
        .size:           8
        .value_kind:     by_value
      - .offset:         24
        .size:           4
        .value_kind:     by_value
      - .address_space:  global
        .offset:         32
        .size:           8
        .value_kind:     global_buffer
      - .offset:         40
        .size:           8
        .value_kind:     by_value
      - .offset:         48
        .size:           8
        .value_kind:     by_value
      - .address_space:  global
        .offset:         56
        .size:           8
        .value_kind:     global_buffer
      - .offset:         64
        .size:           8
        .value_kind:     by_value
      - .offset:         72
        .size:           8
        .value_kind:     by_value
      - .offset:         80
        .size:           4
        .value_kind:     by_value
      - .address_space:  global
        .offset:         88
        .size:           8
        .value_kind:     global_buffer
      - .offset:         96
        .size:           8
        .value_kind:     by_value
      - .offset:         104
        .size:           8
        .value_kind:     by_value
      - .address_space:  global
        .offset:         112
        .size:           8
        .value_kind:     global_buffer
      - .offset:         120
        .size:           8
        .value_kind:     by_value
      - .offset:         128
        .size:           8
        .value_kind:     by_value
      - .offset:         136
        .size:           4
        .value_kind:     by_value
    .group_segment_fixed_size: 2048
    .kernarg_segment_align: 8
    .kernarg_segment_size: 140
    .language:       OpenCL C
    .language_version:
      - 2
      - 0
    .max_flat_workgroup_size: 256
    .name:           _ZN12_GLOBAL__N_127rocblas_gemm_batched_kernelIfLi16ELi16ELi64ELi64ELi4ELi64ELi4ELi4ELi64ELc84ELc78EKDF16_S1_DF16_EEvlllT_PT11_llS4_llS2_PT12_llPT13_lli
    .private_segment_fixed_size: 0
    .sgpr_count:     40
    .sgpr_spill_count: 0
    .symbol:         _ZN12_GLOBAL__N_127rocblas_gemm_batched_kernelIfLi16ELi16ELi64ELi64ELi4ELi64ELi4ELi4ELi64ELc84ELc78EKDF16_S1_DF16_EEvlllT_PT11_llS4_llS2_PT12_llPT13_lli.kd
    .uniform_work_group_size: 1
    .uses_dynamic_stack: false
    .vgpr_count:     74
    .vgpr_spill_count: 0
    .wavefront_size: 32
  - .args:
      - .offset:         0
        .size:           8
        .value_kind:     by_value
      - .offset:         8
        .size:           8
        .value_kind:     by_value
      - .offset:         16
        .size:           8
        .value_kind:     by_value
      - .offset:         24
        .size:           4
        .value_kind:     by_value
      - .address_space:  global
        .offset:         32
        .size:           8
        .value_kind:     global_buffer
      - .offset:         40
        .size:           8
        .value_kind:     by_value
      - .offset:         48
        .size:           8
        .value_kind:     by_value
      - .address_space:  global
        .offset:         56
        .size:           8
        .value_kind:     global_buffer
      - .offset:         64
        .size:           8
        .value_kind:     by_value
      - .offset:         72
        .size:           8
        .value_kind:     by_value
      - .offset:         80
        .size:           4
        .value_kind:     by_value
      - .address_space:  global
        .offset:         88
        .size:           8
        .value_kind:     global_buffer
      - .offset:         96
        .size:           8
        .value_kind:     by_value
      - .offset:         104
        .size:           8
        .value_kind:     by_value
      - .address_space:  global
        .offset:         112
        .size:           8
        .value_kind:     global_buffer
      - .offset:         120
        .size:           8
        .value_kind:     by_value
      - .offset:         128
        .size:           8
        .value_kind:     by_value
      - .offset:         136
        .size:           4
        .value_kind:     by_value
    .group_segment_fixed_size: 2048
    .kernarg_segment_align: 8
    .kernarg_segment_size: 140
    .language:       OpenCL C
    .language_version:
      - 2
      - 0
    .max_flat_workgroup_size: 256
    .name:           _ZN12_GLOBAL__N_127rocblas_gemm_batched_kernelIfLi16ELi16ELi64ELi64ELi4ELi64ELi4ELi4ELi64ELc78ELc84EKDF16_S1_DF16_EEvlllT_PT11_llS4_llS2_PT12_llPT13_lli
    .private_segment_fixed_size: 0
    .sgpr_count:     40
    .sgpr_spill_count: 0
    .symbol:         _ZN12_GLOBAL__N_127rocblas_gemm_batched_kernelIfLi16ELi16ELi64ELi64ELi4ELi64ELi4ELi4ELi64ELc78ELc84EKDF16_S1_DF16_EEvlllT_PT11_llS4_llS2_PT12_llPT13_lli.kd
    .uniform_work_group_size: 1
    .uses_dynamic_stack: false
    .vgpr_count:     74
    .vgpr_spill_count: 0
    .wavefront_size: 32
  - .args:
      - .offset:         0
        .size:           8
        .value_kind:     by_value
      - .offset:         8
        .size:           8
        .value_kind:     by_value
      - .offset:         16
        .size:           8
        .value_kind:     by_value
      - .offset:         24
        .size:           4
        .value_kind:     by_value
      - .address_space:  global
        .offset:         32
        .size:           8
        .value_kind:     global_buffer
      - .offset:         40
        .size:           8
        .value_kind:     by_value
      - .offset:         48
        .size:           8
        .value_kind:     by_value
      - .address_space:  global
        .offset:         56
        .size:           8
        .value_kind:     global_buffer
      - .offset:         64
        .size:           8
        .value_kind:     by_value
      - .offset:         72
        .size:           8
        .value_kind:     by_value
      - .offset:         80
        .size:           4
        .value_kind:     by_value
      - .address_space:  global
        .offset:         88
        .size:           8
        .value_kind:     global_buffer
      - .offset:         96
        .size:           8
        .value_kind:     by_value
      - .offset:         104
        .size:           8
        .value_kind:     by_value
      - .address_space:  global
        .offset:         112
        .size:           8
        .value_kind:     global_buffer
      - .offset:         120
        .size:           8
        .value_kind:     by_value
      - .offset:         128
        .size:           8
        .value_kind:     by_value
      - .offset:         136
        .size:           4
        .value_kind:     by_value
    .group_segment_fixed_size: 2048
    .kernarg_segment_align: 8
    .kernarg_segment_size: 140
    .language:       OpenCL C
    .language_version:
      - 2
      - 0
    .max_flat_workgroup_size: 256
    .name:           _ZN12_GLOBAL__N_127rocblas_gemm_batched_kernelIfLi16ELi16ELi64ELi64ELi4ELi64ELi4ELi4ELi64ELc84ELc84EKDF16_S1_DF16_EEvlllT_PT11_llS4_llS2_PT12_llPT13_lli
    .private_segment_fixed_size: 0
    .sgpr_count:     40
    .sgpr_spill_count: 0
    .symbol:         _ZN12_GLOBAL__N_127rocblas_gemm_batched_kernelIfLi16ELi16ELi64ELi64ELi4ELi64ELi4ELi4ELi64ELc84ELc84EKDF16_S1_DF16_EEvlllT_PT11_llS4_llS2_PT12_llPT13_lli.kd
    .uniform_work_group_size: 1
    .uses_dynamic_stack: false
    .vgpr_count:     74
    .vgpr_spill_count: 0
    .wavefront_size: 32
  - .args:
      - .offset:         0
        .size:           8
        .value_kind:     by_value
      - .offset:         8
        .size:           8
        .value_kind:     by_value
      - .offset:         16
        .size:           8
        .value_kind:     by_value
      - .offset:         24
        .size:           4
        .value_kind:     by_value
      - .address_space:  global
        .offset:         32
        .size:           8
        .value_kind:     global_buffer
      - .offset:         40
        .size:           8
        .value_kind:     by_value
      - .offset:         48
        .size:           8
        .value_kind:     by_value
      - .address_space:  global
        .offset:         56
        .size:           8
        .value_kind:     global_buffer
      - .offset:         64
        .size:           8
        .value_kind:     by_value
      - .offset:         72
        .size:           8
        .value_kind:     by_value
      - .offset:         80
        .size:           4
        .value_kind:     by_value
      - .address_space:  global
        .offset:         88
        .size:           8
        .value_kind:     global_buffer
      - .offset:         96
        .size:           8
        .value_kind:     by_value
      - .offset:         104
        .size:           8
        .value_kind:     by_value
      - .address_space:  global
        .offset:         112
        .size:           8
        .value_kind:     global_buffer
      - .offset:         120
        .size:           8
        .value_kind:     by_value
      - .offset:         128
        .size:           8
        .value_kind:     by_value
      - .offset:         136
        .size:           4
        .value_kind:     by_value
    .group_segment_fixed_size: 2048
    .kernarg_segment_align: 8
    .kernarg_segment_size: 140
    .language:       OpenCL C
    .language_version:
      - 2
      - 0
    .max_flat_workgroup_size: 256
    .name:           _ZN12_GLOBAL__N_127rocblas_gemm_batched_kernelIfLi16ELi16ELi64ELi64ELi4ELi64ELi4ELi4ELi64ELc67ELc67EKDF16_S1_DF16_EEvlllT_PT11_llS4_llS2_PT12_llPT13_lli
    .private_segment_fixed_size: 0
    .sgpr_count:     40
    .sgpr_spill_count: 0
    .symbol:         _ZN12_GLOBAL__N_127rocblas_gemm_batched_kernelIfLi16ELi16ELi64ELi64ELi4ELi64ELi4ELi4ELi64ELc67ELc67EKDF16_S1_DF16_EEvlllT_PT11_llS4_llS2_PT12_llPT13_lli.kd
    .uniform_work_group_size: 1
    .uses_dynamic_stack: false
    .vgpr_count:     74
    .vgpr_spill_count: 0
    .wavefront_size: 32
  - .args:
      - .offset:         0
        .size:           8
        .value_kind:     by_value
      - .offset:         8
        .size:           8
        .value_kind:     by_value
      - .offset:         16
        .size:           8
        .value_kind:     by_value
      - .offset:         24
        .size:           4
        .value_kind:     by_value
      - .address_space:  global
        .offset:         32
        .size:           8
        .value_kind:     global_buffer
      - .offset:         40
        .size:           8
        .value_kind:     by_value
      - .offset:         48
        .size:           8
        .value_kind:     by_value
      - .address_space:  global
        .offset:         56
        .size:           8
        .value_kind:     global_buffer
      - .offset:         64
        .size:           8
        .value_kind:     by_value
      - .offset:         72
        .size:           8
        .value_kind:     by_value
      - .offset:         80
        .size:           4
        .value_kind:     by_value
      - .address_space:  global
        .offset:         88
        .size:           8
        .value_kind:     global_buffer
      - .offset:         96
        .size:           8
        .value_kind:     by_value
      - .offset:         104
        .size:           8
        .value_kind:     by_value
      - .address_space:  global
        .offset:         112
        .size:           8
        .value_kind:     global_buffer
      - .offset:         120
        .size:           8
        .value_kind:     by_value
      - .offset:         128
        .size:           8
        .value_kind:     by_value
      - .offset:         136
        .size:           4
        .value_kind:     by_value
    .group_segment_fixed_size: 2048
    .kernarg_segment_align: 8
    .kernarg_segment_size: 140
    .language:       OpenCL C
    .language_version:
      - 2
      - 0
    .max_flat_workgroup_size: 256
    .name:           _ZN12_GLOBAL__N_127rocblas_gemm_batched_kernelIfLi16ELi16ELi64ELi64ELi4ELi64ELi4ELi4ELi64ELc67ELc78EKDF16_S1_DF16_EEvlllT_PT11_llS4_llS2_PT12_llPT13_lli
    .private_segment_fixed_size: 0
    .sgpr_count:     40
    .sgpr_spill_count: 0
    .symbol:         _ZN12_GLOBAL__N_127rocblas_gemm_batched_kernelIfLi16ELi16ELi64ELi64ELi4ELi64ELi4ELi4ELi64ELc67ELc78EKDF16_S1_DF16_EEvlllT_PT11_llS4_llS2_PT12_llPT13_lli.kd
    .uniform_work_group_size: 1
    .uses_dynamic_stack: false
    .vgpr_count:     74
    .vgpr_spill_count: 0
    .wavefront_size: 32
  - .args:
      - .offset:         0
        .size:           8
        .value_kind:     by_value
      - .offset:         8
        .size:           8
        .value_kind:     by_value
      - .offset:         16
        .size:           8
        .value_kind:     by_value
      - .offset:         24
        .size:           4
        .value_kind:     by_value
      - .address_space:  global
        .offset:         32
        .size:           8
        .value_kind:     global_buffer
      - .offset:         40
        .size:           8
        .value_kind:     by_value
      - .offset:         48
        .size:           8
        .value_kind:     by_value
      - .address_space:  global
        .offset:         56
        .size:           8
        .value_kind:     global_buffer
      - .offset:         64
        .size:           8
        .value_kind:     by_value
      - .offset:         72
        .size:           8
        .value_kind:     by_value
      - .offset:         80
        .size:           4
        .value_kind:     by_value
      - .address_space:  global
        .offset:         88
        .size:           8
        .value_kind:     global_buffer
      - .offset:         96
        .size:           8
        .value_kind:     by_value
      - .offset:         104
        .size:           8
        .value_kind:     by_value
      - .address_space:  global
        .offset:         112
        .size:           8
        .value_kind:     global_buffer
      - .offset:         120
        .size:           8
        .value_kind:     by_value
      - .offset:         128
        .size:           8
        .value_kind:     by_value
      - .offset:         136
        .size:           4
        .value_kind:     by_value
    .group_segment_fixed_size: 2048
    .kernarg_segment_align: 8
    .kernarg_segment_size: 140
    .language:       OpenCL C
    .language_version:
      - 2
      - 0
    .max_flat_workgroup_size: 256
    .name:           _ZN12_GLOBAL__N_127rocblas_gemm_batched_kernelIfLi16ELi16ELi64ELi64ELi4ELi64ELi4ELi4ELi64ELc67ELc84EKDF16_S1_DF16_EEvlllT_PT11_llS4_llS2_PT12_llPT13_lli
    .private_segment_fixed_size: 0
    .sgpr_count:     40
    .sgpr_spill_count: 0
    .symbol:         _ZN12_GLOBAL__N_127rocblas_gemm_batched_kernelIfLi16ELi16ELi64ELi64ELi4ELi64ELi4ELi4ELi64ELc67ELc84EKDF16_S1_DF16_EEvlllT_PT11_llS4_llS2_PT12_llPT13_lli.kd
    .uniform_work_group_size: 1
    .uses_dynamic_stack: false
    .vgpr_count:     74
    .vgpr_spill_count: 0
    .wavefront_size: 32
  - .args:
      - .offset:         0
        .size:           8
        .value_kind:     by_value
      - .offset:         8
        .size:           8
        .value_kind:     by_value
      - .offset:         16
        .size:           8
        .value_kind:     by_value
      - .offset:         24
        .size:           4
        .value_kind:     by_value
      - .address_space:  global
        .offset:         32
        .size:           8
        .value_kind:     global_buffer
      - .offset:         40
        .size:           8
        .value_kind:     by_value
      - .offset:         48
        .size:           8
        .value_kind:     by_value
      - .address_space:  global
        .offset:         56
        .size:           8
        .value_kind:     global_buffer
      - .offset:         64
        .size:           8
        .value_kind:     by_value
      - .offset:         72
        .size:           8
        .value_kind:     by_value
      - .offset:         80
        .size:           4
        .value_kind:     by_value
      - .address_space:  global
        .offset:         88
        .size:           8
        .value_kind:     global_buffer
      - .offset:         96
        .size:           8
        .value_kind:     by_value
      - .offset:         104
        .size:           8
        .value_kind:     by_value
      - .address_space:  global
        .offset:         112
        .size:           8
        .value_kind:     global_buffer
      - .offset:         120
        .size:           8
        .value_kind:     by_value
      - .offset:         128
        .size:           8
        .value_kind:     by_value
      - .offset:         136
        .size:           4
        .value_kind:     by_value
    .group_segment_fixed_size: 2048
    .kernarg_segment_align: 8
    .kernarg_segment_size: 140
    .language:       OpenCL C
    .language_version:
      - 2
      - 0
    .max_flat_workgroup_size: 256
    .name:           _ZN12_GLOBAL__N_127rocblas_gemm_batched_kernelIfLi16ELi16ELi64ELi64ELi4ELi64ELi4ELi4ELi64ELc78ELc67EKDF16_S1_DF16_EEvlllT_PT11_llS4_llS2_PT12_llPT13_lli
    .private_segment_fixed_size: 0
    .sgpr_count:     40
    .sgpr_spill_count: 0
    .symbol:         _ZN12_GLOBAL__N_127rocblas_gemm_batched_kernelIfLi16ELi16ELi64ELi64ELi4ELi64ELi4ELi4ELi64ELc78ELc67EKDF16_S1_DF16_EEvlllT_PT11_llS4_llS2_PT12_llPT13_lli.kd
    .uniform_work_group_size: 1
    .uses_dynamic_stack: false
    .vgpr_count:     74
    .vgpr_spill_count: 0
    .wavefront_size: 32
  - .args:
      - .offset:         0
        .size:           8
        .value_kind:     by_value
      - .offset:         8
        .size:           8
        .value_kind:     by_value
      - .offset:         16
        .size:           8
        .value_kind:     by_value
      - .offset:         24
        .size:           4
        .value_kind:     by_value
      - .address_space:  global
        .offset:         32
        .size:           8
        .value_kind:     global_buffer
      - .offset:         40
        .size:           8
        .value_kind:     by_value
      - .offset:         48
        .size:           8
        .value_kind:     by_value
      - .address_space:  global
        .offset:         56
        .size:           8
        .value_kind:     global_buffer
      - .offset:         64
        .size:           8
        .value_kind:     by_value
      - .offset:         72
        .size:           8
        .value_kind:     by_value
      - .offset:         80
        .size:           4
        .value_kind:     by_value
      - .address_space:  global
        .offset:         88
        .size:           8
        .value_kind:     global_buffer
      - .offset:         96
        .size:           8
        .value_kind:     by_value
      - .offset:         104
        .size:           8
        .value_kind:     by_value
      - .address_space:  global
        .offset:         112
        .size:           8
        .value_kind:     global_buffer
      - .offset:         120
        .size:           8
        .value_kind:     by_value
      - .offset:         128
        .size:           8
        .value_kind:     by_value
      - .offset:         136
        .size:           4
        .value_kind:     by_value
    .group_segment_fixed_size: 2048
    .kernarg_segment_align: 8
    .kernarg_segment_size: 140
    .language:       OpenCL C
    .language_version:
      - 2
      - 0
    .max_flat_workgroup_size: 256
    .name:           _ZN12_GLOBAL__N_127rocblas_gemm_batched_kernelIfLi16ELi16ELi64ELi64ELi4ELi64ELi4ELi4ELi64ELc84ELc67EKDF16_S1_DF16_EEvlllT_PT11_llS4_llS2_PT12_llPT13_lli
    .private_segment_fixed_size: 0
    .sgpr_count:     40
    .sgpr_spill_count: 0
    .symbol:         _ZN12_GLOBAL__N_127rocblas_gemm_batched_kernelIfLi16ELi16ELi64ELi64ELi4ELi64ELi4ELi4ELi64ELc84ELc67EKDF16_S1_DF16_EEvlllT_PT11_llS4_llS2_PT12_llPT13_lli.kd
    .uniform_work_group_size: 1
    .uses_dynamic_stack: false
    .vgpr_count:     74
    .vgpr_spill_count: 0
    .wavefront_size: 32
  - .args:
      - .offset:         0
        .size:           8
        .value_kind:     by_value
      - .offset:         8
        .size:           8
        .value_kind:     by_value
      - .offset:         16
        .size:           8
        .value_kind:     by_value
      - .offset:         24
        .size:           4
        .value_kind:     by_value
      - .address_space:  global
        .offset:         32
        .size:           8
        .value_kind:     global_buffer
      - .offset:         40
        .size:           8
        .value_kind:     by_value
      - .offset:         48
        .size:           8
        .value_kind:     by_value
      - .address_space:  global
        .offset:         56
        .size:           8
        .value_kind:     global_buffer
      - .offset:         64
        .size:           8
        .value_kind:     by_value
      - .offset:         72
        .size:           8
        .value_kind:     by_value
      - .offset:         80
        .size:           4
        .value_kind:     by_value
      - .address_space:  global
        .offset:         88
        .size:           8
        .value_kind:     global_buffer
      - .offset:         96
        .size:           8
        .value_kind:     by_value
      - .offset:         104
        .size:           8
        .value_kind:     by_value
      - .address_space:  global
        .offset:         112
        .size:           8
        .value_kind:     global_buffer
      - .offset:         120
        .size:           8
        .value_kind:     by_value
      - .offset:         128
        .size:           8
        .value_kind:     by_value
      - .offset:         136
        .size:           4
        .value_kind:     by_value
    .group_segment_fixed_size: 2048
    .kernarg_segment_align: 8
    .kernarg_segment_size: 140
    .language:       OpenCL C
    .language_version:
      - 2
      - 0
    .max_flat_workgroup_size: 256
    .name:           _ZN12_GLOBAL__N_127rocblas_gemm_batched_kernelIfLi16ELi16ELi32ELi32ELi8ELi32ELi8ELi8ELi32ELc78ELc78EKDF16_S1_DF16_EEvlllT_PT11_llS4_llS2_PT12_llPT13_lli
    .private_segment_fixed_size: 0
    .sgpr_count:     38
    .sgpr_spill_count: 0
    .symbol:         _ZN12_GLOBAL__N_127rocblas_gemm_batched_kernelIfLi16ELi16ELi32ELi32ELi8ELi32ELi8ELi8ELi32ELc78ELc78EKDF16_S1_DF16_EEvlllT_PT11_llS4_llS2_PT12_llPT13_lli.kd
    .uniform_work_group_size: 1
    .uses_dynamic_stack: false
    .vgpr_count:     56
    .vgpr_spill_count: 0
    .wavefront_size: 32
  - .args:
      - .offset:         0
        .size:           8
        .value_kind:     by_value
      - .offset:         8
        .size:           8
        .value_kind:     by_value
      - .offset:         16
        .size:           8
        .value_kind:     by_value
      - .offset:         24
        .size:           4
        .value_kind:     by_value
      - .address_space:  global
        .offset:         32
        .size:           8
        .value_kind:     global_buffer
      - .offset:         40
        .size:           8
        .value_kind:     by_value
      - .offset:         48
        .size:           8
        .value_kind:     by_value
      - .address_space:  global
        .offset:         56
        .size:           8
        .value_kind:     global_buffer
      - .offset:         64
        .size:           8
        .value_kind:     by_value
      - .offset:         72
        .size:           8
        .value_kind:     by_value
      - .offset:         80
        .size:           4
        .value_kind:     by_value
      - .address_space:  global
        .offset:         88
        .size:           8
        .value_kind:     global_buffer
      - .offset:         96
        .size:           8
        .value_kind:     by_value
      - .offset:         104
        .size:           8
        .value_kind:     by_value
      - .address_space:  global
        .offset:         112
        .size:           8
        .value_kind:     global_buffer
      - .offset:         120
        .size:           8
        .value_kind:     by_value
      - .offset:         128
        .size:           8
        .value_kind:     by_value
      - .offset:         136
        .size:           4
        .value_kind:     by_value
    .group_segment_fixed_size: 2048
    .kernarg_segment_align: 8
    .kernarg_segment_size: 140
    .language:       OpenCL C
    .language_version:
      - 2
      - 0
    .max_flat_workgroup_size: 256
    .name:           _ZN12_GLOBAL__N_127rocblas_gemm_batched_kernelIfLi16ELi16ELi32ELi32ELi8ELi32ELi8ELi8ELi32ELc84ELc78EKDF16_S1_DF16_EEvlllT_PT11_llS4_llS2_PT12_llPT13_lli
    .private_segment_fixed_size: 0
    .sgpr_count:     40
    .sgpr_spill_count: 0
    .symbol:         _ZN12_GLOBAL__N_127rocblas_gemm_batched_kernelIfLi16ELi16ELi32ELi32ELi8ELi32ELi8ELi8ELi32ELc84ELc78EKDF16_S1_DF16_EEvlllT_PT11_llS4_llS2_PT12_llPT13_lli.kd
    .uniform_work_group_size: 1
    .uses_dynamic_stack: false
    .vgpr_count:     56
    .vgpr_spill_count: 0
    .wavefront_size: 32
  - .args:
      - .offset:         0
        .size:           8
        .value_kind:     by_value
      - .offset:         8
        .size:           8
        .value_kind:     by_value
      - .offset:         16
        .size:           8
        .value_kind:     by_value
      - .offset:         24
        .size:           4
        .value_kind:     by_value
      - .address_space:  global
        .offset:         32
        .size:           8
        .value_kind:     global_buffer
      - .offset:         40
        .size:           8
        .value_kind:     by_value
      - .offset:         48
        .size:           8
        .value_kind:     by_value
      - .address_space:  global
        .offset:         56
        .size:           8
        .value_kind:     global_buffer
      - .offset:         64
        .size:           8
        .value_kind:     by_value
      - .offset:         72
        .size:           8
        .value_kind:     by_value
      - .offset:         80
        .size:           4
        .value_kind:     by_value
      - .address_space:  global
        .offset:         88
        .size:           8
        .value_kind:     global_buffer
      - .offset:         96
        .size:           8
        .value_kind:     by_value
      - .offset:         104
        .size:           8
        .value_kind:     by_value
      - .address_space:  global
        .offset:         112
        .size:           8
        .value_kind:     global_buffer
      - .offset:         120
        .size:           8
        .value_kind:     by_value
      - .offset:         128
        .size:           8
        .value_kind:     by_value
      - .offset:         136
        .size:           4
        .value_kind:     by_value
    .group_segment_fixed_size: 2048
    .kernarg_segment_align: 8
    .kernarg_segment_size: 140
    .language:       OpenCL C
    .language_version:
      - 2
      - 0
    .max_flat_workgroup_size: 256
    .name:           _ZN12_GLOBAL__N_127rocblas_gemm_batched_kernelIfLi16ELi16ELi32ELi32ELi8ELi32ELi8ELi8ELi32ELc78ELc84EKDF16_S1_DF16_EEvlllT_PT11_llS4_llS2_PT12_llPT13_lli
    .private_segment_fixed_size: 0
    .sgpr_count:     40
    .sgpr_spill_count: 0
    .symbol:         _ZN12_GLOBAL__N_127rocblas_gemm_batched_kernelIfLi16ELi16ELi32ELi32ELi8ELi32ELi8ELi8ELi32ELc78ELc84EKDF16_S1_DF16_EEvlllT_PT11_llS4_llS2_PT12_llPT13_lli.kd
    .uniform_work_group_size: 1
    .uses_dynamic_stack: false
    .vgpr_count:     56
    .vgpr_spill_count: 0
    .wavefront_size: 32
  - .args:
      - .offset:         0
        .size:           8
        .value_kind:     by_value
      - .offset:         8
        .size:           8
        .value_kind:     by_value
      - .offset:         16
        .size:           8
        .value_kind:     by_value
      - .offset:         24
        .size:           4
        .value_kind:     by_value
      - .address_space:  global
        .offset:         32
        .size:           8
        .value_kind:     global_buffer
      - .offset:         40
        .size:           8
        .value_kind:     by_value
      - .offset:         48
        .size:           8
        .value_kind:     by_value
      - .address_space:  global
        .offset:         56
        .size:           8
        .value_kind:     global_buffer
      - .offset:         64
        .size:           8
        .value_kind:     by_value
      - .offset:         72
        .size:           8
        .value_kind:     by_value
      - .offset:         80
        .size:           4
        .value_kind:     by_value
      - .address_space:  global
        .offset:         88
        .size:           8
        .value_kind:     global_buffer
      - .offset:         96
        .size:           8
        .value_kind:     by_value
      - .offset:         104
        .size:           8
        .value_kind:     by_value
      - .address_space:  global
        .offset:         112
        .size:           8
        .value_kind:     global_buffer
      - .offset:         120
        .size:           8
        .value_kind:     by_value
      - .offset:         128
        .size:           8
        .value_kind:     by_value
      - .offset:         136
        .size:           4
        .value_kind:     by_value
    .group_segment_fixed_size: 2048
    .kernarg_segment_align: 8
    .kernarg_segment_size: 140
    .language:       OpenCL C
    .language_version:
      - 2
      - 0
    .max_flat_workgroup_size: 256
    .name:           _ZN12_GLOBAL__N_127rocblas_gemm_batched_kernelIfLi16ELi16ELi32ELi32ELi8ELi32ELi8ELi8ELi32ELc84ELc84EKDF16_S1_DF16_EEvlllT_PT11_llS4_llS2_PT12_llPT13_lli
    .private_segment_fixed_size: 0
    .sgpr_count:     40
    .sgpr_spill_count: 0
    .symbol:         _ZN12_GLOBAL__N_127rocblas_gemm_batched_kernelIfLi16ELi16ELi32ELi32ELi8ELi32ELi8ELi8ELi32ELc84ELc84EKDF16_S1_DF16_EEvlllT_PT11_llS4_llS2_PT12_llPT13_lli.kd
    .uniform_work_group_size: 1
    .uses_dynamic_stack: false
    .vgpr_count:     56
    .vgpr_spill_count: 0
    .wavefront_size: 32
  - .args:
      - .offset:         0
        .size:           8
        .value_kind:     by_value
      - .offset:         8
        .size:           8
        .value_kind:     by_value
      - .offset:         16
        .size:           8
        .value_kind:     by_value
      - .offset:         24
        .size:           4
        .value_kind:     by_value
      - .address_space:  global
        .offset:         32
        .size:           8
        .value_kind:     global_buffer
      - .offset:         40
        .size:           8
        .value_kind:     by_value
      - .offset:         48
        .size:           8
        .value_kind:     by_value
      - .address_space:  global
        .offset:         56
        .size:           8
        .value_kind:     global_buffer
      - .offset:         64
        .size:           8
        .value_kind:     by_value
      - .offset:         72
        .size:           8
        .value_kind:     by_value
      - .offset:         80
        .size:           4
        .value_kind:     by_value
      - .address_space:  global
        .offset:         88
        .size:           8
        .value_kind:     global_buffer
      - .offset:         96
        .size:           8
        .value_kind:     by_value
      - .offset:         104
        .size:           8
        .value_kind:     by_value
      - .address_space:  global
        .offset:         112
        .size:           8
        .value_kind:     global_buffer
      - .offset:         120
        .size:           8
        .value_kind:     by_value
      - .offset:         128
        .size:           8
        .value_kind:     by_value
      - .offset:         136
        .size:           4
        .value_kind:     by_value
    .group_segment_fixed_size: 2048
    .kernarg_segment_align: 8
    .kernarg_segment_size: 140
    .language:       OpenCL C
    .language_version:
      - 2
      - 0
    .max_flat_workgroup_size: 256
    .name:           _ZN12_GLOBAL__N_127rocblas_gemm_batched_kernelIfLi16ELi16ELi32ELi32ELi8ELi32ELi8ELi8ELi32ELc67ELc67EKDF16_S1_DF16_EEvlllT_PT11_llS4_llS2_PT12_llPT13_lli
    .private_segment_fixed_size: 0
    .sgpr_count:     40
    .sgpr_spill_count: 0
    .symbol:         _ZN12_GLOBAL__N_127rocblas_gemm_batched_kernelIfLi16ELi16ELi32ELi32ELi8ELi32ELi8ELi8ELi32ELc67ELc67EKDF16_S1_DF16_EEvlllT_PT11_llS4_llS2_PT12_llPT13_lli.kd
    .uniform_work_group_size: 1
    .uses_dynamic_stack: false
    .vgpr_count:     56
    .vgpr_spill_count: 0
    .wavefront_size: 32
  - .args:
      - .offset:         0
        .size:           8
        .value_kind:     by_value
      - .offset:         8
        .size:           8
        .value_kind:     by_value
      - .offset:         16
        .size:           8
        .value_kind:     by_value
      - .offset:         24
        .size:           4
        .value_kind:     by_value
      - .address_space:  global
        .offset:         32
        .size:           8
        .value_kind:     global_buffer
      - .offset:         40
        .size:           8
        .value_kind:     by_value
      - .offset:         48
        .size:           8
        .value_kind:     by_value
      - .address_space:  global
        .offset:         56
        .size:           8
        .value_kind:     global_buffer
      - .offset:         64
        .size:           8
        .value_kind:     by_value
      - .offset:         72
        .size:           8
        .value_kind:     by_value
      - .offset:         80
        .size:           4
        .value_kind:     by_value
      - .address_space:  global
        .offset:         88
        .size:           8
        .value_kind:     global_buffer
      - .offset:         96
        .size:           8
        .value_kind:     by_value
      - .offset:         104
        .size:           8
        .value_kind:     by_value
      - .address_space:  global
        .offset:         112
        .size:           8
        .value_kind:     global_buffer
      - .offset:         120
        .size:           8
        .value_kind:     by_value
      - .offset:         128
        .size:           8
        .value_kind:     by_value
      - .offset:         136
        .size:           4
        .value_kind:     by_value
    .group_segment_fixed_size: 2048
    .kernarg_segment_align: 8
    .kernarg_segment_size: 140
    .language:       OpenCL C
    .language_version:
      - 2
      - 0
    .max_flat_workgroup_size: 256
    .name:           _ZN12_GLOBAL__N_127rocblas_gemm_batched_kernelIfLi16ELi16ELi32ELi32ELi8ELi32ELi8ELi8ELi32ELc67ELc78EKDF16_S1_DF16_EEvlllT_PT11_llS4_llS2_PT12_llPT13_lli
    .private_segment_fixed_size: 0
    .sgpr_count:     40
    .sgpr_spill_count: 0
    .symbol:         _ZN12_GLOBAL__N_127rocblas_gemm_batched_kernelIfLi16ELi16ELi32ELi32ELi8ELi32ELi8ELi8ELi32ELc67ELc78EKDF16_S1_DF16_EEvlllT_PT11_llS4_llS2_PT12_llPT13_lli.kd
    .uniform_work_group_size: 1
    .uses_dynamic_stack: false
    .vgpr_count:     56
    .vgpr_spill_count: 0
    .wavefront_size: 32
  - .args:
      - .offset:         0
        .size:           8
        .value_kind:     by_value
      - .offset:         8
        .size:           8
        .value_kind:     by_value
      - .offset:         16
        .size:           8
        .value_kind:     by_value
      - .offset:         24
        .size:           4
        .value_kind:     by_value
      - .address_space:  global
        .offset:         32
        .size:           8
        .value_kind:     global_buffer
      - .offset:         40
        .size:           8
        .value_kind:     by_value
      - .offset:         48
        .size:           8
        .value_kind:     by_value
      - .address_space:  global
        .offset:         56
        .size:           8
        .value_kind:     global_buffer
      - .offset:         64
        .size:           8
        .value_kind:     by_value
      - .offset:         72
        .size:           8
        .value_kind:     by_value
      - .offset:         80
        .size:           4
        .value_kind:     by_value
      - .address_space:  global
        .offset:         88
        .size:           8
        .value_kind:     global_buffer
      - .offset:         96
        .size:           8
        .value_kind:     by_value
      - .offset:         104
        .size:           8
        .value_kind:     by_value
      - .address_space:  global
        .offset:         112
        .size:           8
        .value_kind:     global_buffer
      - .offset:         120
        .size:           8
        .value_kind:     by_value
      - .offset:         128
        .size:           8
        .value_kind:     by_value
      - .offset:         136
        .size:           4
        .value_kind:     by_value
    .group_segment_fixed_size: 2048
    .kernarg_segment_align: 8
    .kernarg_segment_size: 140
    .language:       OpenCL C
    .language_version:
      - 2
      - 0
    .max_flat_workgroup_size: 256
    .name:           _ZN12_GLOBAL__N_127rocblas_gemm_batched_kernelIfLi16ELi16ELi32ELi32ELi8ELi32ELi8ELi8ELi32ELc67ELc84EKDF16_S1_DF16_EEvlllT_PT11_llS4_llS2_PT12_llPT13_lli
    .private_segment_fixed_size: 0
    .sgpr_count:     40
    .sgpr_spill_count: 0
    .symbol:         _ZN12_GLOBAL__N_127rocblas_gemm_batched_kernelIfLi16ELi16ELi32ELi32ELi8ELi32ELi8ELi8ELi32ELc67ELc84EKDF16_S1_DF16_EEvlllT_PT11_llS4_llS2_PT12_llPT13_lli.kd
    .uniform_work_group_size: 1
    .uses_dynamic_stack: false
    .vgpr_count:     56
    .vgpr_spill_count: 0
    .wavefront_size: 32
  - .args:
      - .offset:         0
        .size:           8
        .value_kind:     by_value
      - .offset:         8
        .size:           8
        .value_kind:     by_value
      - .offset:         16
        .size:           8
        .value_kind:     by_value
      - .offset:         24
        .size:           4
        .value_kind:     by_value
      - .address_space:  global
        .offset:         32
        .size:           8
        .value_kind:     global_buffer
      - .offset:         40
        .size:           8
        .value_kind:     by_value
      - .offset:         48
        .size:           8
        .value_kind:     by_value
      - .address_space:  global
        .offset:         56
        .size:           8
        .value_kind:     global_buffer
      - .offset:         64
        .size:           8
        .value_kind:     by_value
      - .offset:         72
        .size:           8
        .value_kind:     by_value
      - .offset:         80
        .size:           4
        .value_kind:     by_value
      - .address_space:  global
        .offset:         88
        .size:           8
        .value_kind:     global_buffer
      - .offset:         96
        .size:           8
        .value_kind:     by_value
      - .offset:         104
        .size:           8
        .value_kind:     by_value
      - .address_space:  global
        .offset:         112
        .size:           8
        .value_kind:     global_buffer
      - .offset:         120
        .size:           8
        .value_kind:     by_value
      - .offset:         128
        .size:           8
        .value_kind:     by_value
      - .offset:         136
        .size:           4
        .value_kind:     by_value
    .group_segment_fixed_size: 2048
    .kernarg_segment_align: 8
    .kernarg_segment_size: 140
    .language:       OpenCL C
    .language_version:
      - 2
      - 0
    .max_flat_workgroup_size: 256
    .name:           _ZN12_GLOBAL__N_127rocblas_gemm_batched_kernelIfLi16ELi16ELi32ELi32ELi8ELi32ELi8ELi8ELi32ELc78ELc67EKDF16_S1_DF16_EEvlllT_PT11_llS4_llS2_PT12_llPT13_lli
    .private_segment_fixed_size: 0
    .sgpr_count:     40
    .sgpr_spill_count: 0
    .symbol:         _ZN12_GLOBAL__N_127rocblas_gemm_batched_kernelIfLi16ELi16ELi32ELi32ELi8ELi32ELi8ELi8ELi32ELc78ELc67EKDF16_S1_DF16_EEvlllT_PT11_llS4_llS2_PT12_llPT13_lli.kd
    .uniform_work_group_size: 1
    .uses_dynamic_stack: false
    .vgpr_count:     56
    .vgpr_spill_count: 0
    .wavefront_size: 32
  - .args:
      - .offset:         0
        .size:           8
        .value_kind:     by_value
      - .offset:         8
        .size:           8
        .value_kind:     by_value
      - .offset:         16
        .size:           8
        .value_kind:     by_value
      - .offset:         24
        .size:           4
        .value_kind:     by_value
      - .address_space:  global
        .offset:         32
        .size:           8
        .value_kind:     global_buffer
      - .offset:         40
        .size:           8
        .value_kind:     by_value
      - .offset:         48
        .size:           8
        .value_kind:     by_value
      - .address_space:  global
        .offset:         56
        .size:           8
        .value_kind:     global_buffer
      - .offset:         64
        .size:           8
        .value_kind:     by_value
      - .offset:         72
        .size:           8
        .value_kind:     by_value
      - .offset:         80
        .size:           4
        .value_kind:     by_value
      - .address_space:  global
        .offset:         88
        .size:           8
        .value_kind:     global_buffer
      - .offset:         96
        .size:           8
        .value_kind:     by_value
      - .offset:         104
        .size:           8
        .value_kind:     by_value
      - .address_space:  global
        .offset:         112
        .size:           8
        .value_kind:     global_buffer
      - .offset:         120
        .size:           8
        .value_kind:     by_value
      - .offset:         128
        .size:           8
        .value_kind:     by_value
      - .offset:         136
        .size:           4
        .value_kind:     by_value
    .group_segment_fixed_size: 2048
    .kernarg_segment_align: 8
    .kernarg_segment_size: 140
    .language:       OpenCL C
    .language_version:
      - 2
      - 0
    .max_flat_workgroup_size: 256
    .name:           _ZN12_GLOBAL__N_127rocblas_gemm_batched_kernelIfLi16ELi16ELi32ELi32ELi8ELi32ELi8ELi8ELi32ELc84ELc67EKDF16_S1_DF16_EEvlllT_PT11_llS4_llS2_PT12_llPT13_lli
    .private_segment_fixed_size: 0
    .sgpr_count:     40
    .sgpr_spill_count: 0
    .symbol:         _ZN12_GLOBAL__N_127rocblas_gemm_batched_kernelIfLi16ELi16ELi32ELi32ELi8ELi32ELi8ELi8ELi32ELc84ELc67EKDF16_S1_DF16_EEvlllT_PT11_llS4_llS2_PT12_llPT13_lli.kd
    .uniform_work_group_size: 1
    .uses_dynamic_stack: false
    .vgpr_count:     56
    .vgpr_spill_count: 0
    .wavefront_size: 32
  - .args:
      - .offset:         0
        .size:           8
        .value_kind:     by_value
      - .offset:         8
        .size:           8
        .value_kind:     by_value
      - .offset:         16
        .size:           8
        .value_kind:     by_value
      - .offset:         24
        .size:           4
        .value_kind:     by_value
      - .address_space:  global
        .offset:         32
        .size:           8
        .value_kind:     global_buffer
      - .offset:         40
        .size:           8
        .value_kind:     by_value
      - .offset:         48
        .size:           8
        .value_kind:     by_value
      - .address_space:  global
        .offset:         56
        .size:           8
        .value_kind:     global_buffer
      - .offset:         64
        .size:           8
        .value_kind:     by_value
      - .offset:         72
        .size:           8
        .value_kind:     by_value
      - .offset:         80
        .size:           4
        .value_kind:     by_value
      - .address_space:  global
        .offset:         88
        .size:           8
        .value_kind:     global_buffer
      - .offset:         96
        .size:           8
        .value_kind:     by_value
      - .offset:         104
        .size:           8
        .value_kind:     by_value
      - .address_space:  global
        .offset:         112
        .size:           8
        .value_kind:     global_buffer
      - .offset:         120
        .size:           8
        .value_kind:     by_value
      - .offset:         128
        .size:           8
        .value_kind:     by_value
      - .offset:         136
        .size:           4
        .value_kind:     by_value
    .group_segment_fixed_size: 2048
    .kernarg_segment_align: 8
    .kernarg_segment_size: 140
    .language:       OpenCL C
    .language_version:
      - 2
      - 0
    .max_flat_workgroup_size: 256
    .name:           _ZN12_GLOBAL__N_135rocblas_gemm_batched_general_kernelIfLi16ELi16ELi32ELi32ELi8ELi32ELi8ELi8ELi32ELc78ELc78EKDF16_S1_DF16_EEvlllT_PT11_llS4_llS2_PT12_llPT13_lli
    .private_segment_fixed_size: 0
    .sgpr_count:     44
    .sgpr_spill_count: 0
    .symbol:         _ZN12_GLOBAL__N_135rocblas_gemm_batched_general_kernelIfLi16ELi16ELi32ELi32ELi8ELi32ELi8ELi8ELi32ELc78ELc78EKDF16_S1_DF16_EEvlllT_PT11_llS4_llS2_PT12_llPT13_lli.kd
    .uniform_work_group_size: 1
    .uses_dynamic_stack: false
    .vgpr_count:     52
    .vgpr_spill_count: 0
    .wavefront_size: 32
  - .args:
      - .offset:         0
        .size:           8
        .value_kind:     by_value
      - .offset:         8
        .size:           8
        .value_kind:     by_value
      - .offset:         16
        .size:           8
        .value_kind:     by_value
      - .offset:         24
        .size:           4
        .value_kind:     by_value
      - .address_space:  global
        .offset:         32
        .size:           8
        .value_kind:     global_buffer
      - .offset:         40
        .size:           8
        .value_kind:     by_value
      - .offset:         48
        .size:           8
        .value_kind:     by_value
      - .address_space:  global
        .offset:         56
        .size:           8
        .value_kind:     global_buffer
      - .offset:         64
        .size:           8
        .value_kind:     by_value
      - .offset:         72
        .size:           8
        .value_kind:     by_value
      - .offset:         80
        .size:           4
        .value_kind:     by_value
      - .address_space:  global
        .offset:         88
        .size:           8
        .value_kind:     global_buffer
      - .offset:         96
        .size:           8
        .value_kind:     by_value
      - .offset:         104
        .size:           8
        .value_kind:     by_value
      - .address_space:  global
        .offset:         112
        .size:           8
        .value_kind:     global_buffer
      - .offset:         120
        .size:           8
        .value_kind:     by_value
      - .offset:         128
        .size:           8
        .value_kind:     by_value
      - .offset:         136
        .size:           4
        .value_kind:     by_value
    .group_segment_fixed_size: 2048
    .kernarg_segment_align: 8
    .kernarg_segment_size: 140
    .language:       OpenCL C
    .language_version:
      - 2
      - 0
    .max_flat_workgroup_size: 256
    .name:           _ZN12_GLOBAL__N_135rocblas_gemm_batched_general_kernelIfLi16ELi16ELi32ELi32ELi8ELi32ELi8ELi8ELi32ELc84ELc78EKDF16_S1_DF16_EEvlllT_PT11_llS4_llS2_PT12_llPT13_lli
    .private_segment_fixed_size: 0
    .sgpr_count:     44
    .sgpr_spill_count: 0
    .symbol:         _ZN12_GLOBAL__N_135rocblas_gemm_batched_general_kernelIfLi16ELi16ELi32ELi32ELi8ELi32ELi8ELi8ELi32ELc84ELc78EKDF16_S1_DF16_EEvlllT_PT11_llS4_llS2_PT12_llPT13_lli.kd
    .uniform_work_group_size: 1
    .uses_dynamic_stack: false
    .vgpr_count:     52
    .vgpr_spill_count: 0
    .wavefront_size: 32
  - .args:
      - .offset:         0
        .size:           8
        .value_kind:     by_value
      - .offset:         8
        .size:           8
        .value_kind:     by_value
      - .offset:         16
        .size:           8
        .value_kind:     by_value
      - .offset:         24
        .size:           4
        .value_kind:     by_value
      - .address_space:  global
        .offset:         32
        .size:           8
        .value_kind:     global_buffer
      - .offset:         40
        .size:           8
        .value_kind:     by_value
      - .offset:         48
        .size:           8
        .value_kind:     by_value
      - .address_space:  global
        .offset:         56
        .size:           8
        .value_kind:     global_buffer
      - .offset:         64
        .size:           8
        .value_kind:     by_value
      - .offset:         72
        .size:           8
        .value_kind:     by_value
      - .offset:         80
        .size:           4
        .value_kind:     by_value
      - .address_space:  global
        .offset:         88
        .size:           8
        .value_kind:     global_buffer
      - .offset:         96
        .size:           8
        .value_kind:     by_value
      - .offset:         104
        .size:           8
        .value_kind:     by_value
      - .address_space:  global
        .offset:         112
        .size:           8
        .value_kind:     global_buffer
      - .offset:         120
        .size:           8
        .value_kind:     by_value
      - .offset:         128
        .size:           8
        .value_kind:     by_value
      - .offset:         136
        .size:           4
        .value_kind:     by_value
    .group_segment_fixed_size: 2048
    .kernarg_segment_align: 8
    .kernarg_segment_size: 140
    .language:       OpenCL C
    .language_version:
      - 2
      - 0
    .max_flat_workgroup_size: 256
    .name:           _ZN12_GLOBAL__N_135rocblas_gemm_batched_general_kernelIfLi16ELi16ELi32ELi32ELi8ELi32ELi8ELi8ELi32ELc78ELc84EKDF16_S1_DF16_EEvlllT_PT11_llS4_llS2_PT12_llPT13_lli
    .private_segment_fixed_size: 0
    .sgpr_count:     48
    .sgpr_spill_count: 0
    .symbol:         _ZN12_GLOBAL__N_135rocblas_gemm_batched_general_kernelIfLi16ELi16ELi32ELi32ELi8ELi32ELi8ELi8ELi32ELc78ELc84EKDF16_S1_DF16_EEvlllT_PT11_llS4_llS2_PT12_llPT13_lli.kd
    .uniform_work_group_size: 1
    .uses_dynamic_stack: false
    .vgpr_count:     52
    .vgpr_spill_count: 0
    .wavefront_size: 32
  - .args:
      - .offset:         0
        .size:           8
        .value_kind:     by_value
      - .offset:         8
        .size:           8
        .value_kind:     by_value
      - .offset:         16
        .size:           8
        .value_kind:     by_value
      - .offset:         24
        .size:           4
        .value_kind:     by_value
      - .address_space:  global
        .offset:         32
        .size:           8
        .value_kind:     global_buffer
      - .offset:         40
        .size:           8
        .value_kind:     by_value
      - .offset:         48
        .size:           8
        .value_kind:     by_value
      - .address_space:  global
        .offset:         56
        .size:           8
        .value_kind:     global_buffer
      - .offset:         64
        .size:           8
        .value_kind:     by_value
      - .offset:         72
        .size:           8
        .value_kind:     by_value
      - .offset:         80
        .size:           4
        .value_kind:     by_value
      - .address_space:  global
        .offset:         88
        .size:           8
        .value_kind:     global_buffer
      - .offset:         96
        .size:           8
        .value_kind:     by_value
      - .offset:         104
        .size:           8
        .value_kind:     by_value
      - .address_space:  global
        .offset:         112
        .size:           8
        .value_kind:     global_buffer
      - .offset:         120
        .size:           8
        .value_kind:     by_value
      - .offset:         128
        .size:           8
        .value_kind:     by_value
      - .offset:         136
        .size:           4
        .value_kind:     by_value
    .group_segment_fixed_size: 2048
    .kernarg_segment_align: 8
    .kernarg_segment_size: 140
    .language:       OpenCL C
    .language_version:
      - 2
      - 0
    .max_flat_workgroup_size: 256
    .name:           _ZN12_GLOBAL__N_135rocblas_gemm_batched_general_kernelIfLi16ELi16ELi32ELi32ELi8ELi32ELi8ELi8ELi32ELc84ELc84EKDF16_S1_DF16_EEvlllT_PT11_llS4_llS2_PT12_llPT13_lli
    .private_segment_fixed_size: 0
    .sgpr_count:     46
    .sgpr_spill_count: 0
    .symbol:         _ZN12_GLOBAL__N_135rocblas_gemm_batched_general_kernelIfLi16ELi16ELi32ELi32ELi8ELi32ELi8ELi8ELi32ELc84ELc84EKDF16_S1_DF16_EEvlllT_PT11_llS4_llS2_PT12_llPT13_lli.kd
    .uniform_work_group_size: 1
    .uses_dynamic_stack: false
    .vgpr_count:     52
    .vgpr_spill_count: 0
    .wavefront_size: 32
  - .args:
      - .offset:         0
        .size:           8
        .value_kind:     by_value
      - .offset:         8
        .size:           8
        .value_kind:     by_value
      - .offset:         16
        .size:           8
        .value_kind:     by_value
      - .offset:         24
        .size:           4
        .value_kind:     by_value
      - .address_space:  global
        .offset:         32
        .size:           8
        .value_kind:     global_buffer
      - .offset:         40
        .size:           8
        .value_kind:     by_value
      - .offset:         48
        .size:           8
        .value_kind:     by_value
      - .address_space:  global
        .offset:         56
        .size:           8
        .value_kind:     global_buffer
      - .offset:         64
        .size:           8
        .value_kind:     by_value
      - .offset:         72
        .size:           8
        .value_kind:     by_value
      - .offset:         80
        .size:           4
        .value_kind:     by_value
      - .address_space:  global
        .offset:         88
        .size:           8
        .value_kind:     global_buffer
      - .offset:         96
        .size:           8
        .value_kind:     by_value
      - .offset:         104
        .size:           8
        .value_kind:     by_value
      - .address_space:  global
        .offset:         112
        .size:           8
        .value_kind:     global_buffer
      - .offset:         120
        .size:           8
        .value_kind:     by_value
      - .offset:         128
        .size:           8
        .value_kind:     by_value
      - .offset:         136
        .size:           4
        .value_kind:     by_value
    .group_segment_fixed_size: 2048
    .kernarg_segment_align: 8
    .kernarg_segment_size: 140
    .language:       OpenCL C
    .language_version:
      - 2
      - 0
    .max_flat_workgroup_size: 256
    .name:           _ZN12_GLOBAL__N_135rocblas_gemm_batched_general_kernelIfLi16ELi16ELi32ELi32ELi8ELi32ELi8ELi8ELi32ELc67ELc67EKDF16_S1_DF16_EEvlllT_PT11_llS4_llS2_PT12_llPT13_lli
    .private_segment_fixed_size: 0
    .sgpr_count:     46
    .sgpr_spill_count: 0
    .symbol:         _ZN12_GLOBAL__N_135rocblas_gemm_batched_general_kernelIfLi16ELi16ELi32ELi32ELi8ELi32ELi8ELi8ELi32ELc67ELc67EKDF16_S1_DF16_EEvlllT_PT11_llS4_llS2_PT12_llPT13_lli.kd
    .uniform_work_group_size: 1
    .uses_dynamic_stack: false
    .vgpr_count:     52
    .vgpr_spill_count: 0
    .wavefront_size: 32
  - .args:
      - .offset:         0
        .size:           8
        .value_kind:     by_value
      - .offset:         8
        .size:           8
        .value_kind:     by_value
      - .offset:         16
        .size:           8
        .value_kind:     by_value
      - .offset:         24
        .size:           4
        .value_kind:     by_value
      - .address_space:  global
        .offset:         32
        .size:           8
        .value_kind:     global_buffer
      - .offset:         40
        .size:           8
        .value_kind:     by_value
      - .offset:         48
        .size:           8
        .value_kind:     by_value
      - .address_space:  global
        .offset:         56
        .size:           8
        .value_kind:     global_buffer
      - .offset:         64
        .size:           8
        .value_kind:     by_value
      - .offset:         72
        .size:           8
        .value_kind:     by_value
      - .offset:         80
        .size:           4
        .value_kind:     by_value
      - .address_space:  global
        .offset:         88
        .size:           8
        .value_kind:     global_buffer
      - .offset:         96
        .size:           8
        .value_kind:     by_value
      - .offset:         104
        .size:           8
        .value_kind:     by_value
      - .address_space:  global
        .offset:         112
        .size:           8
        .value_kind:     global_buffer
      - .offset:         120
        .size:           8
        .value_kind:     by_value
      - .offset:         128
        .size:           8
        .value_kind:     by_value
      - .offset:         136
        .size:           4
        .value_kind:     by_value
    .group_segment_fixed_size: 2048
    .kernarg_segment_align: 8
    .kernarg_segment_size: 140
    .language:       OpenCL C
    .language_version:
      - 2
      - 0
    .max_flat_workgroup_size: 256
    .name:           _ZN12_GLOBAL__N_135rocblas_gemm_batched_general_kernelIfLi16ELi16ELi32ELi32ELi8ELi32ELi8ELi8ELi32ELc67ELc78EKDF16_S1_DF16_EEvlllT_PT11_llS4_llS2_PT12_llPT13_lli
    .private_segment_fixed_size: 0
    .sgpr_count:     44
    .sgpr_spill_count: 0
    .symbol:         _ZN12_GLOBAL__N_135rocblas_gemm_batched_general_kernelIfLi16ELi16ELi32ELi32ELi8ELi32ELi8ELi8ELi32ELc67ELc78EKDF16_S1_DF16_EEvlllT_PT11_llS4_llS2_PT12_llPT13_lli.kd
    .uniform_work_group_size: 1
    .uses_dynamic_stack: false
    .vgpr_count:     52
    .vgpr_spill_count: 0
    .wavefront_size: 32
  - .args:
      - .offset:         0
        .size:           8
        .value_kind:     by_value
      - .offset:         8
        .size:           8
        .value_kind:     by_value
      - .offset:         16
        .size:           8
        .value_kind:     by_value
      - .offset:         24
        .size:           4
        .value_kind:     by_value
      - .address_space:  global
        .offset:         32
        .size:           8
        .value_kind:     global_buffer
      - .offset:         40
        .size:           8
        .value_kind:     by_value
      - .offset:         48
        .size:           8
        .value_kind:     by_value
      - .address_space:  global
        .offset:         56
        .size:           8
        .value_kind:     global_buffer
      - .offset:         64
        .size:           8
        .value_kind:     by_value
      - .offset:         72
        .size:           8
        .value_kind:     by_value
      - .offset:         80
        .size:           4
        .value_kind:     by_value
      - .address_space:  global
        .offset:         88
        .size:           8
        .value_kind:     global_buffer
      - .offset:         96
        .size:           8
        .value_kind:     by_value
      - .offset:         104
        .size:           8
        .value_kind:     by_value
      - .address_space:  global
        .offset:         112
        .size:           8
        .value_kind:     global_buffer
      - .offset:         120
        .size:           8
        .value_kind:     by_value
      - .offset:         128
        .size:           8
        .value_kind:     by_value
      - .offset:         136
        .size:           4
        .value_kind:     by_value
    .group_segment_fixed_size: 2048
    .kernarg_segment_align: 8
    .kernarg_segment_size: 140
    .language:       OpenCL C
    .language_version:
      - 2
      - 0
    .max_flat_workgroup_size: 256
    .name:           _ZN12_GLOBAL__N_135rocblas_gemm_batched_general_kernelIfLi16ELi16ELi32ELi32ELi8ELi32ELi8ELi8ELi32ELc67ELc84EKDF16_S1_DF16_EEvlllT_PT11_llS4_llS2_PT12_llPT13_lli
    .private_segment_fixed_size: 0
    .sgpr_count:     46
    .sgpr_spill_count: 0
    .symbol:         _ZN12_GLOBAL__N_135rocblas_gemm_batched_general_kernelIfLi16ELi16ELi32ELi32ELi8ELi32ELi8ELi8ELi32ELc67ELc84EKDF16_S1_DF16_EEvlllT_PT11_llS4_llS2_PT12_llPT13_lli.kd
    .uniform_work_group_size: 1
    .uses_dynamic_stack: false
    .vgpr_count:     52
    .vgpr_spill_count: 0
    .wavefront_size: 32
  - .args:
      - .offset:         0
        .size:           8
        .value_kind:     by_value
      - .offset:         8
        .size:           8
        .value_kind:     by_value
      - .offset:         16
        .size:           8
        .value_kind:     by_value
      - .offset:         24
        .size:           4
        .value_kind:     by_value
      - .address_space:  global
        .offset:         32
        .size:           8
        .value_kind:     global_buffer
      - .offset:         40
        .size:           8
        .value_kind:     by_value
      - .offset:         48
        .size:           8
        .value_kind:     by_value
      - .address_space:  global
        .offset:         56
        .size:           8
        .value_kind:     global_buffer
      - .offset:         64
        .size:           8
        .value_kind:     by_value
      - .offset:         72
        .size:           8
        .value_kind:     by_value
      - .offset:         80
        .size:           4
        .value_kind:     by_value
      - .address_space:  global
        .offset:         88
        .size:           8
        .value_kind:     global_buffer
      - .offset:         96
        .size:           8
        .value_kind:     by_value
      - .offset:         104
        .size:           8
        .value_kind:     by_value
      - .address_space:  global
        .offset:         112
        .size:           8
        .value_kind:     global_buffer
      - .offset:         120
        .size:           8
        .value_kind:     by_value
      - .offset:         128
        .size:           8
        .value_kind:     by_value
      - .offset:         136
        .size:           4
        .value_kind:     by_value
    .group_segment_fixed_size: 2048
    .kernarg_segment_align: 8
    .kernarg_segment_size: 140
    .language:       OpenCL C
    .language_version:
      - 2
      - 0
    .max_flat_workgroup_size: 256
    .name:           _ZN12_GLOBAL__N_135rocblas_gemm_batched_general_kernelIfLi16ELi16ELi32ELi32ELi8ELi32ELi8ELi8ELi32ELc78ELc67EKDF16_S1_DF16_EEvlllT_PT11_llS4_llS2_PT12_llPT13_lli
    .private_segment_fixed_size: 0
    .sgpr_count:     48
    .sgpr_spill_count: 0
    .symbol:         _ZN12_GLOBAL__N_135rocblas_gemm_batched_general_kernelIfLi16ELi16ELi32ELi32ELi8ELi32ELi8ELi8ELi32ELc78ELc67EKDF16_S1_DF16_EEvlllT_PT11_llS4_llS2_PT12_llPT13_lli.kd
    .uniform_work_group_size: 1
    .uses_dynamic_stack: false
    .vgpr_count:     52
    .vgpr_spill_count: 0
    .wavefront_size: 32
  - .args:
      - .offset:         0
        .size:           8
        .value_kind:     by_value
      - .offset:         8
        .size:           8
        .value_kind:     by_value
      - .offset:         16
        .size:           8
        .value_kind:     by_value
      - .offset:         24
        .size:           4
        .value_kind:     by_value
      - .address_space:  global
        .offset:         32
        .size:           8
        .value_kind:     global_buffer
      - .offset:         40
        .size:           8
        .value_kind:     by_value
      - .offset:         48
        .size:           8
        .value_kind:     by_value
      - .address_space:  global
        .offset:         56
        .size:           8
        .value_kind:     global_buffer
      - .offset:         64
        .size:           8
        .value_kind:     by_value
      - .offset:         72
        .size:           8
        .value_kind:     by_value
      - .offset:         80
        .size:           4
        .value_kind:     by_value
      - .address_space:  global
        .offset:         88
        .size:           8
        .value_kind:     global_buffer
      - .offset:         96
        .size:           8
        .value_kind:     by_value
      - .offset:         104
        .size:           8
        .value_kind:     by_value
      - .address_space:  global
        .offset:         112
        .size:           8
        .value_kind:     global_buffer
      - .offset:         120
        .size:           8
        .value_kind:     by_value
      - .offset:         128
        .size:           8
        .value_kind:     by_value
      - .offset:         136
        .size:           4
        .value_kind:     by_value
    .group_segment_fixed_size: 2048
    .kernarg_segment_align: 8
    .kernarg_segment_size: 140
    .language:       OpenCL C
    .language_version:
      - 2
      - 0
    .max_flat_workgroup_size: 256
    .name:           _ZN12_GLOBAL__N_135rocblas_gemm_batched_general_kernelIfLi16ELi16ELi32ELi32ELi8ELi32ELi8ELi8ELi32ELc84ELc67EKDF16_S1_DF16_EEvlllT_PT11_llS4_llS2_PT12_llPT13_lli
    .private_segment_fixed_size: 0
    .sgpr_count:     46
    .sgpr_spill_count: 0
    .symbol:         _ZN12_GLOBAL__N_135rocblas_gemm_batched_general_kernelIfLi16ELi16ELi32ELi32ELi8ELi32ELi8ELi8ELi32ELc84ELc67EKDF16_S1_DF16_EEvlllT_PT11_llS4_llS2_PT12_llPT13_lli.kd
    .uniform_work_group_size: 1
    .uses_dynamic_stack: false
    .vgpr_count:     52
    .vgpr_spill_count: 0
    .wavefront_size: 32
  - .args:
      - .offset:         0
        .size:           8
        .value_kind:     by_value
      - .offset:         8
        .size:           8
        .value_kind:     by_value
      - .offset:         16
        .size:           8
        .value_kind:     by_value
      - .offset:         24
        .size:           4
        .value_kind:     by_value
      - .address_space:  global
        .offset:         32
        .size:           8
        .value_kind:     global_buffer
      - .offset:         40
        .size:           8
        .value_kind:     by_value
      - .offset:         48
        .size:           8
        .value_kind:     by_value
      - .address_space:  global
        .offset:         56
        .size:           8
        .value_kind:     global_buffer
      - .offset:         64
        .size:           8
        .value_kind:     by_value
      - .offset:         72
        .size:           8
        .value_kind:     by_value
      - .offset:         80
        .size:           4
        .value_kind:     by_value
      - .address_space:  global
        .offset:         88
        .size:           8
        .value_kind:     global_buffer
      - .offset:         96
        .size:           8
        .value_kind:     by_value
      - .offset:         104
        .size:           8
        .value_kind:     by_value
      - .address_space:  global
        .offset:         112
        .size:           8
        .value_kind:     global_buffer
      - .offset:         120
        .size:           8
        .value_kind:     by_value
      - .offset:         128
        .size:           8
        .value_kind:     by_value
      - .offset:         136
        .size:           4
        .value_kind:     by_value
    .group_segment_fixed_size: 2048
    .kernarg_segment_align: 8
    .kernarg_segment_size: 140
    .language:       OpenCL C
    .language_version:
      - 2
      - 0
    .max_flat_workgroup_size: 256
    .name:           _ZN12_GLOBAL__N_127rocblas_gemm_batched_kernelIfLi16ELi16ELi64ELi64ELi4ELi64ELi4ELi4ELi64ELc78ELc78EKDF16_KffEEvlllT_PT11_llS5_llS3_PT12_llPT13_lli
    .private_segment_fixed_size: 0
    .sgpr_count:     38
    .sgpr_spill_count: 0
    .symbol:         _ZN12_GLOBAL__N_127rocblas_gemm_batched_kernelIfLi16ELi16ELi64ELi64ELi4ELi64ELi4ELi4ELi64ELc78ELc78EKDF16_KffEEvlllT_PT11_llS5_llS3_PT12_llPT13_lli.kd
    .uniform_work_group_size: 1
    .uses_dynamic_stack: false
    .vgpr_count:     74
    .vgpr_spill_count: 0
    .wavefront_size: 32
  - .args:
      - .offset:         0
        .size:           8
        .value_kind:     by_value
      - .offset:         8
        .size:           8
        .value_kind:     by_value
      - .offset:         16
        .size:           8
        .value_kind:     by_value
      - .offset:         24
        .size:           4
        .value_kind:     by_value
      - .address_space:  global
        .offset:         32
        .size:           8
        .value_kind:     global_buffer
      - .offset:         40
        .size:           8
        .value_kind:     by_value
      - .offset:         48
        .size:           8
        .value_kind:     by_value
      - .address_space:  global
        .offset:         56
        .size:           8
        .value_kind:     global_buffer
      - .offset:         64
        .size:           8
        .value_kind:     by_value
      - .offset:         72
        .size:           8
        .value_kind:     by_value
      - .offset:         80
        .size:           4
        .value_kind:     by_value
      - .address_space:  global
        .offset:         88
        .size:           8
        .value_kind:     global_buffer
      - .offset:         96
        .size:           8
        .value_kind:     by_value
      - .offset:         104
        .size:           8
        .value_kind:     by_value
      - .address_space:  global
        .offset:         112
        .size:           8
        .value_kind:     global_buffer
      - .offset:         120
        .size:           8
        .value_kind:     by_value
      - .offset:         128
        .size:           8
        .value_kind:     by_value
      - .offset:         136
        .size:           4
        .value_kind:     by_value
    .group_segment_fixed_size: 2048
    .kernarg_segment_align: 8
    .kernarg_segment_size: 140
    .language:       OpenCL C
    .language_version:
      - 2
      - 0
    .max_flat_workgroup_size: 256
    .name:           _ZN12_GLOBAL__N_127rocblas_gemm_batched_kernelIfLi16ELi16ELi64ELi64ELi4ELi64ELi4ELi4ELi64ELc84ELc78EKDF16_KffEEvlllT_PT11_llS5_llS3_PT12_llPT13_lli
    .private_segment_fixed_size: 0
    .sgpr_count:     40
    .sgpr_spill_count: 0
    .symbol:         _ZN12_GLOBAL__N_127rocblas_gemm_batched_kernelIfLi16ELi16ELi64ELi64ELi4ELi64ELi4ELi4ELi64ELc84ELc78EKDF16_KffEEvlllT_PT11_llS5_llS3_PT12_llPT13_lli.kd
    .uniform_work_group_size: 1
    .uses_dynamic_stack: false
    .vgpr_count:     74
    .vgpr_spill_count: 0
    .wavefront_size: 32
  - .args:
      - .offset:         0
        .size:           8
        .value_kind:     by_value
      - .offset:         8
        .size:           8
        .value_kind:     by_value
      - .offset:         16
        .size:           8
        .value_kind:     by_value
      - .offset:         24
        .size:           4
        .value_kind:     by_value
      - .address_space:  global
        .offset:         32
        .size:           8
        .value_kind:     global_buffer
      - .offset:         40
        .size:           8
        .value_kind:     by_value
      - .offset:         48
        .size:           8
        .value_kind:     by_value
      - .address_space:  global
        .offset:         56
        .size:           8
        .value_kind:     global_buffer
      - .offset:         64
        .size:           8
        .value_kind:     by_value
      - .offset:         72
        .size:           8
        .value_kind:     by_value
      - .offset:         80
        .size:           4
        .value_kind:     by_value
      - .address_space:  global
        .offset:         88
        .size:           8
        .value_kind:     global_buffer
      - .offset:         96
        .size:           8
        .value_kind:     by_value
      - .offset:         104
        .size:           8
        .value_kind:     by_value
      - .address_space:  global
        .offset:         112
        .size:           8
        .value_kind:     global_buffer
      - .offset:         120
        .size:           8
        .value_kind:     by_value
      - .offset:         128
        .size:           8
        .value_kind:     by_value
      - .offset:         136
        .size:           4
        .value_kind:     by_value
    .group_segment_fixed_size: 2048
    .kernarg_segment_align: 8
    .kernarg_segment_size: 140
    .language:       OpenCL C
    .language_version:
      - 2
      - 0
    .max_flat_workgroup_size: 256
    .name:           _ZN12_GLOBAL__N_127rocblas_gemm_batched_kernelIfLi16ELi16ELi64ELi64ELi4ELi64ELi4ELi4ELi64ELc78ELc84EKDF16_KffEEvlllT_PT11_llS5_llS3_PT12_llPT13_lli
    .private_segment_fixed_size: 0
    .sgpr_count:     40
    .sgpr_spill_count: 0
    .symbol:         _ZN12_GLOBAL__N_127rocblas_gemm_batched_kernelIfLi16ELi16ELi64ELi64ELi4ELi64ELi4ELi4ELi64ELc78ELc84EKDF16_KffEEvlllT_PT11_llS5_llS3_PT12_llPT13_lli.kd
    .uniform_work_group_size: 1
    .uses_dynamic_stack: false
    .vgpr_count:     74
    .vgpr_spill_count: 0
    .wavefront_size: 32
  - .args:
      - .offset:         0
        .size:           8
        .value_kind:     by_value
      - .offset:         8
        .size:           8
        .value_kind:     by_value
      - .offset:         16
        .size:           8
        .value_kind:     by_value
      - .offset:         24
        .size:           4
        .value_kind:     by_value
      - .address_space:  global
        .offset:         32
        .size:           8
        .value_kind:     global_buffer
      - .offset:         40
        .size:           8
        .value_kind:     by_value
      - .offset:         48
        .size:           8
        .value_kind:     by_value
      - .address_space:  global
        .offset:         56
        .size:           8
        .value_kind:     global_buffer
      - .offset:         64
        .size:           8
        .value_kind:     by_value
      - .offset:         72
        .size:           8
        .value_kind:     by_value
      - .offset:         80
        .size:           4
        .value_kind:     by_value
      - .address_space:  global
        .offset:         88
        .size:           8
        .value_kind:     global_buffer
      - .offset:         96
        .size:           8
        .value_kind:     by_value
      - .offset:         104
        .size:           8
        .value_kind:     by_value
      - .address_space:  global
        .offset:         112
        .size:           8
        .value_kind:     global_buffer
      - .offset:         120
        .size:           8
        .value_kind:     by_value
      - .offset:         128
        .size:           8
        .value_kind:     by_value
      - .offset:         136
        .size:           4
        .value_kind:     by_value
    .group_segment_fixed_size: 2048
    .kernarg_segment_align: 8
    .kernarg_segment_size: 140
    .language:       OpenCL C
    .language_version:
      - 2
      - 0
    .max_flat_workgroup_size: 256
    .name:           _ZN12_GLOBAL__N_127rocblas_gemm_batched_kernelIfLi16ELi16ELi64ELi64ELi4ELi64ELi4ELi4ELi64ELc84ELc84EKDF16_KffEEvlllT_PT11_llS5_llS3_PT12_llPT13_lli
    .private_segment_fixed_size: 0
    .sgpr_count:     40
    .sgpr_spill_count: 0
    .symbol:         _ZN12_GLOBAL__N_127rocblas_gemm_batched_kernelIfLi16ELi16ELi64ELi64ELi4ELi64ELi4ELi4ELi64ELc84ELc84EKDF16_KffEEvlllT_PT11_llS5_llS3_PT12_llPT13_lli.kd
    .uniform_work_group_size: 1
    .uses_dynamic_stack: false
    .vgpr_count:     74
    .vgpr_spill_count: 0
    .wavefront_size: 32
  - .args:
      - .offset:         0
        .size:           8
        .value_kind:     by_value
      - .offset:         8
        .size:           8
        .value_kind:     by_value
      - .offset:         16
        .size:           8
        .value_kind:     by_value
      - .offset:         24
        .size:           4
        .value_kind:     by_value
      - .address_space:  global
        .offset:         32
        .size:           8
        .value_kind:     global_buffer
      - .offset:         40
        .size:           8
        .value_kind:     by_value
      - .offset:         48
        .size:           8
        .value_kind:     by_value
      - .address_space:  global
        .offset:         56
        .size:           8
        .value_kind:     global_buffer
      - .offset:         64
        .size:           8
        .value_kind:     by_value
      - .offset:         72
        .size:           8
        .value_kind:     by_value
      - .offset:         80
        .size:           4
        .value_kind:     by_value
      - .address_space:  global
        .offset:         88
        .size:           8
        .value_kind:     global_buffer
      - .offset:         96
        .size:           8
        .value_kind:     by_value
      - .offset:         104
        .size:           8
        .value_kind:     by_value
      - .address_space:  global
        .offset:         112
        .size:           8
        .value_kind:     global_buffer
      - .offset:         120
        .size:           8
        .value_kind:     by_value
      - .offset:         128
        .size:           8
        .value_kind:     by_value
      - .offset:         136
        .size:           4
        .value_kind:     by_value
    .group_segment_fixed_size: 2048
    .kernarg_segment_align: 8
    .kernarg_segment_size: 140
    .language:       OpenCL C
    .language_version:
      - 2
      - 0
    .max_flat_workgroup_size: 256
    .name:           _ZN12_GLOBAL__N_127rocblas_gemm_batched_kernelIfLi16ELi16ELi64ELi64ELi4ELi64ELi4ELi4ELi64ELc67ELc67EKDF16_KffEEvlllT_PT11_llS5_llS3_PT12_llPT13_lli
    .private_segment_fixed_size: 0
    .sgpr_count:     40
    .sgpr_spill_count: 0
    .symbol:         _ZN12_GLOBAL__N_127rocblas_gemm_batched_kernelIfLi16ELi16ELi64ELi64ELi4ELi64ELi4ELi4ELi64ELc67ELc67EKDF16_KffEEvlllT_PT11_llS5_llS3_PT12_llPT13_lli.kd
    .uniform_work_group_size: 1
    .uses_dynamic_stack: false
    .vgpr_count:     74
    .vgpr_spill_count: 0
    .wavefront_size: 32
  - .args:
      - .offset:         0
        .size:           8
        .value_kind:     by_value
      - .offset:         8
        .size:           8
        .value_kind:     by_value
      - .offset:         16
        .size:           8
        .value_kind:     by_value
      - .offset:         24
        .size:           4
        .value_kind:     by_value
      - .address_space:  global
        .offset:         32
        .size:           8
        .value_kind:     global_buffer
      - .offset:         40
        .size:           8
        .value_kind:     by_value
      - .offset:         48
        .size:           8
        .value_kind:     by_value
      - .address_space:  global
        .offset:         56
        .size:           8
        .value_kind:     global_buffer
      - .offset:         64
        .size:           8
        .value_kind:     by_value
      - .offset:         72
        .size:           8
        .value_kind:     by_value
      - .offset:         80
        .size:           4
        .value_kind:     by_value
      - .address_space:  global
        .offset:         88
        .size:           8
        .value_kind:     global_buffer
      - .offset:         96
        .size:           8
        .value_kind:     by_value
      - .offset:         104
        .size:           8
        .value_kind:     by_value
      - .address_space:  global
        .offset:         112
        .size:           8
        .value_kind:     global_buffer
      - .offset:         120
        .size:           8
        .value_kind:     by_value
      - .offset:         128
        .size:           8
        .value_kind:     by_value
      - .offset:         136
        .size:           4
        .value_kind:     by_value
    .group_segment_fixed_size: 2048
    .kernarg_segment_align: 8
    .kernarg_segment_size: 140
    .language:       OpenCL C
    .language_version:
      - 2
      - 0
    .max_flat_workgroup_size: 256
    .name:           _ZN12_GLOBAL__N_127rocblas_gemm_batched_kernelIfLi16ELi16ELi64ELi64ELi4ELi64ELi4ELi4ELi64ELc67ELc78EKDF16_KffEEvlllT_PT11_llS5_llS3_PT12_llPT13_lli
    .private_segment_fixed_size: 0
    .sgpr_count:     40
    .sgpr_spill_count: 0
    .symbol:         _ZN12_GLOBAL__N_127rocblas_gemm_batched_kernelIfLi16ELi16ELi64ELi64ELi4ELi64ELi4ELi4ELi64ELc67ELc78EKDF16_KffEEvlllT_PT11_llS5_llS3_PT12_llPT13_lli.kd
    .uniform_work_group_size: 1
    .uses_dynamic_stack: false
    .vgpr_count:     74
    .vgpr_spill_count: 0
    .wavefront_size: 32
  - .args:
      - .offset:         0
        .size:           8
        .value_kind:     by_value
      - .offset:         8
        .size:           8
        .value_kind:     by_value
      - .offset:         16
        .size:           8
        .value_kind:     by_value
      - .offset:         24
        .size:           4
        .value_kind:     by_value
      - .address_space:  global
        .offset:         32
        .size:           8
        .value_kind:     global_buffer
      - .offset:         40
        .size:           8
        .value_kind:     by_value
      - .offset:         48
        .size:           8
        .value_kind:     by_value
      - .address_space:  global
        .offset:         56
        .size:           8
        .value_kind:     global_buffer
      - .offset:         64
        .size:           8
        .value_kind:     by_value
      - .offset:         72
        .size:           8
        .value_kind:     by_value
      - .offset:         80
        .size:           4
        .value_kind:     by_value
      - .address_space:  global
        .offset:         88
        .size:           8
        .value_kind:     global_buffer
      - .offset:         96
        .size:           8
        .value_kind:     by_value
      - .offset:         104
        .size:           8
        .value_kind:     by_value
      - .address_space:  global
        .offset:         112
        .size:           8
        .value_kind:     global_buffer
      - .offset:         120
        .size:           8
        .value_kind:     by_value
      - .offset:         128
        .size:           8
        .value_kind:     by_value
      - .offset:         136
        .size:           4
        .value_kind:     by_value
    .group_segment_fixed_size: 2048
    .kernarg_segment_align: 8
    .kernarg_segment_size: 140
    .language:       OpenCL C
    .language_version:
      - 2
      - 0
    .max_flat_workgroup_size: 256
    .name:           _ZN12_GLOBAL__N_127rocblas_gemm_batched_kernelIfLi16ELi16ELi64ELi64ELi4ELi64ELi4ELi4ELi64ELc67ELc84EKDF16_KffEEvlllT_PT11_llS5_llS3_PT12_llPT13_lli
    .private_segment_fixed_size: 0
    .sgpr_count:     40
    .sgpr_spill_count: 0
    .symbol:         _ZN12_GLOBAL__N_127rocblas_gemm_batched_kernelIfLi16ELi16ELi64ELi64ELi4ELi64ELi4ELi4ELi64ELc67ELc84EKDF16_KffEEvlllT_PT11_llS5_llS3_PT12_llPT13_lli.kd
    .uniform_work_group_size: 1
    .uses_dynamic_stack: false
    .vgpr_count:     74
    .vgpr_spill_count: 0
    .wavefront_size: 32
  - .args:
      - .offset:         0
        .size:           8
        .value_kind:     by_value
      - .offset:         8
        .size:           8
        .value_kind:     by_value
      - .offset:         16
        .size:           8
        .value_kind:     by_value
      - .offset:         24
        .size:           4
        .value_kind:     by_value
      - .address_space:  global
        .offset:         32
        .size:           8
        .value_kind:     global_buffer
      - .offset:         40
        .size:           8
        .value_kind:     by_value
      - .offset:         48
        .size:           8
        .value_kind:     by_value
      - .address_space:  global
        .offset:         56
        .size:           8
        .value_kind:     global_buffer
      - .offset:         64
        .size:           8
        .value_kind:     by_value
      - .offset:         72
        .size:           8
        .value_kind:     by_value
      - .offset:         80
        .size:           4
        .value_kind:     by_value
      - .address_space:  global
        .offset:         88
        .size:           8
        .value_kind:     global_buffer
      - .offset:         96
        .size:           8
        .value_kind:     by_value
      - .offset:         104
        .size:           8
        .value_kind:     by_value
      - .address_space:  global
        .offset:         112
        .size:           8
        .value_kind:     global_buffer
      - .offset:         120
        .size:           8
        .value_kind:     by_value
      - .offset:         128
        .size:           8
        .value_kind:     by_value
      - .offset:         136
        .size:           4
        .value_kind:     by_value
    .group_segment_fixed_size: 2048
    .kernarg_segment_align: 8
    .kernarg_segment_size: 140
    .language:       OpenCL C
    .language_version:
      - 2
      - 0
    .max_flat_workgroup_size: 256
    .name:           _ZN12_GLOBAL__N_127rocblas_gemm_batched_kernelIfLi16ELi16ELi64ELi64ELi4ELi64ELi4ELi4ELi64ELc78ELc67EKDF16_KffEEvlllT_PT11_llS5_llS3_PT12_llPT13_lli
    .private_segment_fixed_size: 0
    .sgpr_count:     40
    .sgpr_spill_count: 0
    .symbol:         _ZN12_GLOBAL__N_127rocblas_gemm_batched_kernelIfLi16ELi16ELi64ELi64ELi4ELi64ELi4ELi4ELi64ELc78ELc67EKDF16_KffEEvlllT_PT11_llS5_llS3_PT12_llPT13_lli.kd
    .uniform_work_group_size: 1
    .uses_dynamic_stack: false
    .vgpr_count:     74
    .vgpr_spill_count: 0
    .wavefront_size: 32
  - .args:
      - .offset:         0
        .size:           8
        .value_kind:     by_value
      - .offset:         8
        .size:           8
        .value_kind:     by_value
      - .offset:         16
        .size:           8
        .value_kind:     by_value
      - .offset:         24
        .size:           4
        .value_kind:     by_value
      - .address_space:  global
        .offset:         32
        .size:           8
        .value_kind:     global_buffer
      - .offset:         40
        .size:           8
        .value_kind:     by_value
      - .offset:         48
        .size:           8
        .value_kind:     by_value
      - .address_space:  global
        .offset:         56
        .size:           8
        .value_kind:     global_buffer
      - .offset:         64
        .size:           8
        .value_kind:     by_value
      - .offset:         72
        .size:           8
        .value_kind:     by_value
      - .offset:         80
        .size:           4
        .value_kind:     by_value
      - .address_space:  global
        .offset:         88
        .size:           8
        .value_kind:     global_buffer
      - .offset:         96
        .size:           8
        .value_kind:     by_value
      - .offset:         104
        .size:           8
        .value_kind:     by_value
      - .address_space:  global
        .offset:         112
        .size:           8
        .value_kind:     global_buffer
      - .offset:         120
        .size:           8
        .value_kind:     by_value
      - .offset:         128
        .size:           8
        .value_kind:     by_value
      - .offset:         136
        .size:           4
        .value_kind:     by_value
    .group_segment_fixed_size: 2048
    .kernarg_segment_align: 8
    .kernarg_segment_size: 140
    .language:       OpenCL C
    .language_version:
      - 2
      - 0
    .max_flat_workgroup_size: 256
    .name:           _ZN12_GLOBAL__N_127rocblas_gemm_batched_kernelIfLi16ELi16ELi64ELi64ELi4ELi64ELi4ELi4ELi64ELc84ELc67EKDF16_KffEEvlllT_PT11_llS5_llS3_PT12_llPT13_lli
    .private_segment_fixed_size: 0
    .sgpr_count:     40
    .sgpr_spill_count: 0
    .symbol:         _ZN12_GLOBAL__N_127rocblas_gemm_batched_kernelIfLi16ELi16ELi64ELi64ELi4ELi64ELi4ELi4ELi64ELc84ELc67EKDF16_KffEEvlllT_PT11_llS5_llS3_PT12_llPT13_lli.kd
    .uniform_work_group_size: 1
    .uses_dynamic_stack: false
    .vgpr_count:     74
    .vgpr_spill_count: 0
    .wavefront_size: 32
  - .args:
      - .offset:         0
        .size:           8
        .value_kind:     by_value
      - .offset:         8
        .size:           8
        .value_kind:     by_value
      - .offset:         16
        .size:           8
        .value_kind:     by_value
      - .offset:         24
        .size:           4
        .value_kind:     by_value
      - .address_space:  global
        .offset:         32
        .size:           8
        .value_kind:     global_buffer
      - .offset:         40
        .size:           8
        .value_kind:     by_value
      - .offset:         48
        .size:           8
        .value_kind:     by_value
      - .address_space:  global
        .offset:         56
        .size:           8
        .value_kind:     global_buffer
      - .offset:         64
        .size:           8
        .value_kind:     by_value
      - .offset:         72
        .size:           8
        .value_kind:     by_value
      - .offset:         80
        .size:           4
        .value_kind:     by_value
      - .address_space:  global
        .offset:         88
        .size:           8
        .value_kind:     global_buffer
      - .offset:         96
        .size:           8
        .value_kind:     by_value
      - .offset:         104
        .size:           8
        .value_kind:     by_value
      - .address_space:  global
        .offset:         112
        .size:           8
        .value_kind:     global_buffer
      - .offset:         120
        .size:           8
        .value_kind:     by_value
      - .offset:         128
        .size:           8
        .value_kind:     by_value
      - .offset:         136
        .size:           4
        .value_kind:     by_value
    .group_segment_fixed_size: 2048
    .kernarg_segment_align: 8
    .kernarg_segment_size: 140
    .language:       OpenCL C
    .language_version:
      - 2
      - 0
    .max_flat_workgroup_size: 256
    .name:           _ZN12_GLOBAL__N_127rocblas_gemm_batched_kernelIfLi16ELi16ELi32ELi32ELi8ELi32ELi8ELi8ELi32ELc78ELc78EKDF16_KffEEvlllT_PT11_llS5_llS3_PT12_llPT13_lli
    .private_segment_fixed_size: 0
    .sgpr_count:     38
    .sgpr_spill_count: 0
    .symbol:         _ZN12_GLOBAL__N_127rocblas_gemm_batched_kernelIfLi16ELi16ELi32ELi32ELi8ELi32ELi8ELi8ELi32ELc78ELc78EKDF16_KffEEvlllT_PT11_llS5_llS3_PT12_llPT13_lli.kd
    .uniform_work_group_size: 1
    .uses_dynamic_stack: false
    .vgpr_count:     56
    .vgpr_spill_count: 0
    .wavefront_size: 32
  - .args:
      - .offset:         0
        .size:           8
        .value_kind:     by_value
      - .offset:         8
        .size:           8
        .value_kind:     by_value
      - .offset:         16
        .size:           8
        .value_kind:     by_value
      - .offset:         24
        .size:           4
        .value_kind:     by_value
      - .address_space:  global
        .offset:         32
        .size:           8
        .value_kind:     global_buffer
      - .offset:         40
        .size:           8
        .value_kind:     by_value
      - .offset:         48
        .size:           8
        .value_kind:     by_value
      - .address_space:  global
        .offset:         56
        .size:           8
        .value_kind:     global_buffer
      - .offset:         64
        .size:           8
        .value_kind:     by_value
      - .offset:         72
        .size:           8
        .value_kind:     by_value
      - .offset:         80
        .size:           4
        .value_kind:     by_value
      - .address_space:  global
        .offset:         88
        .size:           8
        .value_kind:     global_buffer
      - .offset:         96
        .size:           8
        .value_kind:     by_value
      - .offset:         104
        .size:           8
        .value_kind:     by_value
      - .address_space:  global
        .offset:         112
        .size:           8
        .value_kind:     global_buffer
      - .offset:         120
        .size:           8
        .value_kind:     by_value
      - .offset:         128
        .size:           8
        .value_kind:     by_value
      - .offset:         136
        .size:           4
        .value_kind:     by_value
    .group_segment_fixed_size: 2048
    .kernarg_segment_align: 8
    .kernarg_segment_size: 140
    .language:       OpenCL C
    .language_version:
      - 2
      - 0
    .max_flat_workgroup_size: 256
    .name:           _ZN12_GLOBAL__N_127rocblas_gemm_batched_kernelIfLi16ELi16ELi32ELi32ELi8ELi32ELi8ELi8ELi32ELc84ELc78EKDF16_KffEEvlllT_PT11_llS5_llS3_PT12_llPT13_lli
    .private_segment_fixed_size: 0
    .sgpr_count:     40
    .sgpr_spill_count: 0
    .symbol:         _ZN12_GLOBAL__N_127rocblas_gemm_batched_kernelIfLi16ELi16ELi32ELi32ELi8ELi32ELi8ELi8ELi32ELc84ELc78EKDF16_KffEEvlllT_PT11_llS5_llS3_PT12_llPT13_lli.kd
    .uniform_work_group_size: 1
    .uses_dynamic_stack: false
    .vgpr_count:     56
    .vgpr_spill_count: 0
    .wavefront_size: 32
  - .args:
      - .offset:         0
        .size:           8
        .value_kind:     by_value
      - .offset:         8
        .size:           8
        .value_kind:     by_value
      - .offset:         16
        .size:           8
        .value_kind:     by_value
      - .offset:         24
        .size:           4
        .value_kind:     by_value
      - .address_space:  global
        .offset:         32
        .size:           8
        .value_kind:     global_buffer
      - .offset:         40
        .size:           8
        .value_kind:     by_value
      - .offset:         48
        .size:           8
        .value_kind:     by_value
      - .address_space:  global
        .offset:         56
        .size:           8
        .value_kind:     global_buffer
      - .offset:         64
        .size:           8
        .value_kind:     by_value
      - .offset:         72
        .size:           8
        .value_kind:     by_value
      - .offset:         80
        .size:           4
        .value_kind:     by_value
      - .address_space:  global
        .offset:         88
        .size:           8
        .value_kind:     global_buffer
      - .offset:         96
        .size:           8
        .value_kind:     by_value
      - .offset:         104
        .size:           8
        .value_kind:     by_value
      - .address_space:  global
        .offset:         112
        .size:           8
        .value_kind:     global_buffer
      - .offset:         120
        .size:           8
        .value_kind:     by_value
      - .offset:         128
        .size:           8
        .value_kind:     by_value
      - .offset:         136
        .size:           4
        .value_kind:     by_value
    .group_segment_fixed_size: 2048
    .kernarg_segment_align: 8
    .kernarg_segment_size: 140
    .language:       OpenCL C
    .language_version:
      - 2
      - 0
    .max_flat_workgroup_size: 256
    .name:           _ZN12_GLOBAL__N_127rocblas_gemm_batched_kernelIfLi16ELi16ELi32ELi32ELi8ELi32ELi8ELi8ELi32ELc78ELc84EKDF16_KffEEvlllT_PT11_llS5_llS3_PT12_llPT13_lli
    .private_segment_fixed_size: 0
    .sgpr_count:     40
    .sgpr_spill_count: 0
    .symbol:         _ZN12_GLOBAL__N_127rocblas_gemm_batched_kernelIfLi16ELi16ELi32ELi32ELi8ELi32ELi8ELi8ELi32ELc78ELc84EKDF16_KffEEvlllT_PT11_llS5_llS3_PT12_llPT13_lli.kd
    .uniform_work_group_size: 1
    .uses_dynamic_stack: false
    .vgpr_count:     56
    .vgpr_spill_count: 0
    .wavefront_size: 32
  - .args:
      - .offset:         0
        .size:           8
        .value_kind:     by_value
      - .offset:         8
        .size:           8
        .value_kind:     by_value
      - .offset:         16
        .size:           8
        .value_kind:     by_value
      - .offset:         24
        .size:           4
        .value_kind:     by_value
      - .address_space:  global
        .offset:         32
        .size:           8
        .value_kind:     global_buffer
      - .offset:         40
        .size:           8
        .value_kind:     by_value
      - .offset:         48
        .size:           8
        .value_kind:     by_value
      - .address_space:  global
        .offset:         56
        .size:           8
        .value_kind:     global_buffer
      - .offset:         64
        .size:           8
        .value_kind:     by_value
      - .offset:         72
        .size:           8
        .value_kind:     by_value
      - .offset:         80
        .size:           4
        .value_kind:     by_value
      - .address_space:  global
        .offset:         88
        .size:           8
        .value_kind:     global_buffer
      - .offset:         96
        .size:           8
        .value_kind:     by_value
      - .offset:         104
        .size:           8
        .value_kind:     by_value
      - .address_space:  global
        .offset:         112
        .size:           8
        .value_kind:     global_buffer
      - .offset:         120
        .size:           8
        .value_kind:     by_value
      - .offset:         128
        .size:           8
        .value_kind:     by_value
      - .offset:         136
        .size:           4
        .value_kind:     by_value
    .group_segment_fixed_size: 2048
    .kernarg_segment_align: 8
    .kernarg_segment_size: 140
    .language:       OpenCL C
    .language_version:
      - 2
      - 0
    .max_flat_workgroup_size: 256
    .name:           _ZN12_GLOBAL__N_127rocblas_gemm_batched_kernelIfLi16ELi16ELi32ELi32ELi8ELi32ELi8ELi8ELi32ELc84ELc84EKDF16_KffEEvlllT_PT11_llS5_llS3_PT12_llPT13_lli
    .private_segment_fixed_size: 0
    .sgpr_count:     40
    .sgpr_spill_count: 0
    .symbol:         _ZN12_GLOBAL__N_127rocblas_gemm_batched_kernelIfLi16ELi16ELi32ELi32ELi8ELi32ELi8ELi8ELi32ELc84ELc84EKDF16_KffEEvlllT_PT11_llS5_llS3_PT12_llPT13_lli.kd
    .uniform_work_group_size: 1
    .uses_dynamic_stack: false
    .vgpr_count:     56
    .vgpr_spill_count: 0
    .wavefront_size: 32
  - .args:
      - .offset:         0
        .size:           8
        .value_kind:     by_value
      - .offset:         8
        .size:           8
        .value_kind:     by_value
      - .offset:         16
        .size:           8
        .value_kind:     by_value
      - .offset:         24
        .size:           4
        .value_kind:     by_value
      - .address_space:  global
        .offset:         32
        .size:           8
        .value_kind:     global_buffer
      - .offset:         40
        .size:           8
        .value_kind:     by_value
      - .offset:         48
        .size:           8
        .value_kind:     by_value
      - .address_space:  global
        .offset:         56
        .size:           8
        .value_kind:     global_buffer
      - .offset:         64
        .size:           8
        .value_kind:     by_value
      - .offset:         72
        .size:           8
        .value_kind:     by_value
      - .offset:         80
        .size:           4
        .value_kind:     by_value
      - .address_space:  global
        .offset:         88
        .size:           8
        .value_kind:     global_buffer
      - .offset:         96
        .size:           8
        .value_kind:     by_value
      - .offset:         104
        .size:           8
        .value_kind:     by_value
      - .address_space:  global
        .offset:         112
        .size:           8
        .value_kind:     global_buffer
      - .offset:         120
        .size:           8
        .value_kind:     by_value
      - .offset:         128
        .size:           8
        .value_kind:     by_value
      - .offset:         136
        .size:           4
        .value_kind:     by_value
    .group_segment_fixed_size: 2048
    .kernarg_segment_align: 8
    .kernarg_segment_size: 140
    .language:       OpenCL C
    .language_version:
      - 2
      - 0
    .max_flat_workgroup_size: 256
    .name:           _ZN12_GLOBAL__N_127rocblas_gemm_batched_kernelIfLi16ELi16ELi32ELi32ELi8ELi32ELi8ELi8ELi32ELc67ELc67EKDF16_KffEEvlllT_PT11_llS5_llS3_PT12_llPT13_lli
    .private_segment_fixed_size: 0
    .sgpr_count:     40
    .sgpr_spill_count: 0
    .symbol:         _ZN12_GLOBAL__N_127rocblas_gemm_batched_kernelIfLi16ELi16ELi32ELi32ELi8ELi32ELi8ELi8ELi32ELc67ELc67EKDF16_KffEEvlllT_PT11_llS5_llS3_PT12_llPT13_lli.kd
    .uniform_work_group_size: 1
    .uses_dynamic_stack: false
    .vgpr_count:     56
    .vgpr_spill_count: 0
    .wavefront_size: 32
  - .args:
      - .offset:         0
        .size:           8
        .value_kind:     by_value
      - .offset:         8
        .size:           8
        .value_kind:     by_value
      - .offset:         16
        .size:           8
        .value_kind:     by_value
      - .offset:         24
        .size:           4
        .value_kind:     by_value
      - .address_space:  global
        .offset:         32
        .size:           8
        .value_kind:     global_buffer
      - .offset:         40
        .size:           8
        .value_kind:     by_value
      - .offset:         48
        .size:           8
        .value_kind:     by_value
      - .address_space:  global
        .offset:         56
        .size:           8
        .value_kind:     global_buffer
      - .offset:         64
        .size:           8
        .value_kind:     by_value
      - .offset:         72
        .size:           8
        .value_kind:     by_value
      - .offset:         80
        .size:           4
        .value_kind:     by_value
      - .address_space:  global
        .offset:         88
        .size:           8
        .value_kind:     global_buffer
      - .offset:         96
        .size:           8
        .value_kind:     by_value
      - .offset:         104
        .size:           8
        .value_kind:     by_value
      - .address_space:  global
        .offset:         112
        .size:           8
        .value_kind:     global_buffer
      - .offset:         120
        .size:           8
        .value_kind:     by_value
      - .offset:         128
        .size:           8
        .value_kind:     by_value
      - .offset:         136
        .size:           4
        .value_kind:     by_value
    .group_segment_fixed_size: 2048
    .kernarg_segment_align: 8
    .kernarg_segment_size: 140
    .language:       OpenCL C
    .language_version:
      - 2
      - 0
    .max_flat_workgroup_size: 256
    .name:           _ZN12_GLOBAL__N_127rocblas_gemm_batched_kernelIfLi16ELi16ELi32ELi32ELi8ELi32ELi8ELi8ELi32ELc67ELc78EKDF16_KffEEvlllT_PT11_llS5_llS3_PT12_llPT13_lli
    .private_segment_fixed_size: 0
    .sgpr_count:     40
    .sgpr_spill_count: 0
    .symbol:         _ZN12_GLOBAL__N_127rocblas_gemm_batched_kernelIfLi16ELi16ELi32ELi32ELi8ELi32ELi8ELi8ELi32ELc67ELc78EKDF16_KffEEvlllT_PT11_llS5_llS3_PT12_llPT13_lli.kd
    .uniform_work_group_size: 1
    .uses_dynamic_stack: false
    .vgpr_count:     56
    .vgpr_spill_count: 0
    .wavefront_size: 32
  - .args:
      - .offset:         0
        .size:           8
        .value_kind:     by_value
      - .offset:         8
        .size:           8
        .value_kind:     by_value
      - .offset:         16
        .size:           8
        .value_kind:     by_value
      - .offset:         24
        .size:           4
        .value_kind:     by_value
      - .address_space:  global
        .offset:         32
        .size:           8
        .value_kind:     global_buffer
      - .offset:         40
        .size:           8
        .value_kind:     by_value
      - .offset:         48
        .size:           8
        .value_kind:     by_value
      - .address_space:  global
        .offset:         56
        .size:           8
        .value_kind:     global_buffer
      - .offset:         64
        .size:           8
        .value_kind:     by_value
      - .offset:         72
        .size:           8
        .value_kind:     by_value
      - .offset:         80
        .size:           4
        .value_kind:     by_value
      - .address_space:  global
        .offset:         88
        .size:           8
        .value_kind:     global_buffer
      - .offset:         96
        .size:           8
        .value_kind:     by_value
      - .offset:         104
        .size:           8
        .value_kind:     by_value
      - .address_space:  global
        .offset:         112
        .size:           8
        .value_kind:     global_buffer
      - .offset:         120
        .size:           8
        .value_kind:     by_value
      - .offset:         128
        .size:           8
        .value_kind:     by_value
      - .offset:         136
        .size:           4
        .value_kind:     by_value
    .group_segment_fixed_size: 2048
    .kernarg_segment_align: 8
    .kernarg_segment_size: 140
    .language:       OpenCL C
    .language_version:
      - 2
      - 0
    .max_flat_workgroup_size: 256
    .name:           _ZN12_GLOBAL__N_127rocblas_gemm_batched_kernelIfLi16ELi16ELi32ELi32ELi8ELi32ELi8ELi8ELi32ELc67ELc84EKDF16_KffEEvlllT_PT11_llS5_llS3_PT12_llPT13_lli
    .private_segment_fixed_size: 0
    .sgpr_count:     40
    .sgpr_spill_count: 0
    .symbol:         _ZN12_GLOBAL__N_127rocblas_gemm_batched_kernelIfLi16ELi16ELi32ELi32ELi8ELi32ELi8ELi8ELi32ELc67ELc84EKDF16_KffEEvlllT_PT11_llS5_llS3_PT12_llPT13_lli.kd
    .uniform_work_group_size: 1
    .uses_dynamic_stack: false
    .vgpr_count:     56
    .vgpr_spill_count: 0
    .wavefront_size: 32
  - .args:
      - .offset:         0
        .size:           8
        .value_kind:     by_value
      - .offset:         8
        .size:           8
        .value_kind:     by_value
      - .offset:         16
        .size:           8
        .value_kind:     by_value
      - .offset:         24
        .size:           4
        .value_kind:     by_value
      - .address_space:  global
        .offset:         32
        .size:           8
        .value_kind:     global_buffer
      - .offset:         40
        .size:           8
        .value_kind:     by_value
      - .offset:         48
        .size:           8
        .value_kind:     by_value
      - .address_space:  global
        .offset:         56
        .size:           8
        .value_kind:     global_buffer
      - .offset:         64
        .size:           8
        .value_kind:     by_value
      - .offset:         72
        .size:           8
        .value_kind:     by_value
      - .offset:         80
        .size:           4
        .value_kind:     by_value
      - .address_space:  global
        .offset:         88
        .size:           8
        .value_kind:     global_buffer
      - .offset:         96
        .size:           8
        .value_kind:     by_value
      - .offset:         104
        .size:           8
        .value_kind:     by_value
      - .address_space:  global
        .offset:         112
        .size:           8
        .value_kind:     global_buffer
      - .offset:         120
        .size:           8
        .value_kind:     by_value
      - .offset:         128
        .size:           8
        .value_kind:     by_value
      - .offset:         136
        .size:           4
        .value_kind:     by_value
    .group_segment_fixed_size: 2048
    .kernarg_segment_align: 8
    .kernarg_segment_size: 140
    .language:       OpenCL C
    .language_version:
      - 2
      - 0
    .max_flat_workgroup_size: 256
    .name:           _ZN12_GLOBAL__N_127rocblas_gemm_batched_kernelIfLi16ELi16ELi32ELi32ELi8ELi32ELi8ELi8ELi32ELc78ELc67EKDF16_KffEEvlllT_PT11_llS5_llS3_PT12_llPT13_lli
    .private_segment_fixed_size: 0
    .sgpr_count:     40
    .sgpr_spill_count: 0
    .symbol:         _ZN12_GLOBAL__N_127rocblas_gemm_batched_kernelIfLi16ELi16ELi32ELi32ELi8ELi32ELi8ELi8ELi32ELc78ELc67EKDF16_KffEEvlllT_PT11_llS5_llS3_PT12_llPT13_lli.kd
    .uniform_work_group_size: 1
    .uses_dynamic_stack: false
    .vgpr_count:     56
    .vgpr_spill_count: 0
    .wavefront_size: 32
  - .args:
      - .offset:         0
        .size:           8
        .value_kind:     by_value
      - .offset:         8
        .size:           8
        .value_kind:     by_value
      - .offset:         16
        .size:           8
        .value_kind:     by_value
      - .offset:         24
        .size:           4
        .value_kind:     by_value
      - .address_space:  global
        .offset:         32
        .size:           8
        .value_kind:     global_buffer
      - .offset:         40
        .size:           8
        .value_kind:     by_value
      - .offset:         48
        .size:           8
        .value_kind:     by_value
      - .address_space:  global
        .offset:         56
        .size:           8
        .value_kind:     global_buffer
      - .offset:         64
        .size:           8
        .value_kind:     by_value
      - .offset:         72
        .size:           8
        .value_kind:     by_value
      - .offset:         80
        .size:           4
        .value_kind:     by_value
      - .address_space:  global
        .offset:         88
        .size:           8
        .value_kind:     global_buffer
      - .offset:         96
        .size:           8
        .value_kind:     by_value
      - .offset:         104
        .size:           8
        .value_kind:     by_value
      - .address_space:  global
        .offset:         112
        .size:           8
        .value_kind:     global_buffer
      - .offset:         120
        .size:           8
        .value_kind:     by_value
      - .offset:         128
        .size:           8
        .value_kind:     by_value
      - .offset:         136
        .size:           4
        .value_kind:     by_value
    .group_segment_fixed_size: 2048
    .kernarg_segment_align: 8
    .kernarg_segment_size: 140
    .language:       OpenCL C
    .language_version:
      - 2
      - 0
    .max_flat_workgroup_size: 256
    .name:           _ZN12_GLOBAL__N_127rocblas_gemm_batched_kernelIfLi16ELi16ELi32ELi32ELi8ELi32ELi8ELi8ELi32ELc84ELc67EKDF16_KffEEvlllT_PT11_llS5_llS3_PT12_llPT13_lli
    .private_segment_fixed_size: 0
    .sgpr_count:     40
    .sgpr_spill_count: 0
    .symbol:         _ZN12_GLOBAL__N_127rocblas_gemm_batched_kernelIfLi16ELi16ELi32ELi32ELi8ELi32ELi8ELi8ELi32ELc84ELc67EKDF16_KffEEvlllT_PT11_llS5_llS3_PT12_llPT13_lli.kd
    .uniform_work_group_size: 1
    .uses_dynamic_stack: false
    .vgpr_count:     56
    .vgpr_spill_count: 0
    .wavefront_size: 32
  - .args:
      - .offset:         0
        .size:           8
        .value_kind:     by_value
      - .offset:         8
        .size:           8
        .value_kind:     by_value
      - .offset:         16
        .size:           8
        .value_kind:     by_value
      - .offset:         24
        .size:           4
        .value_kind:     by_value
      - .address_space:  global
        .offset:         32
        .size:           8
        .value_kind:     global_buffer
      - .offset:         40
        .size:           8
        .value_kind:     by_value
      - .offset:         48
        .size:           8
        .value_kind:     by_value
      - .address_space:  global
        .offset:         56
        .size:           8
        .value_kind:     global_buffer
      - .offset:         64
        .size:           8
        .value_kind:     by_value
      - .offset:         72
        .size:           8
        .value_kind:     by_value
      - .offset:         80
        .size:           4
        .value_kind:     by_value
      - .address_space:  global
        .offset:         88
        .size:           8
        .value_kind:     global_buffer
      - .offset:         96
        .size:           8
        .value_kind:     by_value
      - .offset:         104
        .size:           8
        .value_kind:     by_value
      - .address_space:  global
        .offset:         112
        .size:           8
        .value_kind:     global_buffer
      - .offset:         120
        .size:           8
        .value_kind:     by_value
      - .offset:         128
        .size:           8
        .value_kind:     by_value
      - .offset:         136
        .size:           4
        .value_kind:     by_value
    .group_segment_fixed_size: 2048
    .kernarg_segment_align: 8
    .kernarg_segment_size: 140
    .language:       OpenCL C
    .language_version:
      - 2
      - 0
    .max_flat_workgroup_size: 256
    .name:           _ZN12_GLOBAL__N_135rocblas_gemm_batched_general_kernelIfLi16ELi16ELi32ELi32ELi8ELi32ELi8ELi8ELi32ELc78ELc78EKDF16_KffEEvlllT_PT11_llS5_llS3_PT12_llPT13_lli
    .private_segment_fixed_size: 0
    .sgpr_count:     44
    .sgpr_spill_count: 0
    .symbol:         _ZN12_GLOBAL__N_135rocblas_gemm_batched_general_kernelIfLi16ELi16ELi32ELi32ELi8ELi32ELi8ELi8ELi32ELc78ELc78EKDF16_KffEEvlllT_PT11_llS5_llS3_PT12_llPT13_lli.kd
    .uniform_work_group_size: 1
    .uses_dynamic_stack: false
    .vgpr_count:     52
    .vgpr_spill_count: 0
    .wavefront_size: 32
  - .args:
      - .offset:         0
        .size:           8
        .value_kind:     by_value
      - .offset:         8
        .size:           8
        .value_kind:     by_value
      - .offset:         16
        .size:           8
        .value_kind:     by_value
      - .offset:         24
        .size:           4
        .value_kind:     by_value
      - .address_space:  global
        .offset:         32
        .size:           8
        .value_kind:     global_buffer
      - .offset:         40
        .size:           8
        .value_kind:     by_value
      - .offset:         48
        .size:           8
        .value_kind:     by_value
      - .address_space:  global
        .offset:         56
        .size:           8
        .value_kind:     global_buffer
      - .offset:         64
        .size:           8
        .value_kind:     by_value
      - .offset:         72
        .size:           8
        .value_kind:     by_value
      - .offset:         80
        .size:           4
        .value_kind:     by_value
      - .address_space:  global
        .offset:         88
        .size:           8
        .value_kind:     global_buffer
      - .offset:         96
        .size:           8
        .value_kind:     by_value
      - .offset:         104
        .size:           8
        .value_kind:     by_value
      - .address_space:  global
        .offset:         112
        .size:           8
        .value_kind:     global_buffer
      - .offset:         120
        .size:           8
        .value_kind:     by_value
      - .offset:         128
        .size:           8
        .value_kind:     by_value
      - .offset:         136
        .size:           4
        .value_kind:     by_value
    .group_segment_fixed_size: 2048
    .kernarg_segment_align: 8
    .kernarg_segment_size: 140
    .language:       OpenCL C
    .language_version:
      - 2
      - 0
    .max_flat_workgroup_size: 256
    .name:           _ZN12_GLOBAL__N_135rocblas_gemm_batched_general_kernelIfLi16ELi16ELi32ELi32ELi8ELi32ELi8ELi8ELi32ELc84ELc78EKDF16_KffEEvlllT_PT11_llS5_llS3_PT12_llPT13_lli
    .private_segment_fixed_size: 0
    .sgpr_count:     44
    .sgpr_spill_count: 0
    .symbol:         _ZN12_GLOBAL__N_135rocblas_gemm_batched_general_kernelIfLi16ELi16ELi32ELi32ELi8ELi32ELi8ELi8ELi32ELc84ELc78EKDF16_KffEEvlllT_PT11_llS5_llS3_PT12_llPT13_lli.kd
    .uniform_work_group_size: 1
    .uses_dynamic_stack: false
    .vgpr_count:     52
    .vgpr_spill_count: 0
    .wavefront_size: 32
  - .args:
      - .offset:         0
        .size:           8
        .value_kind:     by_value
      - .offset:         8
        .size:           8
        .value_kind:     by_value
      - .offset:         16
        .size:           8
        .value_kind:     by_value
      - .offset:         24
        .size:           4
        .value_kind:     by_value
      - .address_space:  global
        .offset:         32
        .size:           8
        .value_kind:     global_buffer
      - .offset:         40
        .size:           8
        .value_kind:     by_value
      - .offset:         48
        .size:           8
        .value_kind:     by_value
      - .address_space:  global
        .offset:         56
        .size:           8
        .value_kind:     global_buffer
      - .offset:         64
        .size:           8
        .value_kind:     by_value
      - .offset:         72
        .size:           8
        .value_kind:     by_value
      - .offset:         80
        .size:           4
        .value_kind:     by_value
      - .address_space:  global
        .offset:         88
        .size:           8
        .value_kind:     global_buffer
      - .offset:         96
        .size:           8
        .value_kind:     by_value
      - .offset:         104
        .size:           8
        .value_kind:     by_value
      - .address_space:  global
        .offset:         112
        .size:           8
        .value_kind:     global_buffer
      - .offset:         120
        .size:           8
        .value_kind:     by_value
      - .offset:         128
        .size:           8
        .value_kind:     by_value
      - .offset:         136
        .size:           4
        .value_kind:     by_value
    .group_segment_fixed_size: 2048
    .kernarg_segment_align: 8
    .kernarg_segment_size: 140
    .language:       OpenCL C
    .language_version:
      - 2
      - 0
    .max_flat_workgroup_size: 256
    .name:           _ZN12_GLOBAL__N_135rocblas_gemm_batched_general_kernelIfLi16ELi16ELi32ELi32ELi8ELi32ELi8ELi8ELi32ELc78ELc84EKDF16_KffEEvlllT_PT11_llS5_llS3_PT12_llPT13_lli
    .private_segment_fixed_size: 0
    .sgpr_count:     48
    .sgpr_spill_count: 0
    .symbol:         _ZN12_GLOBAL__N_135rocblas_gemm_batched_general_kernelIfLi16ELi16ELi32ELi32ELi8ELi32ELi8ELi8ELi32ELc78ELc84EKDF16_KffEEvlllT_PT11_llS5_llS3_PT12_llPT13_lli.kd
    .uniform_work_group_size: 1
    .uses_dynamic_stack: false
    .vgpr_count:     52
    .vgpr_spill_count: 0
    .wavefront_size: 32
  - .args:
      - .offset:         0
        .size:           8
        .value_kind:     by_value
      - .offset:         8
        .size:           8
        .value_kind:     by_value
      - .offset:         16
        .size:           8
        .value_kind:     by_value
      - .offset:         24
        .size:           4
        .value_kind:     by_value
      - .address_space:  global
        .offset:         32
        .size:           8
        .value_kind:     global_buffer
      - .offset:         40
        .size:           8
        .value_kind:     by_value
      - .offset:         48
        .size:           8
        .value_kind:     by_value
      - .address_space:  global
        .offset:         56
        .size:           8
        .value_kind:     global_buffer
      - .offset:         64
        .size:           8
        .value_kind:     by_value
      - .offset:         72
        .size:           8
        .value_kind:     by_value
      - .offset:         80
        .size:           4
        .value_kind:     by_value
      - .address_space:  global
        .offset:         88
        .size:           8
        .value_kind:     global_buffer
      - .offset:         96
        .size:           8
        .value_kind:     by_value
      - .offset:         104
        .size:           8
        .value_kind:     by_value
      - .address_space:  global
        .offset:         112
        .size:           8
        .value_kind:     global_buffer
      - .offset:         120
        .size:           8
        .value_kind:     by_value
      - .offset:         128
        .size:           8
        .value_kind:     by_value
      - .offset:         136
        .size:           4
        .value_kind:     by_value
    .group_segment_fixed_size: 2048
    .kernarg_segment_align: 8
    .kernarg_segment_size: 140
    .language:       OpenCL C
    .language_version:
      - 2
      - 0
    .max_flat_workgroup_size: 256
    .name:           _ZN12_GLOBAL__N_135rocblas_gemm_batched_general_kernelIfLi16ELi16ELi32ELi32ELi8ELi32ELi8ELi8ELi32ELc84ELc84EKDF16_KffEEvlllT_PT11_llS5_llS3_PT12_llPT13_lli
    .private_segment_fixed_size: 0
    .sgpr_count:     46
    .sgpr_spill_count: 0
    .symbol:         _ZN12_GLOBAL__N_135rocblas_gemm_batched_general_kernelIfLi16ELi16ELi32ELi32ELi8ELi32ELi8ELi8ELi32ELc84ELc84EKDF16_KffEEvlllT_PT11_llS5_llS3_PT12_llPT13_lli.kd
    .uniform_work_group_size: 1
    .uses_dynamic_stack: false
    .vgpr_count:     52
    .vgpr_spill_count: 0
    .wavefront_size: 32
  - .args:
      - .offset:         0
        .size:           8
        .value_kind:     by_value
      - .offset:         8
        .size:           8
        .value_kind:     by_value
      - .offset:         16
        .size:           8
        .value_kind:     by_value
      - .offset:         24
        .size:           4
        .value_kind:     by_value
      - .address_space:  global
        .offset:         32
        .size:           8
        .value_kind:     global_buffer
      - .offset:         40
        .size:           8
        .value_kind:     by_value
      - .offset:         48
        .size:           8
        .value_kind:     by_value
      - .address_space:  global
        .offset:         56
        .size:           8
        .value_kind:     global_buffer
      - .offset:         64
        .size:           8
        .value_kind:     by_value
      - .offset:         72
        .size:           8
        .value_kind:     by_value
      - .offset:         80
        .size:           4
        .value_kind:     by_value
      - .address_space:  global
        .offset:         88
        .size:           8
        .value_kind:     global_buffer
      - .offset:         96
        .size:           8
        .value_kind:     by_value
      - .offset:         104
        .size:           8
        .value_kind:     by_value
      - .address_space:  global
        .offset:         112
        .size:           8
        .value_kind:     global_buffer
      - .offset:         120
        .size:           8
        .value_kind:     by_value
      - .offset:         128
        .size:           8
        .value_kind:     by_value
      - .offset:         136
        .size:           4
        .value_kind:     by_value
    .group_segment_fixed_size: 2048
    .kernarg_segment_align: 8
    .kernarg_segment_size: 140
    .language:       OpenCL C
    .language_version:
      - 2
      - 0
    .max_flat_workgroup_size: 256
    .name:           _ZN12_GLOBAL__N_135rocblas_gemm_batched_general_kernelIfLi16ELi16ELi32ELi32ELi8ELi32ELi8ELi8ELi32ELc67ELc67EKDF16_KffEEvlllT_PT11_llS5_llS3_PT12_llPT13_lli
    .private_segment_fixed_size: 0
    .sgpr_count:     46
    .sgpr_spill_count: 0
    .symbol:         _ZN12_GLOBAL__N_135rocblas_gemm_batched_general_kernelIfLi16ELi16ELi32ELi32ELi8ELi32ELi8ELi8ELi32ELc67ELc67EKDF16_KffEEvlllT_PT11_llS5_llS3_PT12_llPT13_lli.kd
    .uniform_work_group_size: 1
    .uses_dynamic_stack: false
    .vgpr_count:     52
    .vgpr_spill_count: 0
    .wavefront_size: 32
  - .args:
      - .offset:         0
        .size:           8
        .value_kind:     by_value
      - .offset:         8
        .size:           8
        .value_kind:     by_value
      - .offset:         16
        .size:           8
        .value_kind:     by_value
      - .offset:         24
        .size:           4
        .value_kind:     by_value
      - .address_space:  global
        .offset:         32
        .size:           8
        .value_kind:     global_buffer
      - .offset:         40
        .size:           8
        .value_kind:     by_value
      - .offset:         48
        .size:           8
        .value_kind:     by_value
      - .address_space:  global
        .offset:         56
        .size:           8
        .value_kind:     global_buffer
      - .offset:         64
        .size:           8
        .value_kind:     by_value
      - .offset:         72
        .size:           8
        .value_kind:     by_value
      - .offset:         80
        .size:           4
        .value_kind:     by_value
      - .address_space:  global
        .offset:         88
        .size:           8
        .value_kind:     global_buffer
      - .offset:         96
        .size:           8
        .value_kind:     by_value
      - .offset:         104
        .size:           8
        .value_kind:     by_value
      - .address_space:  global
        .offset:         112
        .size:           8
        .value_kind:     global_buffer
      - .offset:         120
        .size:           8
        .value_kind:     by_value
      - .offset:         128
        .size:           8
        .value_kind:     by_value
      - .offset:         136
        .size:           4
        .value_kind:     by_value
    .group_segment_fixed_size: 2048
    .kernarg_segment_align: 8
    .kernarg_segment_size: 140
    .language:       OpenCL C
    .language_version:
      - 2
      - 0
    .max_flat_workgroup_size: 256
    .name:           _ZN12_GLOBAL__N_135rocblas_gemm_batched_general_kernelIfLi16ELi16ELi32ELi32ELi8ELi32ELi8ELi8ELi32ELc67ELc78EKDF16_KffEEvlllT_PT11_llS5_llS3_PT12_llPT13_lli
    .private_segment_fixed_size: 0
    .sgpr_count:     44
    .sgpr_spill_count: 0
    .symbol:         _ZN12_GLOBAL__N_135rocblas_gemm_batched_general_kernelIfLi16ELi16ELi32ELi32ELi8ELi32ELi8ELi8ELi32ELc67ELc78EKDF16_KffEEvlllT_PT11_llS5_llS3_PT12_llPT13_lli.kd
    .uniform_work_group_size: 1
    .uses_dynamic_stack: false
    .vgpr_count:     52
    .vgpr_spill_count: 0
    .wavefront_size: 32
  - .args:
      - .offset:         0
        .size:           8
        .value_kind:     by_value
      - .offset:         8
        .size:           8
        .value_kind:     by_value
      - .offset:         16
        .size:           8
        .value_kind:     by_value
      - .offset:         24
        .size:           4
        .value_kind:     by_value
      - .address_space:  global
        .offset:         32
        .size:           8
        .value_kind:     global_buffer
      - .offset:         40
        .size:           8
        .value_kind:     by_value
      - .offset:         48
        .size:           8
        .value_kind:     by_value
      - .address_space:  global
        .offset:         56
        .size:           8
        .value_kind:     global_buffer
      - .offset:         64
        .size:           8
        .value_kind:     by_value
      - .offset:         72
        .size:           8
        .value_kind:     by_value
      - .offset:         80
        .size:           4
        .value_kind:     by_value
      - .address_space:  global
        .offset:         88
        .size:           8
        .value_kind:     global_buffer
      - .offset:         96
        .size:           8
        .value_kind:     by_value
      - .offset:         104
        .size:           8
        .value_kind:     by_value
      - .address_space:  global
        .offset:         112
        .size:           8
        .value_kind:     global_buffer
      - .offset:         120
        .size:           8
        .value_kind:     by_value
      - .offset:         128
        .size:           8
        .value_kind:     by_value
      - .offset:         136
        .size:           4
        .value_kind:     by_value
    .group_segment_fixed_size: 2048
    .kernarg_segment_align: 8
    .kernarg_segment_size: 140
    .language:       OpenCL C
    .language_version:
      - 2
      - 0
    .max_flat_workgroup_size: 256
    .name:           _ZN12_GLOBAL__N_135rocblas_gemm_batched_general_kernelIfLi16ELi16ELi32ELi32ELi8ELi32ELi8ELi8ELi32ELc67ELc84EKDF16_KffEEvlllT_PT11_llS5_llS3_PT12_llPT13_lli
    .private_segment_fixed_size: 0
    .sgpr_count:     46
    .sgpr_spill_count: 0
    .symbol:         _ZN12_GLOBAL__N_135rocblas_gemm_batched_general_kernelIfLi16ELi16ELi32ELi32ELi8ELi32ELi8ELi8ELi32ELc67ELc84EKDF16_KffEEvlllT_PT11_llS5_llS3_PT12_llPT13_lli.kd
    .uniform_work_group_size: 1
    .uses_dynamic_stack: false
    .vgpr_count:     52
    .vgpr_spill_count: 0
    .wavefront_size: 32
  - .args:
      - .offset:         0
        .size:           8
        .value_kind:     by_value
      - .offset:         8
        .size:           8
        .value_kind:     by_value
      - .offset:         16
        .size:           8
        .value_kind:     by_value
      - .offset:         24
        .size:           4
        .value_kind:     by_value
      - .address_space:  global
        .offset:         32
        .size:           8
        .value_kind:     global_buffer
      - .offset:         40
        .size:           8
        .value_kind:     by_value
      - .offset:         48
        .size:           8
        .value_kind:     by_value
      - .address_space:  global
        .offset:         56
        .size:           8
        .value_kind:     global_buffer
      - .offset:         64
        .size:           8
        .value_kind:     by_value
      - .offset:         72
        .size:           8
        .value_kind:     by_value
      - .offset:         80
        .size:           4
        .value_kind:     by_value
      - .address_space:  global
        .offset:         88
        .size:           8
        .value_kind:     global_buffer
      - .offset:         96
        .size:           8
        .value_kind:     by_value
      - .offset:         104
        .size:           8
        .value_kind:     by_value
      - .address_space:  global
        .offset:         112
        .size:           8
        .value_kind:     global_buffer
      - .offset:         120
        .size:           8
        .value_kind:     by_value
      - .offset:         128
        .size:           8
        .value_kind:     by_value
      - .offset:         136
        .size:           4
        .value_kind:     by_value
    .group_segment_fixed_size: 2048
    .kernarg_segment_align: 8
    .kernarg_segment_size: 140
    .language:       OpenCL C
    .language_version:
      - 2
      - 0
    .max_flat_workgroup_size: 256
    .name:           _ZN12_GLOBAL__N_135rocblas_gemm_batched_general_kernelIfLi16ELi16ELi32ELi32ELi8ELi32ELi8ELi8ELi32ELc78ELc67EKDF16_KffEEvlllT_PT11_llS5_llS3_PT12_llPT13_lli
    .private_segment_fixed_size: 0
    .sgpr_count:     48
    .sgpr_spill_count: 0
    .symbol:         _ZN12_GLOBAL__N_135rocblas_gemm_batched_general_kernelIfLi16ELi16ELi32ELi32ELi8ELi32ELi8ELi8ELi32ELc78ELc67EKDF16_KffEEvlllT_PT11_llS5_llS3_PT12_llPT13_lli.kd
    .uniform_work_group_size: 1
    .uses_dynamic_stack: false
    .vgpr_count:     52
    .vgpr_spill_count: 0
    .wavefront_size: 32
  - .args:
      - .offset:         0
        .size:           8
        .value_kind:     by_value
      - .offset:         8
        .size:           8
        .value_kind:     by_value
      - .offset:         16
        .size:           8
        .value_kind:     by_value
      - .offset:         24
        .size:           4
        .value_kind:     by_value
      - .address_space:  global
        .offset:         32
        .size:           8
        .value_kind:     global_buffer
      - .offset:         40
        .size:           8
        .value_kind:     by_value
      - .offset:         48
        .size:           8
        .value_kind:     by_value
      - .address_space:  global
        .offset:         56
        .size:           8
        .value_kind:     global_buffer
      - .offset:         64
        .size:           8
        .value_kind:     by_value
      - .offset:         72
        .size:           8
        .value_kind:     by_value
      - .offset:         80
        .size:           4
        .value_kind:     by_value
      - .address_space:  global
        .offset:         88
        .size:           8
        .value_kind:     global_buffer
      - .offset:         96
        .size:           8
        .value_kind:     by_value
      - .offset:         104
        .size:           8
        .value_kind:     by_value
      - .address_space:  global
        .offset:         112
        .size:           8
        .value_kind:     global_buffer
      - .offset:         120
        .size:           8
        .value_kind:     by_value
      - .offset:         128
        .size:           8
        .value_kind:     by_value
      - .offset:         136
        .size:           4
        .value_kind:     by_value
    .group_segment_fixed_size: 2048
    .kernarg_segment_align: 8
    .kernarg_segment_size: 140
    .language:       OpenCL C
    .language_version:
      - 2
      - 0
    .max_flat_workgroup_size: 256
    .name:           _ZN12_GLOBAL__N_135rocblas_gemm_batched_general_kernelIfLi16ELi16ELi32ELi32ELi8ELi32ELi8ELi8ELi32ELc84ELc67EKDF16_KffEEvlllT_PT11_llS5_llS3_PT12_llPT13_lli
    .private_segment_fixed_size: 0
    .sgpr_count:     46
    .sgpr_spill_count: 0
    .symbol:         _ZN12_GLOBAL__N_135rocblas_gemm_batched_general_kernelIfLi16ELi16ELi32ELi32ELi8ELi32ELi8ELi8ELi32ELc84ELc67EKDF16_KffEEvlllT_PT11_llS5_llS3_PT12_llPT13_lli.kd
    .uniform_work_group_size: 1
    .uses_dynamic_stack: false
    .vgpr_count:     52
    .vgpr_spill_count: 0
    .wavefront_size: 32
  - .args:
      - .offset:         0
        .size:           4
        .value_kind:     by_value
      - .offset:         4
        .size:           4
        .value_kind:     by_value
      - .offset:         8
        .size:           4
        .value_kind:     by_value
      - .address_space:  global
        .offset:         16
        .size:           8
        .value_kind:     global_buffer
      - .offset:         24
        .size:           8
        .value_kind:     by_value
      - .offset:         32
        .size:           8
        .value_kind:     by_value
      - .offset:         40
        .size:           8
        .value_kind:     by_value
      - .address_space:  global
        .offset:         48
        .size:           8
        .value_kind:     global_buffer
      - .offset:         56
        .size:           8
        .value_kind:     by_value
      - .offset:         64
        .size:           8
        .value_kind:     by_value
      - .offset:         72
        .size:           8
        .value_kind:     by_value
      - .offset:         80
        .size:           4
        .value_kind:     by_value
    .group_segment_fixed_size: 0
    .kernarg_segment_align: 8
    .kernarg_segment_size: 84
    .language:       OpenCL C
    .language_version:
      - 2
      - 0
    .max_flat_workgroup_size: 1024
    .name:           _ZN12_GLOBAL__N_120gemm_ex_scale_kernelILi32ELi32EfPK16rocblas_bfloat16PS1_EEviiT1_T2_lllT3_llli
    .private_segment_fixed_size: 0
    .sgpr_count:     29
    .sgpr_spill_count: 0
    .symbol:         _ZN12_GLOBAL__N_120gemm_ex_scale_kernelILi32ELi32EfPK16rocblas_bfloat16PS1_EEviiT1_T2_lllT3_llli.kd
    .uniform_work_group_size: 1
    .uses_dynamic_stack: false
    .vgpr_count:     8
    .vgpr_spill_count: 0
    .wavefront_size: 32
  - .args:
      - .offset:         0
        .size:           8
        .value_kind:     by_value
      - .offset:         8
        .size:           8
        .value_kind:     by_value
      - .offset:         16
        .size:           8
        .value_kind:     by_value
      - .offset:         24
        .size:           4
        .value_kind:     by_value
      - .address_space:  global
        .offset:         32
        .size:           8
        .value_kind:     global_buffer
      - .offset:         40
        .size:           8
        .value_kind:     by_value
      - .offset:         48
        .size:           8
        .value_kind:     by_value
      - .address_space:  global
        .offset:         56
        .size:           8
        .value_kind:     global_buffer
      - .offset:         64
        .size:           8
        .value_kind:     by_value
      - .offset:         72
        .size:           8
        .value_kind:     by_value
      - .offset:         80
        .size:           4
        .value_kind:     by_value
      - .address_space:  global
        .offset:         88
        .size:           8
        .value_kind:     global_buffer
      - .offset:         96
        .size:           8
        .value_kind:     by_value
      - .offset:         104
        .size:           8
        .value_kind:     by_value
      - .address_space:  global
        .offset:         112
        .size:           8
        .value_kind:     global_buffer
      - .offset:         120
        .size:           8
        .value_kind:     by_value
      - .offset:         128
        .size:           8
        .value_kind:     by_value
      - .offset:         136
        .size:           4
        .value_kind:     by_value
    .group_segment_fixed_size: 2048
    .kernarg_segment_align: 8
    .kernarg_segment_size: 140
    .language:       OpenCL C
    .language_version:
      - 2
      - 0
    .max_flat_workgroup_size: 256
    .name:           _ZN12_GLOBAL__N_127rocblas_gemm_batched_kernelIfLi16ELi16ELi64ELi64ELi4ELi64ELi4ELi4ELi64ELc78ELc78EK16rocblas_bfloat16S2_S1_EEvlllT_PT11_llS5_llS3_PT12_llPT13_lli
    .private_segment_fixed_size: 0
    .sgpr_count:     38
    .sgpr_spill_count: 0
    .symbol:         _ZN12_GLOBAL__N_127rocblas_gemm_batched_kernelIfLi16ELi16ELi64ELi64ELi4ELi64ELi4ELi4ELi64ELc78ELc78EK16rocblas_bfloat16S2_S1_EEvlllT_PT11_llS5_llS3_PT12_llPT13_lli.kd
    .uniform_work_group_size: 1
    .uses_dynamic_stack: false
    .vgpr_count:     70
    .vgpr_spill_count: 0
    .wavefront_size: 32
  - .args:
      - .offset:         0
        .size:           8
        .value_kind:     by_value
      - .offset:         8
        .size:           8
        .value_kind:     by_value
      - .offset:         16
        .size:           8
        .value_kind:     by_value
      - .offset:         24
        .size:           4
        .value_kind:     by_value
      - .address_space:  global
        .offset:         32
        .size:           8
        .value_kind:     global_buffer
      - .offset:         40
        .size:           8
        .value_kind:     by_value
      - .offset:         48
        .size:           8
        .value_kind:     by_value
      - .address_space:  global
        .offset:         56
        .size:           8
        .value_kind:     global_buffer
      - .offset:         64
        .size:           8
        .value_kind:     by_value
      - .offset:         72
        .size:           8
        .value_kind:     by_value
      - .offset:         80
        .size:           4
        .value_kind:     by_value
      - .address_space:  global
        .offset:         88
        .size:           8
        .value_kind:     global_buffer
      - .offset:         96
        .size:           8
        .value_kind:     by_value
      - .offset:         104
        .size:           8
        .value_kind:     by_value
      - .address_space:  global
        .offset:         112
        .size:           8
        .value_kind:     global_buffer
      - .offset:         120
        .size:           8
        .value_kind:     by_value
      - .offset:         128
        .size:           8
        .value_kind:     by_value
      - .offset:         136
        .size:           4
        .value_kind:     by_value
    .group_segment_fixed_size: 2048
    .kernarg_segment_align: 8
    .kernarg_segment_size: 140
    .language:       OpenCL C
    .language_version:
      - 2
      - 0
    .max_flat_workgroup_size: 256
    .name:           _ZN12_GLOBAL__N_127rocblas_gemm_batched_kernelIfLi16ELi16ELi64ELi64ELi4ELi64ELi4ELi4ELi64ELc84ELc78EK16rocblas_bfloat16S2_S1_EEvlllT_PT11_llS5_llS3_PT12_llPT13_lli
    .private_segment_fixed_size: 0
    .sgpr_count:     40
    .sgpr_spill_count: 0
    .symbol:         _ZN12_GLOBAL__N_127rocblas_gemm_batched_kernelIfLi16ELi16ELi64ELi64ELi4ELi64ELi4ELi4ELi64ELc84ELc78EK16rocblas_bfloat16S2_S1_EEvlllT_PT11_llS5_llS3_PT12_llPT13_lli.kd
    .uniform_work_group_size: 1
    .uses_dynamic_stack: false
    .vgpr_count:     70
    .vgpr_spill_count: 0
    .wavefront_size: 32
  - .args:
      - .offset:         0
        .size:           8
        .value_kind:     by_value
      - .offset:         8
        .size:           8
        .value_kind:     by_value
      - .offset:         16
        .size:           8
        .value_kind:     by_value
      - .offset:         24
        .size:           4
        .value_kind:     by_value
      - .address_space:  global
        .offset:         32
        .size:           8
        .value_kind:     global_buffer
      - .offset:         40
        .size:           8
        .value_kind:     by_value
      - .offset:         48
        .size:           8
        .value_kind:     by_value
      - .address_space:  global
        .offset:         56
        .size:           8
        .value_kind:     global_buffer
      - .offset:         64
        .size:           8
        .value_kind:     by_value
      - .offset:         72
        .size:           8
        .value_kind:     by_value
      - .offset:         80
        .size:           4
        .value_kind:     by_value
      - .address_space:  global
        .offset:         88
        .size:           8
        .value_kind:     global_buffer
      - .offset:         96
        .size:           8
        .value_kind:     by_value
      - .offset:         104
        .size:           8
        .value_kind:     by_value
      - .address_space:  global
        .offset:         112
        .size:           8
        .value_kind:     global_buffer
      - .offset:         120
        .size:           8
        .value_kind:     by_value
      - .offset:         128
        .size:           8
        .value_kind:     by_value
      - .offset:         136
        .size:           4
        .value_kind:     by_value
    .group_segment_fixed_size: 2048
    .kernarg_segment_align: 8
    .kernarg_segment_size: 140
    .language:       OpenCL C
    .language_version:
      - 2
      - 0
    .max_flat_workgroup_size: 256
    .name:           _ZN12_GLOBAL__N_127rocblas_gemm_batched_kernelIfLi16ELi16ELi64ELi64ELi4ELi64ELi4ELi4ELi64ELc78ELc84EK16rocblas_bfloat16S2_S1_EEvlllT_PT11_llS5_llS3_PT12_llPT13_lli
    .private_segment_fixed_size: 0
    .sgpr_count:     40
    .sgpr_spill_count: 0
    .symbol:         _ZN12_GLOBAL__N_127rocblas_gemm_batched_kernelIfLi16ELi16ELi64ELi64ELi4ELi64ELi4ELi4ELi64ELc78ELc84EK16rocblas_bfloat16S2_S1_EEvlllT_PT11_llS5_llS3_PT12_llPT13_lli.kd
    .uniform_work_group_size: 1
    .uses_dynamic_stack: false
    .vgpr_count:     70
    .vgpr_spill_count: 0
    .wavefront_size: 32
  - .args:
      - .offset:         0
        .size:           8
        .value_kind:     by_value
      - .offset:         8
        .size:           8
        .value_kind:     by_value
      - .offset:         16
        .size:           8
        .value_kind:     by_value
      - .offset:         24
        .size:           4
        .value_kind:     by_value
      - .address_space:  global
        .offset:         32
        .size:           8
        .value_kind:     global_buffer
      - .offset:         40
        .size:           8
        .value_kind:     by_value
      - .offset:         48
        .size:           8
        .value_kind:     by_value
      - .address_space:  global
        .offset:         56
        .size:           8
        .value_kind:     global_buffer
      - .offset:         64
        .size:           8
        .value_kind:     by_value
      - .offset:         72
        .size:           8
        .value_kind:     by_value
      - .offset:         80
        .size:           4
        .value_kind:     by_value
      - .address_space:  global
        .offset:         88
        .size:           8
        .value_kind:     global_buffer
      - .offset:         96
        .size:           8
        .value_kind:     by_value
      - .offset:         104
        .size:           8
        .value_kind:     by_value
      - .address_space:  global
        .offset:         112
        .size:           8
        .value_kind:     global_buffer
      - .offset:         120
        .size:           8
        .value_kind:     by_value
      - .offset:         128
        .size:           8
        .value_kind:     by_value
      - .offset:         136
        .size:           4
        .value_kind:     by_value
    .group_segment_fixed_size: 2048
    .kernarg_segment_align: 8
    .kernarg_segment_size: 140
    .language:       OpenCL C
    .language_version:
      - 2
      - 0
    .max_flat_workgroup_size: 256
    .name:           _ZN12_GLOBAL__N_127rocblas_gemm_batched_kernelIfLi16ELi16ELi64ELi64ELi4ELi64ELi4ELi4ELi64ELc84ELc84EK16rocblas_bfloat16S2_S1_EEvlllT_PT11_llS5_llS3_PT12_llPT13_lli
    .private_segment_fixed_size: 0
    .sgpr_count:     40
    .sgpr_spill_count: 0
    .symbol:         _ZN12_GLOBAL__N_127rocblas_gemm_batched_kernelIfLi16ELi16ELi64ELi64ELi4ELi64ELi4ELi4ELi64ELc84ELc84EK16rocblas_bfloat16S2_S1_EEvlllT_PT11_llS5_llS3_PT12_llPT13_lli.kd
    .uniform_work_group_size: 1
    .uses_dynamic_stack: false
    .vgpr_count:     70
    .vgpr_spill_count: 0
    .wavefront_size: 32
  - .args:
      - .offset:         0
        .size:           8
        .value_kind:     by_value
      - .offset:         8
        .size:           8
        .value_kind:     by_value
      - .offset:         16
        .size:           8
        .value_kind:     by_value
      - .offset:         24
        .size:           4
        .value_kind:     by_value
      - .address_space:  global
        .offset:         32
        .size:           8
        .value_kind:     global_buffer
      - .offset:         40
        .size:           8
        .value_kind:     by_value
      - .offset:         48
        .size:           8
        .value_kind:     by_value
      - .address_space:  global
        .offset:         56
        .size:           8
        .value_kind:     global_buffer
      - .offset:         64
        .size:           8
        .value_kind:     by_value
      - .offset:         72
        .size:           8
        .value_kind:     by_value
      - .offset:         80
        .size:           4
        .value_kind:     by_value
      - .address_space:  global
        .offset:         88
        .size:           8
        .value_kind:     global_buffer
      - .offset:         96
        .size:           8
        .value_kind:     by_value
      - .offset:         104
        .size:           8
        .value_kind:     by_value
      - .address_space:  global
        .offset:         112
        .size:           8
        .value_kind:     global_buffer
      - .offset:         120
        .size:           8
        .value_kind:     by_value
      - .offset:         128
        .size:           8
        .value_kind:     by_value
      - .offset:         136
        .size:           4
        .value_kind:     by_value
    .group_segment_fixed_size: 2048
    .kernarg_segment_align: 8
    .kernarg_segment_size: 140
    .language:       OpenCL C
    .language_version:
      - 2
      - 0
    .max_flat_workgroup_size: 256
    .name:           _ZN12_GLOBAL__N_127rocblas_gemm_batched_kernelIfLi16ELi16ELi64ELi64ELi4ELi64ELi4ELi4ELi64ELc67ELc67EK16rocblas_bfloat16S2_S1_EEvlllT_PT11_llS5_llS3_PT12_llPT13_lli
    .private_segment_fixed_size: 0
    .sgpr_count:     40
    .sgpr_spill_count: 0
    .symbol:         _ZN12_GLOBAL__N_127rocblas_gemm_batched_kernelIfLi16ELi16ELi64ELi64ELi4ELi64ELi4ELi4ELi64ELc67ELc67EK16rocblas_bfloat16S2_S1_EEvlllT_PT11_llS5_llS3_PT12_llPT13_lli.kd
    .uniform_work_group_size: 1
    .uses_dynamic_stack: false
    .vgpr_count:     70
    .vgpr_spill_count: 0
    .wavefront_size: 32
  - .args:
      - .offset:         0
        .size:           8
        .value_kind:     by_value
      - .offset:         8
        .size:           8
        .value_kind:     by_value
      - .offset:         16
        .size:           8
        .value_kind:     by_value
      - .offset:         24
        .size:           4
        .value_kind:     by_value
      - .address_space:  global
        .offset:         32
        .size:           8
        .value_kind:     global_buffer
      - .offset:         40
        .size:           8
        .value_kind:     by_value
      - .offset:         48
        .size:           8
        .value_kind:     by_value
      - .address_space:  global
        .offset:         56
        .size:           8
        .value_kind:     global_buffer
      - .offset:         64
        .size:           8
        .value_kind:     by_value
      - .offset:         72
        .size:           8
        .value_kind:     by_value
      - .offset:         80
        .size:           4
        .value_kind:     by_value
      - .address_space:  global
        .offset:         88
        .size:           8
        .value_kind:     global_buffer
      - .offset:         96
        .size:           8
        .value_kind:     by_value
      - .offset:         104
        .size:           8
        .value_kind:     by_value
      - .address_space:  global
        .offset:         112
        .size:           8
        .value_kind:     global_buffer
      - .offset:         120
        .size:           8
        .value_kind:     by_value
      - .offset:         128
        .size:           8
        .value_kind:     by_value
      - .offset:         136
        .size:           4
        .value_kind:     by_value
    .group_segment_fixed_size: 2048
    .kernarg_segment_align: 8
    .kernarg_segment_size: 140
    .language:       OpenCL C
    .language_version:
      - 2
      - 0
    .max_flat_workgroup_size: 256
    .name:           _ZN12_GLOBAL__N_127rocblas_gemm_batched_kernelIfLi16ELi16ELi64ELi64ELi4ELi64ELi4ELi4ELi64ELc67ELc78EK16rocblas_bfloat16S2_S1_EEvlllT_PT11_llS5_llS3_PT12_llPT13_lli
    .private_segment_fixed_size: 0
    .sgpr_count:     40
    .sgpr_spill_count: 0
    .symbol:         _ZN12_GLOBAL__N_127rocblas_gemm_batched_kernelIfLi16ELi16ELi64ELi64ELi4ELi64ELi4ELi4ELi64ELc67ELc78EK16rocblas_bfloat16S2_S1_EEvlllT_PT11_llS5_llS3_PT12_llPT13_lli.kd
    .uniform_work_group_size: 1
    .uses_dynamic_stack: false
    .vgpr_count:     70
    .vgpr_spill_count: 0
    .wavefront_size: 32
  - .args:
      - .offset:         0
        .size:           8
        .value_kind:     by_value
      - .offset:         8
        .size:           8
        .value_kind:     by_value
      - .offset:         16
        .size:           8
        .value_kind:     by_value
      - .offset:         24
        .size:           4
        .value_kind:     by_value
      - .address_space:  global
        .offset:         32
        .size:           8
        .value_kind:     global_buffer
      - .offset:         40
        .size:           8
        .value_kind:     by_value
      - .offset:         48
        .size:           8
        .value_kind:     by_value
      - .address_space:  global
        .offset:         56
        .size:           8
        .value_kind:     global_buffer
      - .offset:         64
        .size:           8
        .value_kind:     by_value
      - .offset:         72
        .size:           8
        .value_kind:     by_value
      - .offset:         80
        .size:           4
        .value_kind:     by_value
      - .address_space:  global
        .offset:         88
        .size:           8
        .value_kind:     global_buffer
      - .offset:         96
        .size:           8
        .value_kind:     by_value
      - .offset:         104
        .size:           8
        .value_kind:     by_value
      - .address_space:  global
        .offset:         112
        .size:           8
        .value_kind:     global_buffer
      - .offset:         120
        .size:           8
        .value_kind:     by_value
      - .offset:         128
        .size:           8
        .value_kind:     by_value
      - .offset:         136
        .size:           4
        .value_kind:     by_value
    .group_segment_fixed_size: 2048
    .kernarg_segment_align: 8
    .kernarg_segment_size: 140
    .language:       OpenCL C
    .language_version:
      - 2
      - 0
    .max_flat_workgroup_size: 256
    .name:           _ZN12_GLOBAL__N_127rocblas_gemm_batched_kernelIfLi16ELi16ELi64ELi64ELi4ELi64ELi4ELi4ELi64ELc67ELc84EK16rocblas_bfloat16S2_S1_EEvlllT_PT11_llS5_llS3_PT12_llPT13_lli
    .private_segment_fixed_size: 0
    .sgpr_count:     40
    .sgpr_spill_count: 0
    .symbol:         _ZN12_GLOBAL__N_127rocblas_gemm_batched_kernelIfLi16ELi16ELi64ELi64ELi4ELi64ELi4ELi4ELi64ELc67ELc84EK16rocblas_bfloat16S2_S1_EEvlllT_PT11_llS5_llS3_PT12_llPT13_lli.kd
    .uniform_work_group_size: 1
    .uses_dynamic_stack: false
    .vgpr_count:     70
    .vgpr_spill_count: 0
    .wavefront_size: 32
  - .args:
      - .offset:         0
        .size:           8
        .value_kind:     by_value
      - .offset:         8
        .size:           8
        .value_kind:     by_value
      - .offset:         16
        .size:           8
        .value_kind:     by_value
      - .offset:         24
        .size:           4
        .value_kind:     by_value
      - .address_space:  global
        .offset:         32
        .size:           8
        .value_kind:     global_buffer
      - .offset:         40
        .size:           8
        .value_kind:     by_value
      - .offset:         48
        .size:           8
        .value_kind:     by_value
      - .address_space:  global
        .offset:         56
        .size:           8
        .value_kind:     global_buffer
      - .offset:         64
        .size:           8
        .value_kind:     by_value
      - .offset:         72
        .size:           8
        .value_kind:     by_value
      - .offset:         80
        .size:           4
        .value_kind:     by_value
      - .address_space:  global
        .offset:         88
        .size:           8
        .value_kind:     global_buffer
      - .offset:         96
        .size:           8
        .value_kind:     by_value
      - .offset:         104
        .size:           8
        .value_kind:     by_value
      - .address_space:  global
        .offset:         112
        .size:           8
        .value_kind:     global_buffer
      - .offset:         120
        .size:           8
        .value_kind:     by_value
      - .offset:         128
        .size:           8
        .value_kind:     by_value
      - .offset:         136
        .size:           4
        .value_kind:     by_value
    .group_segment_fixed_size: 2048
    .kernarg_segment_align: 8
    .kernarg_segment_size: 140
    .language:       OpenCL C
    .language_version:
      - 2
      - 0
    .max_flat_workgroup_size: 256
    .name:           _ZN12_GLOBAL__N_127rocblas_gemm_batched_kernelIfLi16ELi16ELi64ELi64ELi4ELi64ELi4ELi4ELi64ELc78ELc67EK16rocblas_bfloat16S2_S1_EEvlllT_PT11_llS5_llS3_PT12_llPT13_lli
    .private_segment_fixed_size: 0
    .sgpr_count:     40
    .sgpr_spill_count: 0
    .symbol:         _ZN12_GLOBAL__N_127rocblas_gemm_batched_kernelIfLi16ELi16ELi64ELi64ELi4ELi64ELi4ELi4ELi64ELc78ELc67EK16rocblas_bfloat16S2_S1_EEvlllT_PT11_llS5_llS3_PT12_llPT13_lli.kd
    .uniform_work_group_size: 1
    .uses_dynamic_stack: false
    .vgpr_count:     70
    .vgpr_spill_count: 0
    .wavefront_size: 32
  - .args:
      - .offset:         0
        .size:           8
        .value_kind:     by_value
      - .offset:         8
        .size:           8
        .value_kind:     by_value
      - .offset:         16
        .size:           8
        .value_kind:     by_value
      - .offset:         24
        .size:           4
        .value_kind:     by_value
      - .address_space:  global
        .offset:         32
        .size:           8
        .value_kind:     global_buffer
      - .offset:         40
        .size:           8
        .value_kind:     by_value
      - .offset:         48
        .size:           8
        .value_kind:     by_value
      - .address_space:  global
        .offset:         56
        .size:           8
        .value_kind:     global_buffer
      - .offset:         64
        .size:           8
        .value_kind:     by_value
      - .offset:         72
        .size:           8
        .value_kind:     by_value
      - .offset:         80
        .size:           4
        .value_kind:     by_value
      - .address_space:  global
        .offset:         88
        .size:           8
        .value_kind:     global_buffer
      - .offset:         96
        .size:           8
        .value_kind:     by_value
      - .offset:         104
        .size:           8
        .value_kind:     by_value
      - .address_space:  global
        .offset:         112
        .size:           8
        .value_kind:     global_buffer
      - .offset:         120
        .size:           8
        .value_kind:     by_value
      - .offset:         128
        .size:           8
        .value_kind:     by_value
      - .offset:         136
        .size:           4
        .value_kind:     by_value
    .group_segment_fixed_size: 2048
    .kernarg_segment_align: 8
    .kernarg_segment_size: 140
    .language:       OpenCL C
    .language_version:
      - 2
      - 0
    .max_flat_workgroup_size: 256
    .name:           _ZN12_GLOBAL__N_127rocblas_gemm_batched_kernelIfLi16ELi16ELi64ELi64ELi4ELi64ELi4ELi4ELi64ELc84ELc67EK16rocblas_bfloat16S2_S1_EEvlllT_PT11_llS5_llS3_PT12_llPT13_lli
    .private_segment_fixed_size: 0
    .sgpr_count:     40
    .sgpr_spill_count: 0
    .symbol:         _ZN12_GLOBAL__N_127rocblas_gemm_batched_kernelIfLi16ELi16ELi64ELi64ELi4ELi64ELi4ELi4ELi64ELc84ELc67EK16rocblas_bfloat16S2_S1_EEvlllT_PT11_llS5_llS3_PT12_llPT13_lli.kd
    .uniform_work_group_size: 1
    .uses_dynamic_stack: false
    .vgpr_count:     70
    .vgpr_spill_count: 0
    .wavefront_size: 32
  - .args:
      - .offset:         0
        .size:           8
        .value_kind:     by_value
      - .offset:         8
        .size:           8
        .value_kind:     by_value
      - .offset:         16
        .size:           8
        .value_kind:     by_value
      - .offset:         24
        .size:           4
        .value_kind:     by_value
      - .address_space:  global
        .offset:         32
        .size:           8
        .value_kind:     global_buffer
      - .offset:         40
        .size:           8
        .value_kind:     by_value
      - .offset:         48
        .size:           8
        .value_kind:     by_value
      - .address_space:  global
        .offset:         56
        .size:           8
        .value_kind:     global_buffer
      - .offset:         64
        .size:           8
        .value_kind:     by_value
      - .offset:         72
        .size:           8
        .value_kind:     by_value
      - .offset:         80
        .size:           4
        .value_kind:     by_value
      - .address_space:  global
        .offset:         88
        .size:           8
        .value_kind:     global_buffer
      - .offset:         96
        .size:           8
        .value_kind:     by_value
      - .offset:         104
        .size:           8
        .value_kind:     by_value
      - .address_space:  global
        .offset:         112
        .size:           8
        .value_kind:     global_buffer
      - .offset:         120
        .size:           8
        .value_kind:     by_value
      - .offset:         128
        .size:           8
        .value_kind:     by_value
      - .offset:         136
        .size:           4
        .value_kind:     by_value
    .group_segment_fixed_size: 2048
    .kernarg_segment_align: 8
    .kernarg_segment_size: 140
    .language:       OpenCL C
    .language_version:
      - 2
      - 0
    .max_flat_workgroup_size: 256
    .name:           _ZN12_GLOBAL__N_127rocblas_gemm_batched_kernelIfLi16ELi16ELi32ELi32ELi8ELi32ELi8ELi8ELi32ELc78ELc78EK16rocblas_bfloat16S2_S1_EEvlllT_PT11_llS5_llS3_PT12_llPT13_lli
    .private_segment_fixed_size: 0
    .sgpr_count:     38
    .sgpr_spill_count: 0
    .symbol:         _ZN12_GLOBAL__N_127rocblas_gemm_batched_kernelIfLi16ELi16ELi32ELi32ELi8ELi32ELi8ELi8ELi32ELc78ELc78EK16rocblas_bfloat16S2_S1_EEvlllT_PT11_llS5_llS3_PT12_llPT13_lli.kd
    .uniform_work_group_size: 1
    .uses_dynamic_stack: false
    .vgpr_count:     52
    .vgpr_spill_count: 0
    .wavefront_size: 32
  - .args:
      - .offset:         0
        .size:           8
        .value_kind:     by_value
      - .offset:         8
        .size:           8
        .value_kind:     by_value
      - .offset:         16
        .size:           8
        .value_kind:     by_value
      - .offset:         24
        .size:           4
        .value_kind:     by_value
      - .address_space:  global
        .offset:         32
        .size:           8
        .value_kind:     global_buffer
      - .offset:         40
        .size:           8
        .value_kind:     by_value
      - .offset:         48
        .size:           8
        .value_kind:     by_value
      - .address_space:  global
        .offset:         56
        .size:           8
        .value_kind:     global_buffer
      - .offset:         64
        .size:           8
        .value_kind:     by_value
      - .offset:         72
        .size:           8
        .value_kind:     by_value
      - .offset:         80
        .size:           4
        .value_kind:     by_value
      - .address_space:  global
        .offset:         88
        .size:           8
        .value_kind:     global_buffer
      - .offset:         96
        .size:           8
        .value_kind:     by_value
      - .offset:         104
        .size:           8
        .value_kind:     by_value
      - .address_space:  global
        .offset:         112
        .size:           8
        .value_kind:     global_buffer
      - .offset:         120
        .size:           8
        .value_kind:     by_value
      - .offset:         128
        .size:           8
        .value_kind:     by_value
      - .offset:         136
        .size:           4
        .value_kind:     by_value
    .group_segment_fixed_size: 2048
    .kernarg_segment_align: 8
    .kernarg_segment_size: 140
    .language:       OpenCL C
    .language_version:
      - 2
      - 0
    .max_flat_workgroup_size: 256
    .name:           _ZN12_GLOBAL__N_127rocblas_gemm_batched_kernelIfLi16ELi16ELi32ELi32ELi8ELi32ELi8ELi8ELi32ELc84ELc78EK16rocblas_bfloat16S2_S1_EEvlllT_PT11_llS5_llS3_PT12_llPT13_lli
    .private_segment_fixed_size: 0
    .sgpr_count:     40
    .sgpr_spill_count: 0
    .symbol:         _ZN12_GLOBAL__N_127rocblas_gemm_batched_kernelIfLi16ELi16ELi32ELi32ELi8ELi32ELi8ELi8ELi32ELc84ELc78EK16rocblas_bfloat16S2_S1_EEvlllT_PT11_llS5_llS3_PT12_llPT13_lli.kd
    .uniform_work_group_size: 1
    .uses_dynamic_stack: false
    .vgpr_count:     52
    .vgpr_spill_count: 0
    .wavefront_size: 32
  - .args:
      - .offset:         0
        .size:           8
        .value_kind:     by_value
      - .offset:         8
        .size:           8
        .value_kind:     by_value
      - .offset:         16
        .size:           8
        .value_kind:     by_value
      - .offset:         24
        .size:           4
        .value_kind:     by_value
      - .address_space:  global
        .offset:         32
        .size:           8
        .value_kind:     global_buffer
      - .offset:         40
        .size:           8
        .value_kind:     by_value
      - .offset:         48
        .size:           8
        .value_kind:     by_value
      - .address_space:  global
        .offset:         56
        .size:           8
        .value_kind:     global_buffer
      - .offset:         64
        .size:           8
        .value_kind:     by_value
      - .offset:         72
        .size:           8
        .value_kind:     by_value
      - .offset:         80
        .size:           4
        .value_kind:     by_value
      - .address_space:  global
        .offset:         88
        .size:           8
        .value_kind:     global_buffer
      - .offset:         96
        .size:           8
        .value_kind:     by_value
      - .offset:         104
        .size:           8
        .value_kind:     by_value
      - .address_space:  global
        .offset:         112
        .size:           8
        .value_kind:     global_buffer
      - .offset:         120
        .size:           8
        .value_kind:     by_value
      - .offset:         128
        .size:           8
        .value_kind:     by_value
      - .offset:         136
        .size:           4
        .value_kind:     by_value
    .group_segment_fixed_size: 2048
    .kernarg_segment_align: 8
    .kernarg_segment_size: 140
    .language:       OpenCL C
    .language_version:
      - 2
      - 0
    .max_flat_workgroup_size: 256
    .name:           _ZN12_GLOBAL__N_127rocblas_gemm_batched_kernelIfLi16ELi16ELi32ELi32ELi8ELi32ELi8ELi8ELi32ELc78ELc84EK16rocblas_bfloat16S2_S1_EEvlllT_PT11_llS5_llS3_PT12_llPT13_lli
    .private_segment_fixed_size: 0
    .sgpr_count:     40
    .sgpr_spill_count: 0
    .symbol:         _ZN12_GLOBAL__N_127rocblas_gemm_batched_kernelIfLi16ELi16ELi32ELi32ELi8ELi32ELi8ELi8ELi32ELc78ELc84EK16rocblas_bfloat16S2_S1_EEvlllT_PT11_llS5_llS3_PT12_llPT13_lli.kd
    .uniform_work_group_size: 1
    .uses_dynamic_stack: false
    .vgpr_count:     52
    .vgpr_spill_count: 0
    .wavefront_size: 32
  - .args:
      - .offset:         0
        .size:           8
        .value_kind:     by_value
      - .offset:         8
        .size:           8
        .value_kind:     by_value
      - .offset:         16
        .size:           8
        .value_kind:     by_value
      - .offset:         24
        .size:           4
        .value_kind:     by_value
      - .address_space:  global
        .offset:         32
        .size:           8
        .value_kind:     global_buffer
      - .offset:         40
        .size:           8
        .value_kind:     by_value
      - .offset:         48
        .size:           8
        .value_kind:     by_value
      - .address_space:  global
        .offset:         56
        .size:           8
        .value_kind:     global_buffer
      - .offset:         64
        .size:           8
        .value_kind:     by_value
      - .offset:         72
        .size:           8
        .value_kind:     by_value
      - .offset:         80
        .size:           4
        .value_kind:     by_value
      - .address_space:  global
        .offset:         88
        .size:           8
        .value_kind:     global_buffer
      - .offset:         96
        .size:           8
        .value_kind:     by_value
      - .offset:         104
        .size:           8
        .value_kind:     by_value
      - .address_space:  global
        .offset:         112
        .size:           8
        .value_kind:     global_buffer
      - .offset:         120
        .size:           8
        .value_kind:     by_value
      - .offset:         128
        .size:           8
        .value_kind:     by_value
      - .offset:         136
        .size:           4
        .value_kind:     by_value
    .group_segment_fixed_size: 2048
    .kernarg_segment_align: 8
    .kernarg_segment_size: 140
    .language:       OpenCL C
    .language_version:
      - 2
      - 0
    .max_flat_workgroup_size: 256
    .name:           _ZN12_GLOBAL__N_127rocblas_gemm_batched_kernelIfLi16ELi16ELi32ELi32ELi8ELi32ELi8ELi8ELi32ELc84ELc84EK16rocblas_bfloat16S2_S1_EEvlllT_PT11_llS5_llS3_PT12_llPT13_lli
    .private_segment_fixed_size: 0
    .sgpr_count:     40
    .sgpr_spill_count: 0
    .symbol:         _ZN12_GLOBAL__N_127rocblas_gemm_batched_kernelIfLi16ELi16ELi32ELi32ELi8ELi32ELi8ELi8ELi32ELc84ELc84EK16rocblas_bfloat16S2_S1_EEvlllT_PT11_llS5_llS3_PT12_llPT13_lli.kd
    .uniform_work_group_size: 1
    .uses_dynamic_stack: false
    .vgpr_count:     52
    .vgpr_spill_count: 0
    .wavefront_size: 32
  - .args:
      - .offset:         0
        .size:           8
        .value_kind:     by_value
      - .offset:         8
        .size:           8
        .value_kind:     by_value
      - .offset:         16
        .size:           8
        .value_kind:     by_value
      - .offset:         24
        .size:           4
        .value_kind:     by_value
      - .address_space:  global
        .offset:         32
        .size:           8
        .value_kind:     global_buffer
      - .offset:         40
        .size:           8
        .value_kind:     by_value
      - .offset:         48
        .size:           8
        .value_kind:     by_value
      - .address_space:  global
        .offset:         56
        .size:           8
        .value_kind:     global_buffer
      - .offset:         64
        .size:           8
        .value_kind:     by_value
      - .offset:         72
        .size:           8
        .value_kind:     by_value
      - .offset:         80
        .size:           4
        .value_kind:     by_value
      - .address_space:  global
        .offset:         88
        .size:           8
        .value_kind:     global_buffer
      - .offset:         96
        .size:           8
        .value_kind:     by_value
      - .offset:         104
        .size:           8
        .value_kind:     by_value
      - .address_space:  global
        .offset:         112
        .size:           8
        .value_kind:     global_buffer
      - .offset:         120
        .size:           8
        .value_kind:     by_value
      - .offset:         128
        .size:           8
        .value_kind:     by_value
      - .offset:         136
        .size:           4
        .value_kind:     by_value
    .group_segment_fixed_size: 2048
    .kernarg_segment_align: 8
    .kernarg_segment_size: 140
    .language:       OpenCL C
    .language_version:
      - 2
      - 0
    .max_flat_workgroup_size: 256
    .name:           _ZN12_GLOBAL__N_127rocblas_gemm_batched_kernelIfLi16ELi16ELi32ELi32ELi8ELi32ELi8ELi8ELi32ELc67ELc67EK16rocblas_bfloat16S2_S1_EEvlllT_PT11_llS5_llS3_PT12_llPT13_lli
    .private_segment_fixed_size: 0
    .sgpr_count:     40
    .sgpr_spill_count: 0
    .symbol:         _ZN12_GLOBAL__N_127rocblas_gemm_batched_kernelIfLi16ELi16ELi32ELi32ELi8ELi32ELi8ELi8ELi32ELc67ELc67EK16rocblas_bfloat16S2_S1_EEvlllT_PT11_llS5_llS3_PT12_llPT13_lli.kd
    .uniform_work_group_size: 1
    .uses_dynamic_stack: false
    .vgpr_count:     52
    .vgpr_spill_count: 0
    .wavefront_size: 32
  - .args:
      - .offset:         0
        .size:           8
        .value_kind:     by_value
      - .offset:         8
        .size:           8
        .value_kind:     by_value
      - .offset:         16
        .size:           8
        .value_kind:     by_value
      - .offset:         24
        .size:           4
        .value_kind:     by_value
      - .address_space:  global
        .offset:         32
        .size:           8
        .value_kind:     global_buffer
      - .offset:         40
        .size:           8
        .value_kind:     by_value
      - .offset:         48
        .size:           8
        .value_kind:     by_value
      - .address_space:  global
        .offset:         56
        .size:           8
        .value_kind:     global_buffer
      - .offset:         64
        .size:           8
        .value_kind:     by_value
      - .offset:         72
        .size:           8
        .value_kind:     by_value
      - .offset:         80
        .size:           4
        .value_kind:     by_value
      - .address_space:  global
        .offset:         88
        .size:           8
        .value_kind:     global_buffer
      - .offset:         96
        .size:           8
        .value_kind:     by_value
      - .offset:         104
        .size:           8
        .value_kind:     by_value
      - .address_space:  global
        .offset:         112
        .size:           8
        .value_kind:     global_buffer
      - .offset:         120
        .size:           8
        .value_kind:     by_value
      - .offset:         128
        .size:           8
        .value_kind:     by_value
      - .offset:         136
        .size:           4
        .value_kind:     by_value
    .group_segment_fixed_size: 2048
    .kernarg_segment_align: 8
    .kernarg_segment_size: 140
    .language:       OpenCL C
    .language_version:
      - 2
      - 0
    .max_flat_workgroup_size: 256
    .name:           _ZN12_GLOBAL__N_127rocblas_gemm_batched_kernelIfLi16ELi16ELi32ELi32ELi8ELi32ELi8ELi8ELi32ELc67ELc78EK16rocblas_bfloat16S2_S1_EEvlllT_PT11_llS5_llS3_PT12_llPT13_lli
    .private_segment_fixed_size: 0
    .sgpr_count:     40
    .sgpr_spill_count: 0
    .symbol:         _ZN12_GLOBAL__N_127rocblas_gemm_batched_kernelIfLi16ELi16ELi32ELi32ELi8ELi32ELi8ELi8ELi32ELc67ELc78EK16rocblas_bfloat16S2_S1_EEvlllT_PT11_llS5_llS3_PT12_llPT13_lli.kd
    .uniform_work_group_size: 1
    .uses_dynamic_stack: false
    .vgpr_count:     52
    .vgpr_spill_count: 0
    .wavefront_size: 32
  - .args:
      - .offset:         0
        .size:           8
        .value_kind:     by_value
      - .offset:         8
        .size:           8
        .value_kind:     by_value
      - .offset:         16
        .size:           8
        .value_kind:     by_value
      - .offset:         24
        .size:           4
        .value_kind:     by_value
      - .address_space:  global
        .offset:         32
        .size:           8
        .value_kind:     global_buffer
      - .offset:         40
        .size:           8
        .value_kind:     by_value
      - .offset:         48
        .size:           8
        .value_kind:     by_value
      - .address_space:  global
        .offset:         56
        .size:           8
        .value_kind:     global_buffer
      - .offset:         64
        .size:           8
        .value_kind:     by_value
      - .offset:         72
        .size:           8
        .value_kind:     by_value
      - .offset:         80
        .size:           4
        .value_kind:     by_value
      - .address_space:  global
        .offset:         88
        .size:           8
        .value_kind:     global_buffer
      - .offset:         96
        .size:           8
        .value_kind:     by_value
      - .offset:         104
        .size:           8
        .value_kind:     by_value
      - .address_space:  global
        .offset:         112
        .size:           8
        .value_kind:     global_buffer
      - .offset:         120
        .size:           8
        .value_kind:     by_value
      - .offset:         128
        .size:           8
        .value_kind:     by_value
      - .offset:         136
        .size:           4
        .value_kind:     by_value
    .group_segment_fixed_size: 2048
    .kernarg_segment_align: 8
    .kernarg_segment_size: 140
    .language:       OpenCL C
    .language_version:
      - 2
      - 0
    .max_flat_workgroup_size: 256
    .name:           _ZN12_GLOBAL__N_127rocblas_gemm_batched_kernelIfLi16ELi16ELi32ELi32ELi8ELi32ELi8ELi8ELi32ELc67ELc84EK16rocblas_bfloat16S2_S1_EEvlllT_PT11_llS5_llS3_PT12_llPT13_lli
    .private_segment_fixed_size: 0
    .sgpr_count:     40
    .sgpr_spill_count: 0
    .symbol:         _ZN12_GLOBAL__N_127rocblas_gemm_batched_kernelIfLi16ELi16ELi32ELi32ELi8ELi32ELi8ELi8ELi32ELc67ELc84EK16rocblas_bfloat16S2_S1_EEvlllT_PT11_llS5_llS3_PT12_llPT13_lli.kd
    .uniform_work_group_size: 1
    .uses_dynamic_stack: false
    .vgpr_count:     52
    .vgpr_spill_count: 0
    .wavefront_size: 32
  - .args:
      - .offset:         0
        .size:           8
        .value_kind:     by_value
      - .offset:         8
        .size:           8
        .value_kind:     by_value
      - .offset:         16
        .size:           8
        .value_kind:     by_value
      - .offset:         24
        .size:           4
        .value_kind:     by_value
      - .address_space:  global
        .offset:         32
        .size:           8
        .value_kind:     global_buffer
      - .offset:         40
        .size:           8
        .value_kind:     by_value
      - .offset:         48
        .size:           8
        .value_kind:     by_value
      - .address_space:  global
        .offset:         56
        .size:           8
        .value_kind:     global_buffer
      - .offset:         64
        .size:           8
        .value_kind:     by_value
      - .offset:         72
        .size:           8
        .value_kind:     by_value
      - .offset:         80
        .size:           4
        .value_kind:     by_value
      - .address_space:  global
        .offset:         88
        .size:           8
        .value_kind:     global_buffer
      - .offset:         96
        .size:           8
        .value_kind:     by_value
      - .offset:         104
        .size:           8
        .value_kind:     by_value
      - .address_space:  global
        .offset:         112
        .size:           8
        .value_kind:     global_buffer
      - .offset:         120
        .size:           8
        .value_kind:     by_value
      - .offset:         128
        .size:           8
        .value_kind:     by_value
      - .offset:         136
        .size:           4
        .value_kind:     by_value
    .group_segment_fixed_size: 2048
    .kernarg_segment_align: 8
    .kernarg_segment_size: 140
    .language:       OpenCL C
    .language_version:
      - 2
      - 0
    .max_flat_workgroup_size: 256
    .name:           _ZN12_GLOBAL__N_127rocblas_gemm_batched_kernelIfLi16ELi16ELi32ELi32ELi8ELi32ELi8ELi8ELi32ELc78ELc67EK16rocblas_bfloat16S2_S1_EEvlllT_PT11_llS5_llS3_PT12_llPT13_lli
    .private_segment_fixed_size: 0
    .sgpr_count:     40
    .sgpr_spill_count: 0
    .symbol:         _ZN12_GLOBAL__N_127rocblas_gemm_batched_kernelIfLi16ELi16ELi32ELi32ELi8ELi32ELi8ELi8ELi32ELc78ELc67EK16rocblas_bfloat16S2_S1_EEvlllT_PT11_llS5_llS3_PT12_llPT13_lli.kd
    .uniform_work_group_size: 1
    .uses_dynamic_stack: false
    .vgpr_count:     52
    .vgpr_spill_count: 0
    .wavefront_size: 32
  - .args:
      - .offset:         0
        .size:           8
        .value_kind:     by_value
      - .offset:         8
        .size:           8
        .value_kind:     by_value
      - .offset:         16
        .size:           8
        .value_kind:     by_value
      - .offset:         24
        .size:           4
        .value_kind:     by_value
      - .address_space:  global
        .offset:         32
        .size:           8
        .value_kind:     global_buffer
      - .offset:         40
        .size:           8
        .value_kind:     by_value
      - .offset:         48
        .size:           8
        .value_kind:     by_value
      - .address_space:  global
        .offset:         56
        .size:           8
        .value_kind:     global_buffer
      - .offset:         64
        .size:           8
        .value_kind:     by_value
      - .offset:         72
        .size:           8
        .value_kind:     by_value
      - .offset:         80
        .size:           4
        .value_kind:     by_value
      - .address_space:  global
        .offset:         88
        .size:           8
        .value_kind:     global_buffer
      - .offset:         96
        .size:           8
        .value_kind:     by_value
      - .offset:         104
        .size:           8
        .value_kind:     by_value
      - .address_space:  global
        .offset:         112
        .size:           8
        .value_kind:     global_buffer
      - .offset:         120
        .size:           8
        .value_kind:     by_value
      - .offset:         128
        .size:           8
        .value_kind:     by_value
      - .offset:         136
        .size:           4
        .value_kind:     by_value
    .group_segment_fixed_size: 2048
    .kernarg_segment_align: 8
    .kernarg_segment_size: 140
    .language:       OpenCL C
    .language_version:
      - 2
      - 0
    .max_flat_workgroup_size: 256
    .name:           _ZN12_GLOBAL__N_127rocblas_gemm_batched_kernelIfLi16ELi16ELi32ELi32ELi8ELi32ELi8ELi8ELi32ELc84ELc67EK16rocblas_bfloat16S2_S1_EEvlllT_PT11_llS5_llS3_PT12_llPT13_lli
    .private_segment_fixed_size: 0
    .sgpr_count:     40
    .sgpr_spill_count: 0
    .symbol:         _ZN12_GLOBAL__N_127rocblas_gemm_batched_kernelIfLi16ELi16ELi32ELi32ELi8ELi32ELi8ELi8ELi32ELc84ELc67EK16rocblas_bfloat16S2_S1_EEvlllT_PT11_llS5_llS3_PT12_llPT13_lli.kd
    .uniform_work_group_size: 1
    .uses_dynamic_stack: false
    .vgpr_count:     52
    .vgpr_spill_count: 0
    .wavefront_size: 32
  - .args:
      - .offset:         0
        .size:           8
        .value_kind:     by_value
      - .offset:         8
        .size:           8
        .value_kind:     by_value
      - .offset:         16
        .size:           8
        .value_kind:     by_value
      - .offset:         24
        .size:           4
        .value_kind:     by_value
      - .address_space:  global
        .offset:         32
        .size:           8
        .value_kind:     global_buffer
      - .offset:         40
        .size:           8
        .value_kind:     by_value
      - .offset:         48
        .size:           8
        .value_kind:     by_value
      - .address_space:  global
        .offset:         56
        .size:           8
        .value_kind:     global_buffer
      - .offset:         64
        .size:           8
        .value_kind:     by_value
      - .offset:         72
        .size:           8
        .value_kind:     by_value
      - .offset:         80
        .size:           4
        .value_kind:     by_value
      - .address_space:  global
        .offset:         88
        .size:           8
        .value_kind:     global_buffer
      - .offset:         96
        .size:           8
        .value_kind:     by_value
      - .offset:         104
        .size:           8
        .value_kind:     by_value
      - .address_space:  global
        .offset:         112
        .size:           8
        .value_kind:     global_buffer
      - .offset:         120
        .size:           8
        .value_kind:     by_value
      - .offset:         128
        .size:           8
        .value_kind:     by_value
      - .offset:         136
        .size:           4
        .value_kind:     by_value
    .group_segment_fixed_size: 2048
    .kernarg_segment_align: 8
    .kernarg_segment_size: 140
    .language:       OpenCL C
    .language_version:
      - 2
      - 0
    .max_flat_workgroup_size: 256
    .name:           _ZN12_GLOBAL__N_135rocblas_gemm_batched_general_kernelIfLi16ELi16ELi32ELi32ELi8ELi32ELi8ELi8ELi32ELc78ELc78EK16rocblas_bfloat16S2_S1_EEvlllT_PT11_llS5_llS3_PT12_llPT13_lli
    .private_segment_fixed_size: 0
    .sgpr_count:     43
    .sgpr_spill_count: 0
    .symbol:         _ZN12_GLOBAL__N_135rocblas_gemm_batched_general_kernelIfLi16ELi16ELi32ELi32ELi8ELi32ELi8ELi8ELi32ELc78ELc78EK16rocblas_bfloat16S2_S1_EEvlllT_PT11_llS5_llS3_PT12_llPT13_lli.kd
    .uniform_work_group_size: 1
    .uses_dynamic_stack: false
    .vgpr_count:     52
    .vgpr_spill_count: 0
    .wavefront_size: 32
  - .args:
      - .offset:         0
        .size:           8
        .value_kind:     by_value
      - .offset:         8
        .size:           8
        .value_kind:     by_value
      - .offset:         16
        .size:           8
        .value_kind:     by_value
      - .offset:         24
        .size:           4
        .value_kind:     by_value
      - .address_space:  global
        .offset:         32
        .size:           8
        .value_kind:     global_buffer
      - .offset:         40
        .size:           8
        .value_kind:     by_value
      - .offset:         48
        .size:           8
        .value_kind:     by_value
      - .address_space:  global
        .offset:         56
        .size:           8
        .value_kind:     global_buffer
      - .offset:         64
        .size:           8
        .value_kind:     by_value
      - .offset:         72
        .size:           8
        .value_kind:     by_value
      - .offset:         80
        .size:           4
        .value_kind:     by_value
      - .address_space:  global
        .offset:         88
        .size:           8
        .value_kind:     global_buffer
      - .offset:         96
        .size:           8
        .value_kind:     by_value
      - .offset:         104
        .size:           8
        .value_kind:     by_value
      - .address_space:  global
        .offset:         112
        .size:           8
        .value_kind:     global_buffer
      - .offset:         120
        .size:           8
        .value_kind:     by_value
      - .offset:         128
        .size:           8
        .value_kind:     by_value
      - .offset:         136
        .size:           4
        .value_kind:     by_value
    .group_segment_fixed_size: 2048
    .kernarg_segment_align: 8
    .kernarg_segment_size: 140
    .language:       OpenCL C
    .language_version:
      - 2
      - 0
    .max_flat_workgroup_size: 256
    .name:           _ZN12_GLOBAL__N_135rocblas_gemm_batched_general_kernelIfLi16ELi16ELi32ELi32ELi8ELi32ELi8ELi8ELi32ELc84ELc78EK16rocblas_bfloat16S2_S1_EEvlllT_PT11_llS5_llS3_PT12_llPT13_lli
    .private_segment_fixed_size: 0
    .sgpr_count:     43
    .sgpr_spill_count: 0
    .symbol:         _ZN12_GLOBAL__N_135rocblas_gemm_batched_general_kernelIfLi16ELi16ELi32ELi32ELi8ELi32ELi8ELi8ELi32ELc84ELc78EK16rocblas_bfloat16S2_S1_EEvlllT_PT11_llS5_llS3_PT12_llPT13_lli.kd
    .uniform_work_group_size: 1
    .uses_dynamic_stack: false
    .vgpr_count:     52
    .vgpr_spill_count: 0
    .wavefront_size: 32
  - .args:
      - .offset:         0
        .size:           8
        .value_kind:     by_value
      - .offset:         8
        .size:           8
        .value_kind:     by_value
      - .offset:         16
        .size:           8
        .value_kind:     by_value
      - .offset:         24
        .size:           4
        .value_kind:     by_value
      - .address_space:  global
        .offset:         32
        .size:           8
        .value_kind:     global_buffer
      - .offset:         40
        .size:           8
        .value_kind:     by_value
      - .offset:         48
        .size:           8
        .value_kind:     by_value
      - .address_space:  global
        .offset:         56
        .size:           8
        .value_kind:     global_buffer
      - .offset:         64
        .size:           8
        .value_kind:     by_value
      - .offset:         72
        .size:           8
        .value_kind:     by_value
      - .offset:         80
        .size:           4
        .value_kind:     by_value
      - .address_space:  global
        .offset:         88
        .size:           8
        .value_kind:     global_buffer
      - .offset:         96
        .size:           8
        .value_kind:     by_value
      - .offset:         104
        .size:           8
        .value_kind:     by_value
      - .address_space:  global
        .offset:         112
        .size:           8
        .value_kind:     global_buffer
      - .offset:         120
        .size:           8
        .value_kind:     by_value
      - .offset:         128
        .size:           8
        .value_kind:     by_value
      - .offset:         136
        .size:           4
        .value_kind:     by_value
    .group_segment_fixed_size: 2048
    .kernarg_segment_align: 8
    .kernarg_segment_size: 140
    .language:       OpenCL C
    .language_version:
      - 2
      - 0
    .max_flat_workgroup_size: 256
    .name:           _ZN12_GLOBAL__N_135rocblas_gemm_batched_general_kernelIfLi16ELi16ELi32ELi32ELi8ELi32ELi8ELi8ELi32ELc78ELc84EK16rocblas_bfloat16S2_S1_EEvlllT_PT11_llS5_llS3_PT12_llPT13_lli
    .private_segment_fixed_size: 0
    .sgpr_count:     47
    .sgpr_spill_count: 0
    .symbol:         _ZN12_GLOBAL__N_135rocblas_gemm_batched_general_kernelIfLi16ELi16ELi32ELi32ELi8ELi32ELi8ELi8ELi32ELc78ELc84EK16rocblas_bfloat16S2_S1_EEvlllT_PT11_llS5_llS3_PT12_llPT13_lli.kd
    .uniform_work_group_size: 1
    .uses_dynamic_stack: false
    .vgpr_count:     52
    .vgpr_spill_count: 0
    .wavefront_size: 32
  - .args:
      - .offset:         0
        .size:           8
        .value_kind:     by_value
      - .offset:         8
        .size:           8
        .value_kind:     by_value
      - .offset:         16
        .size:           8
        .value_kind:     by_value
      - .offset:         24
        .size:           4
        .value_kind:     by_value
      - .address_space:  global
        .offset:         32
        .size:           8
        .value_kind:     global_buffer
      - .offset:         40
        .size:           8
        .value_kind:     by_value
      - .offset:         48
        .size:           8
        .value_kind:     by_value
      - .address_space:  global
        .offset:         56
        .size:           8
        .value_kind:     global_buffer
      - .offset:         64
        .size:           8
        .value_kind:     by_value
      - .offset:         72
        .size:           8
        .value_kind:     by_value
      - .offset:         80
        .size:           4
        .value_kind:     by_value
      - .address_space:  global
        .offset:         88
        .size:           8
        .value_kind:     global_buffer
      - .offset:         96
        .size:           8
        .value_kind:     by_value
      - .offset:         104
        .size:           8
        .value_kind:     by_value
      - .address_space:  global
        .offset:         112
        .size:           8
        .value_kind:     global_buffer
      - .offset:         120
        .size:           8
        .value_kind:     by_value
      - .offset:         128
        .size:           8
        .value_kind:     by_value
      - .offset:         136
        .size:           4
        .value_kind:     by_value
    .group_segment_fixed_size: 2048
    .kernarg_segment_align: 8
    .kernarg_segment_size: 140
    .language:       OpenCL C
    .language_version:
      - 2
      - 0
    .max_flat_workgroup_size: 256
    .name:           _ZN12_GLOBAL__N_135rocblas_gemm_batched_general_kernelIfLi16ELi16ELi32ELi32ELi8ELi32ELi8ELi8ELi32ELc84ELc84EK16rocblas_bfloat16S2_S1_EEvlllT_PT11_llS5_llS3_PT12_llPT13_lli
    .private_segment_fixed_size: 0
    .sgpr_count:     45
    .sgpr_spill_count: 0
    .symbol:         _ZN12_GLOBAL__N_135rocblas_gemm_batched_general_kernelIfLi16ELi16ELi32ELi32ELi8ELi32ELi8ELi8ELi32ELc84ELc84EK16rocblas_bfloat16S2_S1_EEvlllT_PT11_llS5_llS3_PT12_llPT13_lli.kd
    .uniform_work_group_size: 1
    .uses_dynamic_stack: false
    .vgpr_count:     52
    .vgpr_spill_count: 0
    .wavefront_size: 32
  - .args:
      - .offset:         0
        .size:           8
        .value_kind:     by_value
      - .offset:         8
        .size:           8
        .value_kind:     by_value
      - .offset:         16
        .size:           8
        .value_kind:     by_value
      - .offset:         24
        .size:           4
        .value_kind:     by_value
      - .address_space:  global
        .offset:         32
        .size:           8
        .value_kind:     global_buffer
      - .offset:         40
        .size:           8
        .value_kind:     by_value
      - .offset:         48
        .size:           8
        .value_kind:     by_value
      - .address_space:  global
        .offset:         56
        .size:           8
        .value_kind:     global_buffer
      - .offset:         64
        .size:           8
        .value_kind:     by_value
      - .offset:         72
        .size:           8
        .value_kind:     by_value
      - .offset:         80
        .size:           4
        .value_kind:     by_value
      - .address_space:  global
        .offset:         88
        .size:           8
        .value_kind:     global_buffer
      - .offset:         96
        .size:           8
        .value_kind:     by_value
      - .offset:         104
        .size:           8
        .value_kind:     by_value
      - .address_space:  global
        .offset:         112
        .size:           8
        .value_kind:     global_buffer
      - .offset:         120
        .size:           8
        .value_kind:     by_value
      - .offset:         128
        .size:           8
        .value_kind:     by_value
      - .offset:         136
        .size:           4
        .value_kind:     by_value
    .group_segment_fixed_size: 2048
    .kernarg_segment_align: 8
    .kernarg_segment_size: 140
    .language:       OpenCL C
    .language_version:
      - 2
      - 0
    .max_flat_workgroup_size: 256
    .name:           _ZN12_GLOBAL__N_135rocblas_gemm_batched_general_kernelIfLi16ELi16ELi32ELi32ELi8ELi32ELi8ELi8ELi32ELc67ELc67EK16rocblas_bfloat16S2_S1_EEvlllT_PT11_llS5_llS3_PT12_llPT13_lli
    .private_segment_fixed_size: 0
    .sgpr_count:     45
    .sgpr_spill_count: 0
    .symbol:         _ZN12_GLOBAL__N_135rocblas_gemm_batched_general_kernelIfLi16ELi16ELi32ELi32ELi8ELi32ELi8ELi8ELi32ELc67ELc67EK16rocblas_bfloat16S2_S1_EEvlllT_PT11_llS5_llS3_PT12_llPT13_lli.kd
    .uniform_work_group_size: 1
    .uses_dynamic_stack: false
    .vgpr_count:     52
    .vgpr_spill_count: 0
    .wavefront_size: 32
  - .args:
      - .offset:         0
        .size:           8
        .value_kind:     by_value
      - .offset:         8
        .size:           8
        .value_kind:     by_value
      - .offset:         16
        .size:           8
        .value_kind:     by_value
      - .offset:         24
        .size:           4
        .value_kind:     by_value
      - .address_space:  global
        .offset:         32
        .size:           8
        .value_kind:     global_buffer
      - .offset:         40
        .size:           8
        .value_kind:     by_value
      - .offset:         48
        .size:           8
        .value_kind:     by_value
      - .address_space:  global
        .offset:         56
        .size:           8
        .value_kind:     global_buffer
      - .offset:         64
        .size:           8
        .value_kind:     by_value
      - .offset:         72
        .size:           8
        .value_kind:     by_value
      - .offset:         80
        .size:           4
        .value_kind:     by_value
      - .address_space:  global
        .offset:         88
        .size:           8
        .value_kind:     global_buffer
      - .offset:         96
        .size:           8
        .value_kind:     by_value
      - .offset:         104
        .size:           8
        .value_kind:     by_value
      - .address_space:  global
        .offset:         112
        .size:           8
        .value_kind:     global_buffer
      - .offset:         120
        .size:           8
        .value_kind:     by_value
      - .offset:         128
        .size:           8
        .value_kind:     by_value
      - .offset:         136
        .size:           4
        .value_kind:     by_value
    .group_segment_fixed_size: 2048
    .kernarg_segment_align: 8
    .kernarg_segment_size: 140
    .language:       OpenCL C
    .language_version:
      - 2
      - 0
    .max_flat_workgroup_size: 256
    .name:           _ZN12_GLOBAL__N_135rocblas_gemm_batched_general_kernelIfLi16ELi16ELi32ELi32ELi8ELi32ELi8ELi8ELi32ELc67ELc78EK16rocblas_bfloat16S2_S1_EEvlllT_PT11_llS5_llS3_PT12_llPT13_lli
    .private_segment_fixed_size: 0
    .sgpr_count:     43
    .sgpr_spill_count: 0
    .symbol:         _ZN12_GLOBAL__N_135rocblas_gemm_batched_general_kernelIfLi16ELi16ELi32ELi32ELi8ELi32ELi8ELi8ELi32ELc67ELc78EK16rocblas_bfloat16S2_S1_EEvlllT_PT11_llS5_llS3_PT12_llPT13_lli.kd
    .uniform_work_group_size: 1
    .uses_dynamic_stack: false
    .vgpr_count:     52
    .vgpr_spill_count: 0
    .wavefront_size: 32
  - .args:
      - .offset:         0
        .size:           8
        .value_kind:     by_value
      - .offset:         8
        .size:           8
        .value_kind:     by_value
      - .offset:         16
        .size:           8
        .value_kind:     by_value
      - .offset:         24
        .size:           4
        .value_kind:     by_value
      - .address_space:  global
        .offset:         32
        .size:           8
        .value_kind:     global_buffer
      - .offset:         40
        .size:           8
        .value_kind:     by_value
      - .offset:         48
        .size:           8
        .value_kind:     by_value
      - .address_space:  global
        .offset:         56
        .size:           8
        .value_kind:     global_buffer
      - .offset:         64
        .size:           8
        .value_kind:     by_value
      - .offset:         72
        .size:           8
        .value_kind:     by_value
      - .offset:         80
        .size:           4
        .value_kind:     by_value
      - .address_space:  global
        .offset:         88
        .size:           8
        .value_kind:     global_buffer
      - .offset:         96
        .size:           8
        .value_kind:     by_value
      - .offset:         104
        .size:           8
        .value_kind:     by_value
      - .address_space:  global
        .offset:         112
        .size:           8
        .value_kind:     global_buffer
      - .offset:         120
        .size:           8
        .value_kind:     by_value
      - .offset:         128
        .size:           8
        .value_kind:     by_value
      - .offset:         136
        .size:           4
        .value_kind:     by_value
    .group_segment_fixed_size: 2048
    .kernarg_segment_align: 8
    .kernarg_segment_size: 140
    .language:       OpenCL C
    .language_version:
      - 2
      - 0
    .max_flat_workgroup_size: 256
    .name:           _ZN12_GLOBAL__N_135rocblas_gemm_batched_general_kernelIfLi16ELi16ELi32ELi32ELi8ELi32ELi8ELi8ELi32ELc67ELc84EK16rocblas_bfloat16S2_S1_EEvlllT_PT11_llS5_llS3_PT12_llPT13_lli
    .private_segment_fixed_size: 0
    .sgpr_count:     45
    .sgpr_spill_count: 0
    .symbol:         _ZN12_GLOBAL__N_135rocblas_gemm_batched_general_kernelIfLi16ELi16ELi32ELi32ELi8ELi32ELi8ELi8ELi32ELc67ELc84EK16rocblas_bfloat16S2_S1_EEvlllT_PT11_llS5_llS3_PT12_llPT13_lli.kd
    .uniform_work_group_size: 1
    .uses_dynamic_stack: false
    .vgpr_count:     52
    .vgpr_spill_count: 0
    .wavefront_size: 32
  - .args:
      - .offset:         0
        .size:           8
        .value_kind:     by_value
      - .offset:         8
        .size:           8
        .value_kind:     by_value
      - .offset:         16
        .size:           8
        .value_kind:     by_value
      - .offset:         24
        .size:           4
        .value_kind:     by_value
      - .address_space:  global
        .offset:         32
        .size:           8
        .value_kind:     global_buffer
      - .offset:         40
        .size:           8
        .value_kind:     by_value
      - .offset:         48
        .size:           8
        .value_kind:     by_value
      - .address_space:  global
        .offset:         56
        .size:           8
        .value_kind:     global_buffer
      - .offset:         64
        .size:           8
        .value_kind:     by_value
      - .offset:         72
        .size:           8
        .value_kind:     by_value
      - .offset:         80
        .size:           4
        .value_kind:     by_value
      - .address_space:  global
        .offset:         88
        .size:           8
        .value_kind:     global_buffer
      - .offset:         96
        .size:           8
        .value_kind:     by_value
      - .offset:         104
        .size:           8
        .value_kind:     by_value
      - .address_space:  global
        .offset:         112
        .size:           8
        .value_kind:     global_buffer
      - .offset:         120
        .size:           8
        .value_kind:     by_value
      - .offset:         128
        .size:           8
        .value_kind:     by_value
      - .offset:         136
        .size:           4
        .value_kind:     by_value
    .group_segment_fixed_size: 2048
    .kernarg_segment_align: 8
    .kernarg_segment_size: 140
    .language:       OpenCL C
    .language_version:
      - 2
      - 0
    .max_flat_workgroup_size: 256
    .name:           _ZN12_GLOBAL__N_135rocblas_gemm_batched_general_kernelIfLi16ELi16ELi32ELi32ELi8ELi32ELi8ELi8ELi32ELc78ELc67EK16rocblas_bfloat16S2_S1_EEvlllT_PT11_llS5_llS3_PT12_llPT13_lli
    .private_segment_fixed_size: 0
    .sgpr_count:     47
    .sgpr_spill_count: 0
    .symbol:         _ZN12_GLOBAL__N_135rocblas_gemm_batched_general_kernelIfLi16ELi16ELi32ELi32ELi8ELi32ELi8ELi8ELi32ELc78ELc67EK16rocblas_bfloat16S2_S1_EEvlllT_PT11_llS5_llS3_PT12_llPT13_lli.kd
    .uniform_work_group_size: 1
    .uses_dynamic_stack: false
    .vgpr_count:     52
    .vgpr_spill_count: 0
    .wavefront_size: 32
  - .args:
      - .offset:         0
        .size:           8
        .value_kind:     by_value
      - .offset:         8
        .size:           8
        .value_kind:     by_value
      - .offset:         16
        .size:           8
        .value_kind:     by_value
      - .offset:         24
        .size:           4
        .value_kind:     by_value
      - .address_space:  global
        .offset:         32
        .size:           8
        .value_kind:     global_buffer
      - .offset:         40
        .size:           8
        .value_kind:     by_value
      - .offset:         48
        .size:           8
        .value_kind:     by_value
      - .address_space:  global
        .offset:         56
        .size:           8
        .value_kind:     global_buffer
      - .offset:         64
        .size:           8
        .value_kind:     by_value
      - .offset:         72
        .size:           8
        .value_kind:     by_value
      - .offset:         80
        .size:           4
        .value_kind:     by_value
      - .address_space:  global
        .offset:         88
        .size:           8
        .value_kind:     global_buffer
      - .offset:         96
        .size:           8
        .value_kind:     by_value
      - .offset:         104
        .size:           8
        .value_kind:     by_value
      - .address_space:  global
        .offset:         112
        .size:           8
        .value_kind:     global_buffer
      - .offset:         120
        .size:           8
        .value_kind:     by_value
      - .offset:         128
        .size:           8
        .value_kind:     by_value
      - .offset:         136
        .size:           4
        .value_kind:     by_value
    .group_segment_fixed_size: 2048
    .kernarg_segment_align: 8
    .kernarg_segment_size: 140
    .language:       OpenCL C
    .language_version:
      - 2
      - 0
    .max_flat_workgroup_size: 256
    .name:           _ZN12_GLOBAL__N_135rocblas_gemm_batched_general_kernelIfLi16ELi16ELi32ELi32ELi8ELi32ELi8ELi8ELi32ELc84ELc67EK16rocblas_bfloat16S2_S1_EEvlllT_PT11_llS5_llS3_PT12_llPT13_lli
    .private_segment_fixed_size: 0
    .sgpr_count:     45
    .sgpr_spill_count: 0
    .symbol:         _ZN12_GLOBAL__N_135rocblas_gemm_batched_general_kernelIfLi16ELi16ELi32ELi32ELi8ELi32ELi8ELi8ELi32ELc84ELc67EK16rocblas_bfloat16S2_S1_EEvlllT_PT11_llS5_llS3_PT12_llPT13_lli.kd
    .uniform_work_group_size: 1
    .uses_dynamic_stack: false
    .vgpr_count:     52
    .vgpr_spill_count: 0
    .wavefront_size: 32
  - .args:
      - .offset:         0
        .size:           8
        .value_kind:     by_value
      - .offset:         8
        .size:           8
        .value_kind:     by_value
      - .offset:         16
        .size:           8
        .value_kind:     by_value
      - .offset:         24
        .size:           4
        .value_kind:     by_value
      - .address_space:  global
        .offset:         32
        .size:           8
        .value_kind:     global_buffer
      - .offset:         40
        .size:           8
        .value_kind:     by_value
      - .offset:         48
        .size:           8
        .value_kind:     by_value
      - .address_space:  global
        .offset:         56
        .size:           8
        .value_kind:     global_buffer
      - .offset:         64
        .size:           8
        .value_kind:     by_value
      - .offset:         72
        .size:           8
        .value_kind:     by_value
      - .offset:         80
        .size:           4
        .value_kind:     by_value
      - .address_space:  global
        .offset:         88
        .size:           8
        .value_kind:     global_buffer
      - .offset:         96
        .size:           8
        .value_kind:     by_value
      - .offset:         104
        .size:           8
        .value_kind:     by_value
      - .address_space:  global
        .offset:         112
        .size:           8
        .value_kind:     global_buffer
      - .offset:         120
        .size:           8
        .value_kind:     by_value
      - .offset:         128
        .size:           8
        .value_kind:     by_value
      - .offset:         136
        .size:           4
        .value_kind:     by_value
    .group_segment_fixed_size: 2048
    .kernarg_segment_align: 8
    .kernarg_segment_size: 140
    .language:       OpenCL C
    .language_version:
      - 2
      - 0
    .max_flat_workgroup_size: 256
    .name:           _ZN12_GLOBAL__N_127rocblas_gemm_batched_kernelIfLi16ELi16ELi64ELi64ELi4ELi64ELi4ELi4ELi64ELc78ELc78EK16rocblas_bfloat16KffEEvlllT_PT11_llS6_llS4_PT12_llPT13_lli
    .private_segment_fixed_size: 0
    .sgpr_count:     38
    .sgpr_spill_count: 0
    .symbol:         _ZN12_GLOBAL__N_127rocblas_gemm_batched_kernelIfLi16ELi16ELi64ELi64ELi4ELi64ELi4ELi4ELi64ELc78ELc78EK16rocblas_bfloat16KffEEvlllT_PT11_llS6_llS4_PT12_llPT13_lli.kd
    .uniform_work_group_size: 1
    .uses_dynamic_stack: false
    .vgpr_count:     74
    .vgpr_spill_count: 0
    .wavefront_size: 32
  - .args:
      - .offset:         0
        .size:           8
        .value_kind:     by_value
      - .offset:         8
        .size:           8
        .value_kind:     by_value
      - .offset:         16
        .size:           8
        .value_kind:     by_value
      - .offset:         24
        .size:           4
        .value_kind:     by_value
      - .address_space:  global
        .offset:         32
        .size:           8
        .value_kind:     global_buffer
      - .offset:         40
        .size:           8
        .value_kind:     by_value
      - .offset:         48
        .size:           8
        .value_kind:     by_value
      - .address_space:  global
        .offset:         56
        .size:           8
        .value_kind:     global_buffer
      - .offset:         64
        .size:           8
        .value_kind:     by_value
      - .offset:         72
        .size:           8
        .value_kind:     by_value
      - .offset:         80
        .size:           4
        .value_kind:     by_value
      - .address_space:  global
        .offset:         88
        .size:           8
        .value_kind:     global_buffer
      - .offset:         96
        .size:           8
        .value_kind:     by_value
      - .offset:         104
        .size:           8
        .value_kind:     by_value
      - .address_space:  global
        .offset:         112
        .size:           8
        .value_kind:     global_buffer
      - .offset:         120
        .size:           8
        .value_kind:     by_value
      - .offset:         128
        .size:           8
        .value_kind:     by_value
      - .offset:         136
        .size:           4
        .value_kind:     by_value
    .group_segment_fixed_size: 2048
    .kernarg_segment_align: 8
    .kernarg_segment_size: 140
    .language:       OpenCL C
    .language_version:
      - 2
      - 0
    .max_flat_workgroup_size: 256
    .name:           _ZN12_GLOBAL__N_127rocblas_gemm_batched_kernelIfLi16ELi16ELi64ELi64ELi4ELi64ELi4ELi4ELi64ELc84ELc78EK16rocblas_bfloat16KffEEvlllT_PT11_llS6_llS4_PT12_llPT13_lli
    .private_segment_fixed_size: 0
    .sgpr_count:     40
    .sgpr_spill_count: 0
    .symbol:         _ZN12_GLOBAL__N_127rocblas_gemm_batched_kernelIfLi16ELi16ELi64ELi64ELi4ELi64ELi4ELi4ELi64ELc84ELc78EK16rocblas_bfloat16KffEEvlllT_PT11_llS6_llS4_PT12_llPT13_lli.kd
    .uniform_work_group_size: 1
    .uses_dynamic_stack: false
    .vgpr_count:     74
    .vgpr_spill_count: 0
    .wavefront_size: 32
  - .args:
      - .offset:         0
        .size:           8
        .value_kind:     by_value
      - .offset:         8
        .size:           8
        .value_kind:     by_value
      - .offset:         16
        .size:           8
        .value_kind:     by_value
      - .offset:         24
        .size:           4
        .value_kind:     by_value
      - .address_space:  global
        .offset:         32
        .size:           8
        .value_kind:     global_buffer
      - .offset:         40
        .size:           8
        .value_kind:     by_value
      - .offset:         48
        .size:           8
        .value_kind:     by_value
      - .address_space:  global
        .offset:         56
        .size:           8
        .value_kind:     global_buffer
      - .offset:         64
        .size:           8
        .value_kind:     by_value
      - .offset:         72
        .size:           8
        .value_kind:     by_value
      - .offset:         80
        .size:           4
        .value_kind:     by_value
      - .address_space:  global
        .offset:         88
        .size:           8
        .value_kind:     global_buffer
      - .offset:         96
        .size:           8
        .value_kind:     by_value
      - .offset:         104
        .size:           8
        .value_kind:     by_value
      - .address_space:  global
        .offset:         112
        .size:           8
        .value_kind:     global_buffer
      - .offset:         120
        .size:           8
        .value_kind:     by_value
      - .offset:         128
        .size:           8
        .value_kind:     by_value
      - .offset:         136
        .size:           4
        .value_kind:     by_value
    .group_segment_fixed_size: 2048
    .kernarg_segment_align: 8
    .kernarg_segment_size: 140
    .language:       OpenCL C
    .language_version:
      - 2
      - 0
    .max_flat_workgroup_size: 256
    .name:           _ZN12_GLOBAL__N_127rocblas_gemm_batched_kernelIfLi16ELi16ELi64ELi64ELi4ELi64ELi4ELi4ELi64ELc78ELc84EK16rocblas_bfloat16KffEEvlllT_PT11_llS6_llS4_PT12_llPT13_lli
    .private_segment_fixed_size: 0
    .sgpr_count:     40
    .sgpr_spill_count: 0
    .symbol:         _ZN12_GLOBAL__N_127rocblas_gemm_batched_kernelIfLi16ELi16ELi64ELi64ELi4ELi64ELi4ELi4ELi64ELc78ELc84EK16rocblas_bfloat16KffEEvlllT_PT11_llS6_llS4_PT12_llPT13_lli.kd
    .uniform_work_group_size: 1
    .uses_dynamic_stack: false
    .vgpr_count:     74
    .vgpr_spill_count: 0
    .wavefront_size: 32
  - .args:
      - .offset:         0
        .size:           8
        .value_kind:     by_value
      - .offset:         8
        .size:           8
        .value_kind:     by_value
      - .offset:         16
        .size:           8
        .value_kind:     by_value
      - .offset:         24
        .size:           4
        .value_kind:     by_value
      - .address_space:  global
        .offset:         32
        .size:           8
        .value_kind:     global_buffer
      - .offset:         40
        .size:           8
        .value_kind:     by_value
      - .offset:         48
        .size:           8
        .value_kind:     by_value
      - .address_space:  global
        .offset:         56
        .size:           8
        .value_kind:     global_buffer
      - .offset:         64
        .size:           8
        .value_kind:     by_value
      - .offset:         72
        .size:           8
        .value_kind:     by_value
      - .offset:         80
        .size:           4
        .value_kind:     by_value
      - .address_space:  global
        .offset:         88
        .size:           8
        .value_kind:     global_buffer
      - .offset:         96
        .size:           8
        .value_kind:     by_value
      - .offset:         104
        .size:           8
        .value_kind:     by_value
      - .address_space:  global
        .offset:         112
        .size:           8
        .value_kind:     global_buffer
      - .offset:         120
        .size:           8
        .value_kind:     by_value
      - .offset:         128
        .size:           8
        .value_kind:     by_value
      - .offset:         136
        .size:           4
        .value_kind:     by_value
    .group_segment_fixed_size: 2048
    .kernarg_segment_align: 8
    .kernarg_segment_size: 140
    .language:       OpenCL C
    .language_version:
      - 2
      - 0
    .max_flat_workgroup_size: 256
    .name:           _ZN12_GLOBAL__N_127rocblas_gemm_batched_kernelIfLi16ELi16ELi64ELi64ELi4ELi64ELi4ELi4ELi64ELc84ELc84EK16rocblas_bfloat16KffEEvlllT_PT11_llS6_llS4_PT12_llPT13_lli
    .private_segment_fixed_size: 0
    .sgpr_count:     40
    .sgpr_spill_count: 0
    .symbol:         _ZN12_GLOBAL__N_127rocblas_gemm_batched_kernelIfLi16ELi16ELi64ELi64ELi4ELi64ELi4ELi4ELi64ELc84ELc84EK16rocblas_bfloat16KffEEvlllT_PT11_llS6_llS4_PT12_llPT13_lli.kd
    .uniform_work_group_size: 1
    .uses_dynamic_stack: false
    .vgpr_count:     74
    .vgpr_spill_count: 0
    .wavefront_size: 32
  - .args:
      - .offset:         0
        .size:           8
        .value_kind:     by_value
      - .offset:         8
        .size:           8
        .value_kind:     by_value
      - .offset:         16
        .size:           8
        .value_kind:     by_value
      - .offset:         24
        .size:           4
        .value_kind:     by_value
      - .address_space:  global
        .offset:         32
        .size:           8
        .value_kind:     global_buffer
      - .offset:         40
        .size:           8
        .value_kind:     by_value
      - .offset:         48
        .size:           8
        .value_kind:     by_value
      - .address_space:  global
        .offset:         56
        .size:           8
        .value_kind:     global_buffer
      - .offset:         64
        .size:           8
        .value_kind:     by_value
      - .offset:         72
        .size:           8
        .value_kind:     by_value
      - .offset:         80
        .size:           4
        .value_kind:     by_value
      - .address_space:  global
        .offset:         88
        .size:           8
        .value_kind:     global_buffer
      - .offset:         96
        .size:           8
        .value_kind:     by_value
      - .offset:         104
        .size:           8
        .value_kind:     by_value
      - .address_space:  global
        .offset:         112
        .size:           8
        .value_kind:     global_buffer
      - .offset:         120
        .size:           8
        .value_kind:     by_value
      - .offset:         128
        .size:           8
        .value_kind:     by_value
      - .offset:         136
        .size:           4
        .value_kind:     by_value
    .group_segment_fixed_size: 2048
    .kernarg_segment_align: 8
    .kernarg_segment_size: 140
    .language:       OpenCL C
    .language_version:
      - 2
      - 0
    .max_flat_workgroup_size: 256
    .name:           _ZN12_GLOBAL__N_127rocblas_gemm_batched_kernelIfLi16ELi16ELi64ELi64ELi4ELi64ELi4ELi4ELi64ELc67ELc67EK16rocblas_bfloat16KffEEvlllT_PT11_llS6_llS4_PT12_llPT13_lli
    .private_segment_fixed_size: 0
    .sgpr_count:     40
    .sgpr_spill_count: 0
    .symbol:         _ZN12_GLOBAL__N_127rocblas_gemm_batched_kernelIfLi16ELi16ELi64ELi64ELi4ELi64ELi4ELi4ELi64ELc67ELc67EK16rocblas_bfloat16KffEEvlllT_PT11_llS6_llS4_PT12_llPT13_lli.kd
    .uniform_work_group_size: 1
    .uses_dynamic_stack: false
    .vgpr_count:     74
    .vgpr_spill_count: 0
    .wavefront_size: 32
  - .args:
      - .offset:         0
        .size:           8
        .value_kind:     by_value
      - .offset:         8
        .size:           8
        .value_kind:     by_value
      - .offset:         16
        .size:           8
        .value_kind:     by_value
      - .offset:         24
        .size:           4
        .value_kind:     by_value
      - .address_space:  global
        .offset:         32
        .size:           8
        .value_kind:     global_buffer
      - .offset:         40
        .size:           8
        .value_kind:     by_value
      - .offset:         48
        .size:           8
        .value_kind:     by_value
      - .address_space:  global
        .offset:         56
        .size:           8
        .value_kind:     global_buffer
      - .offset:         64
        .size:           8
        .value_kind:     by_value
      - .offset:         72
        .size:           8
        .value_kind:     by_value
      - .offset:         80
        .size:           4
        .value_kind:     by_value
      - .address_space:  global
        .offset:         88
        .size:           8
        .value_kind:     global_buffer
      - .offset:         96
        .size:           8
        .value_kind:     by_value
      - .offset:         104
        .size:           8
        .value_kind:     by_value
      - .address_space:  global
        .offset:         112
        .size:           8
        .value_kind:     global_buffer
      - .offset:         120
        .size:           8
        .value_kind:     by_value
      - .offset:         128
        .size:           8
        .value_kind:     by_value
      - .offset:         136
        .size:           4
        .value_kind:     by_value
    .group_segment_fixed_size: 2048
    .kernarg_segment_align: 8
    .kernarg_segment_size: 140
    .language:       OpenCL C
    .language_version:
      - 2
      - 0
    .max_flat_workgroup_size: 256
    .name:           _ZN12_GLOBAL__N_127rocblas_gemm_batched_kernelIfLi16ELi16ELi64ELi64ELi4ELi64ELi4ELi4ELi64ELc67ELc78EK16rocblas_bfloat16KffEEvlllT_PT11_llS6_llS4_PT12_llPT13_lli
    .private_segment_fixed_size: 0
    .sgpr_count:     40
    .sgpr_spill_count: 0
    .symbol:         _ZN12_GLOBAL__N_127rocblas_gemm_batched_kernelIfLi16ELi16ELi64ELi64ELi4ELi64ELi4ELi4ELi64ELc67ELc78EK16rocblas_bfloat16KffEEvlllT_PT11_llS6_llS4_PT12_llPT13_lli.kd
    .uniform_work_group_size: 1
    .uses_dynamic_stack: false
    .vgpr_count:     74
    .vgpr_spill_count: 0
    .wavefront_size: 32
  - .args:
      - .offset:         0
        .size:           8
        .value_kind:     by_value
      - .offset:         8
        .size:           8
        .value_kind:     by_value
      - .offset:         16
        .size:           8
        .value_kind:     by_value
      - .offset:         24
        .size:           4
        .value_kind:     by_value
      - .address_space:  global
        .offset:         32
        .size:           8
        .value_kind:     global_buffer
      - .offset:         40
        .size:           8
        .value_kind:     by_value
      - .offset:         48
        .size:           8
        .value_kind:     by_value
      - .address_space:  global
        .offset:         56
        .size:           8
        .value_kind:     global_buffer
      - .offset:         64
        .size:           8
        .value_kind:     by_value
      - .offset:         72
        .size:           8
        .value_kind:     by_value
      - .offset:         80
        .size:           4
        .value_kind:     by_value
      - .address_space:  global
        .offset:         88
        .size:           8
        .value_kind:     global_buffer
      - .offset:         96
        .size:           8
        .value_kind:     by_value
      - .offset:         104
        .size:           8
        .value_kind:     by_value
      - .address_space:  global
        .offset:         112
        .size:           8
        .value_kind:     global_buffer
      - .offset:         120
        .size:           8
        .value_kind:     by_value
      - .offset:         128
        .size:           8
        .value_kind:     by_value
      - .offset:         136
        .size:           4
        .value_kind:     by_value
    .group_segment_fixed_size: 2048
    .kernarg_segment_align: 8
    .kernarg_segment_size: 140
    .language:       OpenCL C
    .language_version:
      - 2
      - 0
    .max_flat_workgroup_size: 256
    .name:           _ZN12_GLOBAL__N_127rocblas_gemm_batched_kernelIfLi16ELi16ELi64ELi64ELi4ELi64ELi4ELi4ELi64ELc67ELc84EK16rocblas_bfloat16KffEEvlllT_PT11_llS6_llS4_PT12_llPT13_lli
    .private_segment_fixed_size: 0
    .sgpr_count:     40
    .sgpr_spill_count: 0
    .symbol:         _ZN12_GLOBAL__N_127rocblas_gemm_batched_kernelIfLi16ELi16ELi64ELi64ELi4ELi64ELi4ELi4ELi64ELc67ELc84EK16rocblas_bfloat16KffEEvlllT_PT11_llS6_llS4_PT12_llPT13_lli.kd
    .uniform_work_group_size: 1
    .uses_dynamic_stack: false
    .vgpr_count:     74
    .vgpr_spill_count: 0
    .wavefront_size: 32
  - .args:
      - .offset:         0
        .size:           8
        .value_kind:     by_value
      - .offset:         8
        .size:           8
        .value_kind:     by_value
      - .offset:         16
        .size:           8
        .value_kind:     by_value
      - .offset:         24
        .size:           4
        .value_kind:     by_value
      - .address_space:  global
        .offset:         32
        .size:           8
        .value_kind:     global_buffer
      - .offset:         40
        .size:           8
        .value_kind:     by_value
      - .offset:         48
        .size:           8
        .value_kind:     by_value
      - .address_space:  global
        .offset:         56
        .size:           8
        .value_kind:     global_buffer
      - .offset:         64
        .size:           8
        .value_kind:     by_value
      - .offset:         72
        .size:           8
        .value_kind:     by_value
      - .offset:         80
        .size:           4
        .value_kind:     by_value
      - .address_space:  global
        .offset:         88
        .size:           8
        .value_kind:     global_buffer
      - .offset:         96
        .size:           8
        .value_kind:     by_value
      - .offset:         104
        .size:           8
        .value_kind:     by_value
      - .address_space:  global
        .offset:         112
        .size:           8
        .value_kind:     global_buffer
      - .offset:         120
        .size:           8
        .value_kind:     by_value
      - .offset:         128
        .size:           8
        .value_kind:     by_value
      - .offset:         136
        .size:           4
        .value_kind:     by_value
    .group_segment_fixed_size: 2048
    .kernarg_segment_align: 8
    .kernarg_segment_size: 140
    .language:       OpenCL C
    .language_version:
      - 2
      - 0
    .max_flat_workgroup_size: 256
    .name:           _ZN12_GLOBAL__N_127rocblas_gemm_batched_kernelIfLi16ELi16ELi64ELi64ELi4ELi64ELi4ELi4ELi64ELc78ELc67EK16rocblas_bfloat16KffEEvlllT_PT11_llS6_llS4_PT12_llPT13_lli
    .private_segment_fixed_size: 0
    .sgpr_count:     40
    .sgpr_spill_count: 0
    .symbol:         _ZN12_GLOBAL__N_127rocblas_gemm_batched_kernelIfLi16ELi16ELi64ELi64ELi4ELi64ELi4ELi4ELi64ELc78ELc67EK16rocblas_bfloat16KffEEvlllT_PT11_llS6_llS4_PT12_llPT13_lli.kd
    .uniform_work_group_size: 1
    .uses_dynamic_stack: false
    .vgpr_count:     74
    .vgpr_spill_count: 0
    .wavefront_size: 32
  - .args:
      - .offset:         0
        .size:           8
        .value_kind:     by_value
      - .offset:         8
        .size:           8
        .value_kind:     by_value
      - .offset:         16
        .size:           8
        .value_kind:     by_value
      - .offset:         24
        .size:           4
        .value_kind:     by_value
      - .address_space:  global
        .offset:         32
        .size:           8
        .value_kind:     global_buffer
      - .offset:         40
        .size:           8
        .value_kind:     by_value
      - .offset:         48
        .size:           8
        .value_kind:     by_value
      - .address_space:  global
        .offset:         56
        .size:           8
        .value_kind:     global_buffer
      - .offset:         64
        .size:           8
        .value_kind:     by_value
      - .offset:         72
        .size:           8
        .value_kind:     by_value
      - .offset:         80
        .size:           4
        .value_kind:     by_value
      - .address_space:  global
        .offset:         88
        .size:           8
        .value_kind:     global_buffer
      - .offset:         96
        .size:           8
        .value_kind:     by_value
      - .offset:         104
        .size:           8
        .value_kind:     by_value
      - .address_space:  global
        .offset:         112
        .size:           8
        .value_kind:     global_buffer
      - .offset:         120
        .size:           8
        .value_kind:     by_value
      - .offset:         128
        .size:           8
        .value_kind:     by_value
      - .offset:         136
        .size:           4
        .value_kind:     by_value
    .group_segment_fixed_size: 2048
    .kernarg_segment_align: 8
    .kernarg_segment_size: 140
    .language:       OpenCL C
    .language_version:
      - 2
      - 0
    .max_flat_workgroup_size: 256
    .name:           _ZN12_GLOBAL__N_127rocblas_gemm_batched_kernelIfLi16ELi16ELi64ELi64ELi4ELi64ELi4ELi4ELi64ELc84ELc67EK16rocblas_bfloat16KffEEvlllT_PT11_llS6_llS4_PT12_llPT13_lli
    .private_segment_fixed_size: 0
    .sgpr_count:     40
    .sgpr_spill_count: 0
    .symbol:         _ZN12_GLOBAL__N_127rocblas_gemm_batched_kernelIfLi16ELi16ELi64ELi64ELi4ELi64ELi4ELi4ELi64ELc84ELc67EK16rocblas_bfloat16KffEEvlllT_PT11_llS6_llS4_PT12_llPT13_lli.kd
    .uniform_work_group_size: 1
    .uses_dynamic_stack: false
    .vgpr_count:     74
    .vgpr_spill_count: 0
    .wavefront_size: 32
  - .args:
      - .offset:         0
        .size:           8
        .value_kind:     by_value
      - .offset:         8
        .size:           8
        .value_kind:     by_value
      - .offset:         16
        .size:           8
        .value_kind:     by_value
      - .offset:         24
        .size:           4
        .value_kind:     by_value
      - .address_space:  global
        .offset:         32
        .size:           8
        .value_kind:     global_buffer
      - .offset:         40
        .size:           8
        .value_kind:     by_value
      - .offset:         48
        .size:           8
        .value_kind:     by_value
      - .address_space:  global
        .offset:         56
        .size:           8
        .value_kind:     global_buffer
      - .offset:         64
        .size:           8
        .value_kind:     by_value
      - .offset:         72
        .size:           8
        .value_kind:     by_value
      - .offset:         80
        .size:           4
        .value_kind:     by_value
      - .address_space:  global
        .offset:         88
        .size:           8
        .value_kind:     global_buffer
      - .offset:         96
        .size:           8
        .value_kind:     by_value
      - .offset:         104
        .size:           8
        .value_kind:     by_value
      - .address_space:  global
        .offset:         112
        .size:           8
        .value_kind:     global_buffer
      - .offset:         120
        .size:           8
        .value_kind:     by_value
      - .offset:         128
        .size:           8
        .value_kind:     by_value
      - .offset:         136
        .size:           4
        .value_kind:     by_value
    .group_segment_fixed_size: 2048
    .kernarg_segment_align: 8
    .kernarg_segment_size: 140
    .language:       OpenCL C
    .language_version:
      - 2
      - 0
    .max_flat_workgroup_size: 256
    .name:           _ZN12_GLOBAL__N_127rocblas_gemm_batched_kernelIfLi16ELi16ELi32ELi32ELi8ELi32ELi8ELi8ELi32ELc78ELc78EK16rocblas_bfloat16KffEEvlllT_PT11_llS6_llS4_PT12_llPT13_lli
    .private_segment_fixed_size: 0
    .sgpr_count:     38
    .sgpr_spill_count: 0
    .symbol:         _ZN12_GLOBAL__N_127rocblas_gemm_batched_kernelIfLi16ELi16ELi32ELi32ELi8ELi32ELi8ELi8ELi32ELc78ELc78EK16rocblas_bfloat16KffEEvlllT_PT11_llS6_llS4_PT12_llPT13_lli.kd
    .uniform_work_group_size: 1
    .uses_dynamic_stack: false
    .vgpr_count:     56
    .vgpr_spill_count: 0
    .wavefront_size: 32
  - .args:
      - .offset:         0
        .size:           8
        .value_kind:     by_value
      - .offset:         8
        .size:           8
        .value_kind:     by_value
      - .offset:         16
        .size:           8
        .value_kind:     by_value
      - .offset:         24
        .size:           4
        .value_kind:     by_value
      - .address_space:  global
        .offset:         32
        .size:           8
        .value_kind:     global_buffer
      - .offset:         40
        .size:           8
        .value_kind:     by_value
      - .offset:         48
        .size:           8
        .value_kind:     by_value
      - .address_space:  global
        .offset:         56
        .size:           8
        .value_kind:     global_buffer
      - .offset:         64
        .size:           8
        .value_kind:     by_value
      - .offset:         72
        .size:           8
        .value_kind:     by_value
      - .offset:         80
        .size:           4
        .value_kind:     by_value
      - .address_space:  global
        .offset:         88
        .size:           8
        .value_kind:     global_buffer
      - .offset:         96
        .size:           8
        .value_kind:     by_value
      - .offset:         104
        .size:           8
        .value_kind:     by_value
      - .address_space:  global
        .offset:         112
        .size:           8
        .value_kind:     global_buffer
      - .offset:         120
        .size:           8
        .value_kind:     by_value
      - .offset:         128
        .size:           8
        .value_kind:     by_value
      - .offset:         136
        .size:           4
        .value_kind:     by_value
    .group_segment_fixed_size: 2048
    .kernarg_segment_align: 8
    .kernarg_segment_size: 140
    .language:       OpenCL C
    .language_version:
      - 2
      - 0
    .max_flat_workgroup_size: 256
    .name:           _ZN12_GLOBAL__N_127rocblas_gemm_batched_kernelIfLi16ELi16ELi32ELi32ELi8ELi32ELi8ELi8ELi32ELc84ELc78EK16rocblas_bfloat16KffEEvlllT_PT11_llS6_llS4_PT12_llPT13_lli
    .private_segment_fixed_size: 0
    .sgpr_count:     40
    .sgpr_spill_count: 0
    .symbol:         _ZN12_GLOBAL__N_127rocblas_gemm_batched_kernelIfLi16ELi16ELi32ELi32ELi8ELi32ELi8ELi8ELi32ELc84ELc78EK16rocblas_bfloat16KffEEvlllT_PT11_llS6_llS4_PT12_llPT13_lli.kd
    .uniform_work_group_size: 1
    .uses_dynamic_stack: false
    .vgpr_count:     56
    .vgpr_spill_count: 0
    .wavefront_size: 32
  - .args:
      - .offset:         0
        .size:           8
        .value_kind:     by_value
      - .offset:         8
        .size:           8
        .value_kind:     by_value
      - .offset:         16
        .size:           8
        .value_kind:     by_value
      - .offset:         24
        .size:           4
        .value_kind:     by_value
      - .address_space:  global
        .offset:         32
        .size:           8
        .value_kind:     global_buffer
      - .offset:         40
        .size:           8
        .value_kind:     by_value
      - .offset:         48
        .size:           8
        .value_kind:     by_value
      - .address_space:  global
        .offset:         56
        .size:           8
        .value_kind:     global_buffer
      - .offset:         64
        .size:           8
        .value_kind:     by_value
      - .offset:         72
        .size:           8
        .value_kind:     by_value
      - .offset:         80
        .size:           4
        .value_kind:     by_value
      - .address_space:  global
        .offset:         88
        .size:           8
        .value_kind:     global_buffer
      - .offset:         96
        .size:           8
        .value_kind:     by_value
      - .offset:         104
        .size:           8
        .value_kind:     by_value
      - .address_space:  global
        .offset:         112
        .size:           8
        .value_kind:     global_buffer
      - .offset:         120
        .size:           8
        .value_kind:     by_value
      - .offset:         128
        .size:           8
        .value_kind:     by_value
      - .offset:         136
        .size:           4
        .value_kind:     by_value
    .group_segment_fixed_size: 2048
    .kernarg_segment_align: 8
    .kernarg_segment_size: 140
    .language:       OpenCL C
    .language_version:
      - 2
      - 0
    .max_flat_workgroup_size: 256
    .name:           _ZN12_GLOBAL__N_127rocblas_gemm_batched_kernelIfLi16ELi16ELi32ELi32ELi8ELi32ELi8ELi8ELi32ELc78ELc84EK16rocblas_bfloat16KffEEvlllT_PT11_llS6_llS4_PT12_llPT13_lli
    .private_segment_fixed_size: 0
    .sgpr_count:     40
    .sgpr_spill_count: 0
    .symbol:         _ZN12_GLOBAL__N_127rocblas_gemm_batched_kernelIfLi16ELi16ELi32ELi32ELi8ELi32ELi8ELi8ELi32ELc78ELc84EK16rocblas_bfloat16KffEEvlllT_PT11_llS6_llS4_PT12_llPT13_lli.kd
    .uniform_work_group_size: 1
    .uses_dynamic_stack: false
    .vgpr_count:     56
    .vgpr_spill_count: 0
    .wavefront_size: 32
  - .args:
      - .offset:         0
        .size:           8
        .value_kind:     by_value
      - .offset:         8
        .size:           8
        .value_kind:     by_value
      - .offset:         16
        .size:           8
        .value_kind:     by_value
      - .offset:         24
        .size:           4
        .value_kind:     by_value
      - .address_space:  global
        .offset:         32
        .size:           8
        .value_kind:     global_buffer
      - .offset:         40
        .size:           8
        .value_kind:     by_value
      - .offset:         48
        .size:           8
        .value_kind:     by_value
      - .address_space:  global
        .offset:         56
        .size:           8
        .value_kind:     global_buffer
      - .offset:         64
        .size:           8
        .value_kind:     by_value
      - .offset:         72
        .size:           8
        .value_kind:     by_value
      - .offset:         80
        .size:           4
        .value_kind:     by_value
      - .address_space:  global
        .offset:         88
        .size:           8
        .value_kind:     global_buffer
      - .offset:         96
        .size:           8
        .value_kind:     by_value
      - .offset:         104
        .size:           8
        .value_kind:     by_value
      - .address_space:  global
        .offset:         112
        .size:           8
        .value_kind:     global_buffer
      - .offset:         120
        .size:           8
        .value_kind:     by_value
      - .offset:         128
        .size:           8
        .value_kind:     by_value
      - .offset:         136
        .size:           4
        .value_kind:     by_value
    .group_segment_fixed_size: 2048
    .kernarg_segment_align: 8
    .kernarg_segment_size: 140
    .language:       OpenCL C
    .language_version:
      - 2
      - 0
    .max_flat_workgroup_size: 256
    .name:           _ZN12_GLOBAL__N_127rocblas_gemm_batched_kernelIfLi16ELi16ELi32ELi32ELi8ELi32ELi8ELi8ELi32ELc84ELc84EK16rocblas_bfloat16KffEEvlllT_PT11_llS6_llS4_PT12_llPT13_lli
    .private_segment_fixed_size: 0
    .sgpr_count:     40
    .sgpr_spill_count: 0
    .symbol:         _ZN12_GLOBAL__N_127rocblas_gemm_batched_kernelIfLi16ELi16ELi32ELi32ELi8ELi32ELi8ELi8ELi32ELc84ELc84EK16rocblas_bfloat16KffEEvlllT_PT11_llS6_llS4_PT12_llPT13_lli.kd
    .uniform_work_group_size: 1
    .uses_dynamic_stack: false
    .vgpr_count:     56
    .vgpr_spill_count: 0
    .wavefront_size: 32
  - .args:
      - .offset:         0
        .size:           8
        .value_kind:     by_value
      - .offset:         8
        .size:           8
        .value_kind:     by_value
      - .offset:         16
        .size:           8
        .value_kind:     by_value
      - .offset:         24
        .size:           4
        .value_kind:     by_value
      - .address_space:  global
        .offset:         32
        .size:           8
        .value_kind:     global_buffer
      - .offset:         40
        .size:           8
        .value_kind:     by_value
      - .offset:         48
        .size:           8
        .value_kind:     by_value
      - .address_space:  global
        .offset:         56
        .size:           8
        .value_kind:     global_buffer
      - .offset:         64
        .size:           8
        .value_kind:     by_value
      - .offset:         72
        .size:           8
        .value_kind:     by_value
      - .offset:         80
        .size:           4
        .value_kind:     by_value
      - .address_space:  global
        .offset:         88
        .size:           8
        .value_kind:     global_buffer
      - .offset:         96
        .size:           8
        .value_kind:     by_value
      - .offset:         104
        .size:           8
        .value_kind:     by_value
      - .address_space:  global
        .offset:         112
        .size:           8
        .value_kind:     global_buffer
      - .offset:         120
        .size:           8
        .value_kind:     by_value
      - .offset:         128
        .size:           8
        .value_kind:     by_value
      - .offset:         136
        .size:           4
        .value_kind:     by_value
    .group_segment_fixed_size: 2048
    .kernarg_segment_align: 8
    .kernarg_segment_size: 140
    .language:       OpenCL C
    .language_version:
      - 2
      - 0
    .max_flat_workgroup_size: 256
    .name:           _ZN12_GLOBAL__N_127rocblas_gemm_batched_kernelIfLi16ELi16ELi32ELi32ELi8ELi32ELi8ELi8ELi32ELc67ELc67EK16rocblas_bfloat16KffEEvlllT_PT11_llS6_llS4_PT12_llPT13_lli
    .private_segment_fixed_size: 0
    .sgpr_count:     40
    .sgpr_spill_count: 0
    .symbol:         _ZN12_GLOBAL__N_127rocblas_gemm_batched_kernelIfLi16ELi16ELi32ELi32ELi8ELi32ELi8ELi8ELi32ELc67ELc67EK16rocblas_bfloat16KffEEvlllT_PT11_llS6_llS4_PT12_llPT13_lli.kd
    .uniform_work_group_size: 1
    .uses_dynamic_stack: false
    .vgpr_count:     56
    .vgpr_spill_count: 0
    .wavefront_size: 32
  - .args:
      - .offset:         0
        .size:           8
        .value_kind:     by_value
      - .offset:         8
        .size:           8
        .value_kind:     by_value
      - .offset:         16
        .size:           8
        .value_kind:     by_value
      - .offset:         24
        .size:           4
        .value_kind:     by_value
      - .address_space:  global
        .offset:         32
        .size:           8
        .value_kind:     global_buffer
      - .offset:         40
        .size:           8
        .value_kind:     by_value
      - .offset:         48
        .size:           8
        .value_kind:     by_value
      - .address_space:  global
        .offset:         56
        .size:           8
        .value_kind:     global_buffer
      - .offset:         64
        .size:           8
        .value_kind:     by_value
      - .offset:         72
        .size:           8
        .value_kind:     by_value
      - .offset:         80
        .size:           4
        .value_kind:     by_value
      - .address_space:  global
        .offset:         88
        .size:           8
        .value_kind:     global_buffer
      - .offset:         96
        .size:           8
        .value_kind:     by_value
      - .offset:         104
        .size:           8
        .value_kind:     by_value
      - .address_space:  global
        .offset:         112
        .size:           8
        .value_kind:     global_buffer
      - .offset:         120
        .size:           8
        .value_kind:     by_value
      - .offset:         128
        .size:           8
        .value_kind:     by_value
      - .offset:         136
        .size:           4
        .value_kind:     by_value
    .group_segment_fixed_size: 2048
    .kernarg_segment_align: 8
    .kernarg_segment_size: 140
    .language:       OpenCL C
    .language_version:
      - 2
      - 0
    .max_flat_workgroup_size: 256
    .name:           _ZN12_GLOBAL__N_127rocblas_gemm_batched_kernelIfLi16ELi16ELi32ELi32ELi8ELi32ELi8ELi8ELi32ELc67ELc78EK16rocblas_bfloat16KffEEvlllT_PT11_llS6_llS4_PT12_llPT13_lli
    .private_segment_fixed_size: 0
    .sgpr_count:     40
    .sgpr_spill_count: 0
    .symbol:         _ZN12_GLOBAL__N_127rocblas_gemm_batched_kernelIfLi16ELi16ELi32ELi32ELi8ELi32ELi8ELi8ELi32ELc67ELc78EK16rocblas_bfloat16KffEEvlllT_PT11_llS6_llS4_PT12_llPT13_lli.kd
    .uniform_work_group_size: 1
    .uses_dynamic_stack: false
    .vgpr_count:     56
    .vgpr_spill_count: 0
    .wavefront_size: 32
  - .args:
      - .offset:         0
        .size:           8
        .value_kind:     by_value
      - .offset:         8
        .size:           8
        .value_kind:     by_value
      - .offset:         16
        .size:           8
        .value_kind:     by_value
      - .offset:         24
        .size:           4
        .value_kind:     by_value
      - .address_space:  global
        .offset:         32
        .size:           8
        .value_kind:     global_buffer
      - .offset:         40
        .size:           8
        .value_kind:     by_value
      - .offset:         48
        .size:           8
        .value_kind:     by_value
      - .address_space:  global
        .offset:         56
        .size:           8
        .value_kind:     global_buffer
      - .offset:         64
        .size:           8
        .value_kind:     by_value
      - .offset:         72
        .size:           8
        .value_kind:     by_value
      - .offset:         80
        .size:           4
        .value_kind:     by_value
      - .address_space:  global
        .offset:         88
        .size:           8
        .value_kind:     global_buffer
      - .offset:         96
        .size:           8
        .value_kind:     by_value
      - .offset:         104
        .size:           8
        .value_kind:     by_value
      - .address_space:  global
        .offset:         112
        .size:           8
        .value_kind:     global_buffer
      - .offset:         120
        .size:           8
        .value_kind:     by_value
      - .offset:         128
        .size:           8
        .value_kind:     by_value
      - .offset:         136
        .size:           4
        .value_kind:     by_value
    .group_segment_fixed_size: 2048
    .kernarg_segment_align: 8
    .kernarg_segment_size: 140
    .language:       OpenCL C
    .language_version:
      - 2
      - 0
    .max_flat_workgroup_size: 256
    .name:           _ZN12_GLOBAL__N_127rocblas_gemm_batched_kernelIfLi16ELi16ELi32ELi32ELi8ELi32ELi8ELi8ELi32ELc67ELc84EK16rocblas_bfloat16KffEEvlllT_PT11_llS6_llS4_PT12_llPT13_lli
    .private_segment_fixed_size: 0
    .sgpr_count:     40
    .sgpr_spill_count: 0
    .symbol:         _ZN12_GLOBAL__N_127rocblas_gemm_batched_kernelIfLi16ELi16ELi32ELi32ELi8ELi32ELi8ELi8ELi32ELc67ELc84EK16rocblas_bfloat16KffEEvlllT_PT11_llS6_llS4_PT12_llPT13_lli.kd
    .uniform_work_group_size: 1
    .uses_dynamic_stack: false
    .vgpr_count:     56
    .vgpr_spill_count: 0
    .wavefront_size: 32
  - .args:
      - .offset:         0
        .size:           8
        .value_kind:     by_value
      - .offset:         8
        .size:           8
        .value_kind:     by_value
      - .offset:         16
        .size:           8
        .value_kind:     by_value
      - .offset:         24
        .size:           4
        .value_kind:     by_value
      - .address_space:  global
        .offset:         32
        .size:           8
        .value_kind:     global_buffer
      - .offset:         40
        .size:           8
        .value_kind:     by_value
      - .offset:         48
        .size:           8
        .value_kind:     by_value
      - .address_space:  global
        .offset:         56
        .size:           8
        .value_kind:     global_buffer
      - .offset:         64
        .size:           8
        .value_kind:     by_value
      - .offset:         72
        .size:           8
        .value_kind:     by_value
      - .offset:         80
        .size:           4
        .value_kind:     by_value
      - .address_space:  global
        .offset:         88
        .size:           8
        .value_kind:     global_buffer
      - .offset:         96
        .size:           8
        .value_kind:     by_value
      - .offset:         104
        .size:           8
        .value_kind:     by_value
      - .address_space:  global
        .offset:         112
        .size:           8
        .value_kind:     global_buffer
      - .offset:         120
        .size:           8
        .value_kind:     by_value
      - .offset:         128
        .size:           8
        .value_kind:     by_value
      - .offset:         136
        .size:           4
        .value_kind:     by_value
    .group_segment_fixed_size: 2048
    .kernarg_segment_align: 8
    .kernarg_segment_size: 140
    .language:       OpenCL C
    .language_version:
      - 2
      - 0
    .max_flat_workgroup_size: 256
    .name:           _ZN12_GLOBAL__N_127rocblas_gemm_batched_kernelIfLi16ELi16ELi32ELi32ELi8ELi32ELi8ELi8ELi32ELc78ELc67EK16rocblas_bfloat16KffEEvlllT_PT11_llS6_llS4_PT12_llPT13_lli
    .private_segment_fixed_size: 0
    .sgpr_count:     40
    .sgpr_spill_count: 0
    .symbol:         _ZN12_GLOBAL__N_127rocblas_gemm_batched_kernelIfLi16ELi16ELi32ELi32ELi8ELi32ELi8ELi8ELi32ELc78ELc67EK16rocblas_bfloat16KffEEvlllT_PT11_llS6_llS4_PT12_llPT13_lli.kd
    .uniform_work_group_size: 1
    .uses_dynamic_stack: false
    .vgpr_count:     56
    .vgpr_spill_count: 0
    .wavefront_size: 32
  - .args:
      - .offset:         0
        .size:           8
        .value_kind:     by_value
      - .offset:         8
        .size:           8
        .value_kind:     by_value
      - .offset:         16
        .size:           8
        .value_kind:     by_value
      - .offset:         24
        .size:           4
        .value_kind:     by_value
      - .address_space:  global
        .offset:         32
        .size:           8
        .value_kind:     global_buffer
      - .offset:         40
        .size:           8
        .value_kind:     by_value
      - .offset:         48
        .size:           8
        .value_kind:     by_value
      - .address_space:  global
        .offset:         56
        .size:           8
        .value_kind:     global_buffer
      - .offset:         64
        .size:           8
        .value_kind:     by_value
      - .offset:         72
        .size:           8
        .value_kind:     by_value
      - .offset:         80
        .size:           4
        .value_kind:     by_value
      - .address_space:  global
        .offset:         88
        .size:           8
        .value_kind:     global_buffer
      - .offset:         96
        .size:           8
        .value_kind:     by_value
      - .offset:         104
        .size:           8
        .value_kind:     by_value
      - .address_space:  global
        .offset:         112
        .size:           8
        .value_kind:     global_buffer
      - .offset:         120
        .size:           8
        .value_kind:     by_value
      - .offset:         128
        .size:           8
        .value_kind:     by_value
      - .offset:         136
        .size:           4
        .value_kind:     by_value
    .group_segment_fixed_size: 2048
    .kernarg_segment_align: 8
    .kernarg_segment_size: 140
    .language:       OpenCL C
    .language_version:
      - 2
      - 0
    .max_flat_workgroup_size: 256
    .name:           _ZN12_GLOBAL__N_127rocblas_gemm_batched_kernelIfLi16ELi16ELi32ELi32ELi8ELi32ELi8ELi8ELi32ELc84ELc67EK16rocblas_bfloat16KffEEvlllT_PT11_llS6_llS4_PT12_llPT13_lli
    .private_segment_fixed_size: 0
    .sgpr_count:     40
    .sgpr_spill_count: 0
    .symbol:         _ZN12_GLOBAL__N_127rocblas_gemm_batched_kernelIfLi16ELi16ELi32ELi32ELi8ELi32ELi8ELi8ELi32ELc84ELc67EK16rocblas_bfloat16KffEEvlllT_PT11_llS6_llS4_PT12_llPT13_lli.kd
    .uniform_work_group_size: 1
    .uses_dynamic_stack: false
    .vgpr_count:     56
    .vgpr_spill_count: 0
    .wavefront_size: 32
  - .args:
      - .offset:         0
        .size:           8
        .value_kind:     by_value
      - .offset:         8
        .size:           8
        .value_kind:     by_value
      - .offset:         16
        .size:           8
        .value_kind:     by_value
      - .offset:         24
        .size:           4
        .value_kind:     by_value
      - .address_space:  global
        .offset:         32
        .size:           8
        .value_kind:     global_buffer
      - .offset:         40
        .size:           8
        .value_kind:     by_value
      - .offset:         48
        .size:           8
        .value_kind:     by_value
      - .address_space:  global
        .offset:         56
        .size:           8
        .value_kind:     global_buffer
      - .offset:         64
        .size:           8
        .value_kind:     by_value
      - .offset:         72
        .size:           8
        .value_kind:     by_value
      - .offset:         80
        .size:           4
        .value_kind:     by_value
      - .address_space:  global
        .offset:         88
        .size:           8
        .value_kind:     global_buffer
      - .offset:         96
        .size:           8
        .value_kind:     by_value
      - .offset:         104
        .size:           8
        .value_kind:     by_value
      - .address_space:  global
        .offset:         112
        .size:           8
        .value_kind:     global_buffer
      - .offset:         120
        .size:           8
        .value_kind:     by_value
      - .offset:         128
        .size:           8
        .value_kind:     by_value
      - .offset:         136
        .size:           4
        .value_kind:     by_value
    .group_segment_fixed_size: 2048
    .kernarg_segment_align: 8
    .kernarg_segment_size: 140
    .language:       OpenCL C
    .language_version:
      - 2
      - 0
    .max_flat_workgroup_size: 256
    .name:           _ZN12_GLOBAL__N_135rocblas_gemm_batched_general_kernelIfLi16ELi16ELi32ELi32ELi8ELi32ELi8ELi8ELi32ELc78ELc78EK16rocblas_bfloat16KffEEvlllT_PT11_llS6_llS4_PT12_llPT13_lli
    .private_segment_fixed_size: 0
    .sgpr_count:     44
    .sgpr_spill_count: 0
    .symbol:         _ZN12_GLOBAL__N_135rocblas_gemm_batched_general_kernelIfLi16ELi16ELi32ELi32ELi8ELi32ELi8ELi8ELi32ELc78ELc78EK16rocblas_bfloat16KffEEvlllT_PT11_llS6_llS4_PT12_llPT13_lli.kd
    .uniform_work_group_size: 1
    .uses_dynamic_stack: false
    .vgpr_count:     52
    .vgpr_spill_count: 0
    .wavefront_size: 32
  - .args:
      - .offset:         0
        .size:           8
        .value_kind:     by_value
      - .offset:         8
        .size:           8
        .value_kind:     by_value
      - .offset:         16
        .size:           8
        .value_kind:     by_value
      - .offset:         24
        .size:           4
        .value_kind:     by_value
      - .address_space:  global
        .offset:         32
        .size:           8
        .value_kind:     global_buffer
      - .offset:         40
        .size:           8
        .value_kind:     by_value
      - .offset:         48
        .size:           8
        .value_kind:     by_value
      - .address_space:  global
        .offset:         56
        .size:           8
        .value_kind:     global_buffer
      - .offset:         64
        .size:           8
        .value_kind:     by_value
      - .offset:         72
        .size:           8
        .value_kind:     by_value
      - .offset:         80
        .size:           4
        .value_kind:     by_value
      - .address_space:  global
        .offset:         88
        .size:           8
        .value_kind:     global_buffer
      - .offset:         96
        .size:           8
        .value_kind:     by_value
      - .offset:         104
        .size:           8
        .value_kind:     by_value
      - .address_space:  global
        .offset:         112
        .size:           8
        .value_kind:     global_buffer
      - .offset:         120
        .size:           8
        .value_kind:     by_value
      - .offset:         128
        .size:           8
        .value_kind:     by_value
      - .offset:         136
        .size:           4
        .value_kind:     by_value
    .group_segment_fixed_size: 2048
    .kernarg_segment_align: 8
    .kernarg_segment_size: 140
    .language:       OpenCL C
    .language_version:
      - 2
      - 0
    .max_flat_workgroup_size: 256
    .name:           _ZN12_GLOBAL__N_135rocblas_gemm_batched_general_kernelIfLi16ELi16ELi32ELi32ELi8ELi32ELi8ELi8ELi32ELc84ELc78EK16rocblas_bfloat16KffEEvlllT_PT11_llS6_llS4_PT12_llPT13_lli
    .private_segment_fixed_size: 0
    .sgpr_count:     44
    .sgpr_spill_count: 0
    .symbol:         _ZN12_GLOBAL__N_135rocblas_gemm_batched_general_kernelIfLi16ELi16ELi32ELi32ELi8ELi32ELi8ELi8ELi32ELc84ELc78EK16rocblas_bfloat16KffEEvlllT_PT11_llS6_llS4_PT12_llPT13_lli.kd
    .uniform_work_group_size: 1
    .uses_dynamic_stack: false
    .vgpr_count:     52
    .vgpr_spill_count: 0
    .wavefront_size: 32
  - .args:
      - .offset:         0
        .size:           8
        .value_kind:     by_value
      - .offset:         8
        .size:           8
        .value_kind:     by_value
      - .offset:         16
        .size:           8
        .value_kind:     by_value
      - .offset:         24
        .size:           4
        .value_kind:     by_value
      - .address_space:  global
        .offset:         32
        .size:           8
        .value_kind:     global_buffer
      - .offset:         40
        .size:           8
        .value_kind:     by_value
      - .offset:         48
        .size:           8
        .value_kind:     by_value
      - .address_space:  global
        .offset:         56
        .size:           8
        .value_kind:     global_buffer
      - .offset:         64
        .size:           8
        .value_kind:     by_value
      - .offset:         72
        .size:           8
        .value_kind:     by_value
      - .offset:         80
        .size:           4
        .value_kind:     by_value
      - .address_space:  global
        .offset:         88
        .size:           8
        .value_kind:     global_buffer
      - .offset:         96
        .size:           8
        .value_kind:     by_value
      - .offset:         104
        .size:           8
        .value_kind:     by_value
      - .address_space:  global
        .offset:         112
        .size:           8
        .value_kind:     global_buffer
      - .offset:         120
        .size:           8
        .value_kind:     by_value
      - .offset:         128
        .size:           8
        .value_kind:     by_value
      - .offset:         136
        .size:           4
        .value_kind:     by_value
    .group_segment_fixed_size: 2048
    .kernarg_segment_align: 8
    .kernarg_segment_size: 140
    .language:       OpenCL C
    .language_version:
      - 2
      - 0
    .max_flat_workgroup_size: 256
    .name:           _ZN12_GLOBAL__N_135rocblas_gemm_batched_general_kernelIfLi16ELi16ELi32ELi32ELi8ELi32ELi8ELi8ELi32ELc78ELc84EK16rocblas_bfloat16KffEEvlllT_PT11_llS6_llS4_PT12_llPT13_lli
    .private_segment_fixed_size: 0
    .sgpr_count:     48
    .sgpr_spill_count: 0
    .symbol:         _ZN12_GLOBAL__N_135rocblas_gemm_batched_general_kernelIfLi16ELi16ELi32ELi32ELi8ELi32ELi8ELi8ELi32ELc78ELc84EK16rocblas_bfloat16KffEEvlllT_PT11_llS6_llS4_PT12_llPT13_lli.kd
    .uniform_work_group_size: 1
    .uses_dynamic_stack: false
    .vgpr_count:     52
    .vgpr_spill_count: 0
    .wavefront_size: 32
  - .args:
      - .offset:         0
        .size:           8
        .value_kind:     by_value
      - .offset:         8
        .size:           8
        .value_kind:     by_value
      - .offset:         16
        .size:           8
        .value_kind:     by_value
      - .offset:         24
        .size:           4
        .value_kind:     by_value
      - .address_space:  global
        .offset:         32
        .size:           8
        .value_kind:     global_buffer
      - .offset:         40
        .size:           8
        .value_kind:     by_value
      - .offset:         48
        .size:           8
        .value_kind:     by_value
      - .address_space:  global
        .offset:         56
        .size:           8
        .value_kind:     global_buffer
      - .offset:         64
        .size:           8
        .value_kind:     by_value
      - .offset:         72
        .size:           8
        .value_kind:     by_value
      - .offset:         80
        .size:           4
        .value_kind:     by_value
      - .address_space:  global
        .offset:         88
        .size:           8
        .value_kind:     global_buffer
      - .offset:         96
        .size:           8
        .value_kind:     by_value
      - .offset:         104
        .size:           8
        .value_kind:     by_value
      - .address_space:  global
        .offset:         112
        .size:           8
        .value_kind:     global_buffer
      - .offset:         120
        .size:           8
        .value_kind:     by_value
      - .offset:         128
        .size:           8
        .value_kind:     by_value
      - .offset:         136
        .size:           4
        .value_kind:     by_value
    .group_segment_fixed_size: 2048
    .kernarg_segment_align: 8
    .kernarg_segment_size: 140
    .language:       OpenCL C
    .language_version:
      - 2
      - 0
    .max_flat_workgroup_size: 256
    .name:           _ZN12_GLOBAL__N_135rocblas_gemm_batched_general_kernelIfLi16ELi16ELi32ELi32ELi8ELi32ELi8ELi8ELi32ELc84ELc84EK16rocblas_bfloat16KffEEvlllT_PT11_llS6_llS4_PT12_llPT13_lli
    .private_segment_fixed_size: 0
    .sgpr_count:     46
    .sgpr_spill_count: 0
    .symbol:         _ZN12_GLOBAL__N_135rocblas_gemm_batched_general_kernelIfLi16ELi16ELi32ELi32ELi8ELi32ELi8ELi8ELi32ELc84ELc84EK16rocblas_bfloat16KffEEvlllT_PT11_llS6_llS4_PT12_llPT13_lli.kd
    .uniform_work_group_size: 1
    .uses_dynamic_stack: false
    .vgpr_count:     52
    .vgpr_spill_count: 0
    .wavefront_size: 32
  - .args:
      - .offset:         0
        .size:           8
        .value_kind:     by_value
      - .offset:         8
        .size:           8
        .value_kind:     by_value
      - .offset:         16
        .size:           8
        .value_kind:     by_value
      - .offset:         24
        .size:           4
        .value_kind:     by_value
      - .address_space:  global
        .offset:         32
        .size:           8
        .value_kind:     global_buffer
      - .offset:         40
        .size:           8
        .value_kind:     by_value
      - .offset:         48
        .size:           8
        .value_kind:     by_value
      - .address_space:  global
        .offset:         56
        .size:           8
        .value_kind:     global_buffer
      - .offset:         64
        .size:           8
        .value_kind:     by_value
      - .offset:         72
        .size:           8
        .value_kind:     by_value
      - .offset:         80
        .size:           4
        .value_kind:     by_value
      - .address_space:  global
        .offset:         88
        .size:           8
        .value_kind:     global_buffer
      - .offset:         96
        .size:           8
        .value_kind:     by_value
      - .offset:         104
        .size:           8
        .value_kind:     by_value
      - .address_space:  global
        .offset:         112
        .size:           8
        .value_kind:     global_buffer
      - .offset:         120
        .size:           8
        .value_kind:     by_value
      - .offset:         128
        .size:           8
        .value_kind:     by_value
      - .offset:         136
        .size:           4
        .value_kind:     by_value
    .group_segment_fixed_size: 2048
    .kernarg_segment_align: 8
    .kernarg_segment_size: 140
    .language:       OpenCL C
    .language_version:
      - 2
      - 0
    .max_flat_workgroup_size: 256
    .name:           _ZN12_GLOBAL__N_135rocblas_gemm_batched_general_kernelIfLi16ELi16ELi32ELi32ELi8ELi32ELi8ELi8ELi32ELc67ELc67EK16rocblas_bfloat16KffEEvlllT_PT11_llS6_llS4_PT12_llPT13_lli
    .private_segment_fixed_size: 0
    .sgpr_count:     46
    .sgpr_spill_count: 0
    .symbol:         _ZN12_GLOBAL__N_135rocblas_gemm_batched_general_kernelIfLi16ELi16ELi32ELi32ELi8ELi32ELi8ELi8ELi32ELc67ELc67EK16rocblas_bfloat16KffEEvlllT_PT11_llS6_llS4_PT12_llPT13_lli.kd
    .uniform_work_group_size: 1
    .uses_dynamic_stack: false
    .vgpr_count:     52
    .vgpr_spill_count: 0
    .wavefront_size: 32
  - .args:
      - .offset:         0
        .size:           8
        .value_kind:     by_value
      - .offset:         8
        .size:           8
        .value_kind:     by_value
      - .offset:         16
        .size:           8
        .value_kind:     by_value
      - .offset:         24
        .size:           4
        .value_kind:     by_value
      - .address_space:  global
        .offset:         32
        .size:           8
        .value_kind:     global_buffer
      - .offset:         40
        .size:           8
        .value_kind:     by_value
      - .offset:         48
        .size:           8
        .value_kind:     by_value
      - .address_space:  global
        .offset:         56
        .size:           8
        .value_kind:     global_buffer
      - .offset:         64
        .size:           8
        .value_kind:     by_value
      - .offset:         72
        .size:           8
        .value_kind:     by_value
      - .offset:         80
        .size:           4
        .value_kind:     by_value
      - .address_space:  global
        .offset:         88
        .size:           8
        .value_kind:     global_buffer
      - .offset:         96
        .size:           8
        .value_kind:     by_value
      - .offset:         104
        .size:           8
        .value_kind:     by_value
      - .address_space:  global
        .offset:         112
        .size:           8
        .value_kind:     global_buffer
      - .offset:         120
        .size:           8
        .value_kind:     by_value
      - .offset:         128
        .size:           8
        .value_kind:     by_value
      - .offset:         136
        .size:           4
        .value_kind:     by_value
    .group_segment_fixed_size: 2048
    .kernarg_segment_align: 8
    .kernarg_segment_size: 140
    .language:       OpenCL C
    .language_version:
      - 2
      - 0
    .max_flat_workgroup_size: 256
    .name:           _ZN12_GLOBAL__N_135rocblas_gemm_batched_general_kernelIfLi16ELi16ELi32ELi32ELi8ELi32ELi8ELi8ELi32ELc67ELc78EK16rocblas_bfloat16KffEEvlllT_PT11_llS6_llS4_PT12_llPT13_lli
    .private_segment_fixed_size: 0
    .sgpr_count:     44
    .sgpr_spill_count: 0
    .symbol:         _ZN12_GLOBAL__N_135rocblas_gemm_batched_general_kernelIfLi16ELi16ELi32ELi32ELi8ELi32ELi8ELi8ELi32ELc67ELc78EK16rocblas_bfloat16KffEEvlllT_PT11_llS6_llS4_PT12_llPT13_lli.kd
    .uniform_work_group_size: 1
    .uses_dynamic_stack: false
    .vgpr_count:     52
    .vgpr_spill_count: 0
    .wavefront_size: 32
  - .args:
      - .offset:         0
        .size:           8
        .value_kind:     by_value
      - .offset:         8
        .size:           8
        .value_kind:     by_value
      - .offset:         16
        .size:           8
        .value_kind:     by_value
      - .offset:         24
        .size:           4
        .value_kind:     by_value
      - .address_space:  global
        .offset:         32
        .size:           8
        .value_kind:     global_buffer
      - .offset:         40
        .size:           8
        .value_kind:     by_value
      - .offset:         48
        .size:           8
        .value_kind:     by_value
      - .address_space:  global
        .offset:         56
        .size:           8
        .value_kind:     global_buffer
      - .offset:         64
        .size:           8
        .value_kind:     by_value
      - .offset:         72
        .size:           8
        .value_kind:     by_value
      - .offset:         80
        .size:           4
        .value_kind:     by_value
      - .address_space:  global
        .offset:         88
        .size:           8
        .value_kind:     global_buffer
      - .offset:         96
        .size:           8
        .value_kind:     by_value
      - .offset:         104
        .size:           8
        .value_kind:     by_value
      - .address_space:  global
        .offset:         112
        .size:           8
        .value_kind:     global_buffer
      - .offset:         120
        .size:           8
        .value_kind:     by_value
      - .offset:         128
        .size:           8
        .value_kind:     by_value
      - .offset:         136
        .size:           4
        .value_kind:     by_value
    .group_segment_fixed_size: 2048
    .kernarg_segment_align: 8
    .kernarg_segment_size: 140
    .language:       OpenCL C
    .language_version:
      - 2
      - 0
    .max_flat_workgroup_size: 256
    .name:           _ZN12_GLOBAL__N_135rocblas_gemm_batched_general_kernelIfLi16ELi16ELi32ELi32ELi8ELi32ELi8ELi8ELi32ELc67ELc84EK16rocblas_bfloat16KffEEvlllT_PT11_llS6_llS4_PT12_llPT13_lli
    .private_segment_fixed_size: 0
    .sgpr_count:     46
    .sgpr_spill_count: 0
    .symbol:         _ZN12_GLOBAL__N_135rocblas_gemm_batched_general_kernelIfLi16ELi16ELi32ELi32ELi8ELi32ELi8ELi8ELi32ELc67ELc84EK16rocblas_bfloat16KffEEvlllT_PT11_llS6_llS4_PT12_llPT13_lli.kd
    .uniform_work_group_size: 1
    .uses_dynamic_stack: false
    .vgpr_count:     52
    .vgpr_spill_count: 0
    .wavefront_size: 32
  - .args:
      - .offset:         0
        .size:           8
        .value_kind:     by_value
      - .offset:         8
        .size:           8
        .value_kind:     by_value
      - .offset:         16
        .size:           8
        .value_kind:     by_value
      - .offset:         24
        .size:           4
        .value_kind:     by_value
      - .address_space:  global
        .offset:         32
        .size:           8
        .value_kind:     global_buffer
      - .offset:         40
        .size:           8
        .value_kind:     by_value
      - .offset:         48
        .size:           8
        .value_kind:     by_value
      - .address_space:  global
        .offset:         56
        .size:           8
        .value_kind:     global_buffer
      - .offset:         64
        .size:           8
        .value_kind:     by_value
      - .offset:         72
        .size:           8
        .value_kind:     by_value
      - .offset:         80
        .size:           4
        .value_kind:     by_value
      - .address_space:  global
        .offset:         88
        .size:           8
        .value_kind:     global_buffer
      - .offset:         96
        .size:           8
        .value_kind:     by_value
      - .offset:         104
        .size:           8
        .value_kind:     by_value
      - .address_space:  global
        .offset:         112
        .size:           8
        .value_kind:     global_buffer
      - .offset:         120
        .size:           8
        .value_kind:     by_value
      - .offset:         128
        .size:           8
        .value_kind:     by_value
      - .offset:         136
        .size:           4
        .value_kind:     by_value
    .group_segment_fixed_size: 2048
    .kernarg_segment_align: 8
    .kernarg_segment_size: 140
    .language:       OpenCL C
    .language_version:
      - 2
      - 0
    .max_flat_workgroup_size: 256
    .name:           _ZN12_GLOBAL__N_135rocblas_gemm_batched_general_kernelIfLi16ELi16ELi32ELi32ELi8ELi32ELi8ELi8ELi32ELc78ELc67EK16rocblas_bfloat16KffEEvlllT_PT11_llS6_llS4_PT12_llPT13_lli
    .private_segment_fixed_size: 0
    .sgpr_count:     48
    .sgpr_spill_count: 0
    .symbol:         _ZN12_GLOBAL__N_135rocblas_gemm_batched_general_kernelIfLi16ELi16ELi32ELi32ELi8ELi32ELi8ELi8ELi32ELc78ELc67EK16rocblas_bfloat16KffEEvlllT_PT11_llS6_llS4_PT12_llPT13_lli.kd
    .uniform_work_group_size: 1
    .uses_dynamic_stack: false
    .vgpr_count:     52
    .vgpr_spill_count: 0
    .wavefront_size: 32
  - .args:
      - .offset:         0
        .size:           8
        .value_kind:     by_value
      - .offset:         8
        .size:           8
        .value_kind:     by_value
      - .offset:         16
        .size:           8
        .value_kind:     by_value
      - .offset:         24
        .size:           4
        .value_kind:     by_value
      - .address_space:  global
        .offset:         32
        .size:           8
        .value_kind:     global_buffer
      - .offset:         40
        .size:           8
        .value_kind:     by_value
      - .offset:         48
        .size:           8
        .value_kind:     by_value
      - .address_space:  global
        .offset:         56
        .size:           8
        .value_kind:     global_buffer
      - .offset:         64
        .size:           8
        .value_kind:     by_value
      - .offset:         72
        .size:           8
        .value_kind:     by_value
      - .offset:         80
        .size:           4
        .value_kind:     by_value
      - .address_space:  global
        .offset:         88
        .size:           8
        .value_kind:     global_buffer
      - .offset:         96
        .size:           8
        .value_kind:     by_value
      - .offset:         104
        .size:           8
        .value_kind:     by_value
      - .address_space:  global
        .offset:         112
        .size:           8
        .value_kind:     global_buffer
      - .offset:         120
        .size:           8
        .value_kind:     by_value
      - .offset:         128
        .size:           8
        .value_kind:     by_value
      - .offset:         136
        .size:           4
        .value_kind:     by_value
    .group_segment_fixed_size: 2048
    .kernarg_segment_align: 8
    .kernarg_segment_size: 140
    .language:       OpenCL C
    .language_version:
      - 2
      - 0
    .max_flat_workgroup_size: 256
    .name:           _ZN12_GLOBAL__N_135rocblas_gemm_batched_general_kernelIfLi16ELi16ELi32ELi32ELi8ELi32ELi8ELi8ELi32ELc84ELc67EK16rocblas_bfloat16KffEEvlllT_PT11_llS6_llS4_PT12_llPT13_lli
    .private_segment_fixed_size: 0
    .sgpr_count:     46
    .sgpr_spill_count: 0
    .symbol:         _ZN12_GLOBAL__N_135rocblas_gemm_batched_general_kernelIfLi16ELi16ELi32ELi32ELi8ELi32ELi8ELi8ELi32ELc84ELc67EK16rocblas_bfloat16KffEEvlllT_PT11_llS6_llS4_PT12_llPT13_lli.kd
    .uniform_work_group_size: 1
    .uses_dynamic_stack: false
    .vgpr_count:     52
    .vgpr_spill_count: 0
    .wavefront_size: 32
  - .args:
      - .offset:         0
        .size:           4
        .value_kind:     by_value
      - .offset:         4
        .size:           4
        .value_kind:     by_value
      - .offset:         8
        .size:           4
        .value_kind:     by_value
      - .address_space:  global
        .offset:         16
        .size:           8
        .value_kind:     global_buffer
      - .offset:         24
        .size:           8
        .value_kind:     by_value
      - .offset:         32
        .size:           8
        .value_kind:     by_value
      - .offset:         40
        .size:           8
        .value_kind:     by_value
      - .address_space:  global
        .offset:         48
        .size:           8
        .value_kind:     global_buffer
      - .offset:         56
        .size:           8
        .value_kind:     by_value
      - .offset:         64
        .size:           8
        .value_kind:     by_value
      - .offset:         72
        .size:           8
        .value_kind:     by_value
      - .offset:         80
        .size:           4
        .value_kind:     by_value
    .group_segment_fixed_size: 0
    .kernarg_segment_align: 8
    .kernarg_segment_size: 84
    .language:       OpenCL C
    .language_version:
      - 2
      - 0
    .max_flat_workgroup_size: 1024
    .name:           _ZN12_GLOBAL__N_120gemm_ex_scale_kernelILi32ELi32EiPKiPiEEviiT1_T2_lllT3_llli
    .private_segment_fixed_size: 0
    .sgpr_count:     29
    .sgpr_spill_count: 0
    .symbol:         _ZN12_GLOBAL__N_120gemm_ex_scale_kernelILi32ELi32EiPKiPiEEviiT1_T2_lllT3_llli.kd
    .uniform_work_group_size: 1
    .uses_dynamic_stack: false
    .vgpr_count:     8
    .vgpr_spill_count: 0
    .wavefront_size: 32
  - .args:
      - .offset:         0
        .size:           8
        .value_kind:     by_value
      - .offset:         8
        .size:           8
        .value_kind:     by_value
      - .offset:         16
        .size:           8
        .value_kind:     by_value
      - .offset:         24
        .size:           4
        .value_kind:     by_value
      - .address_space:  global
        .offset:         32
        .size:           8
        .value_kind:     global_buffer
      - .offset:         40
        .size:           8
        .value_kind:     by_value
      - .offset:         48
        .size:           8
        .value_kind:     by_value
      - .address_space:  global
        .offset:         56
        .size:           8
        .value_kind:     global_buffer
      - .offset:         64
        .size:           8
        .value_kind:     by_value
      - .offset:         72
        .size:           8
        .value_kind:     by_value
      - .offset:         80
        .size:           4
        .value_kind:     by_value
      - .address_space:  global
        .offset:         88
        .size:           8
        .value_kind:     global_buffer
      - .offset:         96
        .size:           8
        .value_kind:     by_value
      - .offset:         104
        .size:           8
        .value_kind:     by_value
      - .address_space:  global
        .offset:         112
        .size:           8
        .value_kind:     global_buffer
      - .offset:         120
        .size:           8
        .value_kind:     by_value
      - .offset:         128
        .size:           8
        .value_kind:     by_value
      - .offset:         136
        .size:           4
        .value_kind:     by_value
    .group_segment_fixed_size: 2048
    .kernarg_segment_align: 8
    .kernarg_segment_size: 140
    .language:       OpenCL C
    .language_version:
      - 2
      - 0
    .max_flat_workgroup_size: 256
    .name:           _ZN12_GLOBAL__N_127rocblas_gemm_batched_kernelIiLi16ELi16ELi64ELi64ELi4ELi64ELi4ELi4ELi64ELc78ELc78EKaKiiEEvlllT_PT11_llS5_llS3_PT12_llPT13_lli
    .private_segment_fixed_size: 0
    .sgpr_count:     38
    .sgpr_spill_count: 0
    .symbol:         _ZN12_GLOBAL__N_127rocblas_gemm_batched_kernelIiLi16ELi16ELi64ELi64ELi4ELi64ELi4ELi4ELi64ELc78ELc78EKaKiiEEvlllT_PT11_llS5_llS3_PT12_llPT13_lli.kd
    .uniform_work_group_size: 1
    .uses_dynamic_stack: false
    .vgpr_count:     64
    .vgpr_spill_count: 0
    .wavefront_size: 32
  - .args:
      - .offset:         0
        .size:           8
        .value_kind:     by_value
      - .offset:         8
        .size:           8
        .value_kind:     by_value
      - .offset:         16
        .size:           8
        .value_kind:     by_value
      - .offset:         24
        .size:           4
        .value_kind:     by_value
      - .address_space:  global
        .offset:         32
        .size:           8
        .value_kind:     global_buffer
      - .offset:         40
        .size:           8
        .value_kind:     by_value
      - .offset:         48
        .size:           8
        .value_kind:     by_value
      - .address_space:  global
        .offset:         56
        .size:           8
        .value_kind:     global_buffer
      - .offset:         64
        .size:           8
        .value_kind:     by_value
      - .offset:         72
        .size:           8
        .value_kind:     by_value
      - .offset:         80
        .size:           4
        .value_kind:     by_value
      - .address_space:  global
        .offset:         88
        .size:           8
        .value_kind:     global_buffer
      - .offset:         96
        .size:           8
        .value_kind:     by_value
      - .offset:         104
        .size:           8
        .value_kind:     by_value
      - .address_space:  global
        .offset:         112
        .size:           8
        .value_kind:     global_buffer
      - .offset:         120
        .size:           8
        .value_kind:     by_value
      - .offset:         128
        .size:           8
        .value_kind:     by_value
      - .offset:         136
        .size:           4
        .value_kind:     by_value
    .group_segment_fixed_size: 2048
    .kernarg_segment_align: 8
    .kernarg_segment_size: 140
    .language:       OpenCL C
    .language_version:
      - 2
      - 0
    .max_flat_workgroup_size: 256
    .name:           _ZN12_GLOBAL__N_127rocblas_gemm_batched_kernelIiLi16ELi16ELi64ELi64ELi4ELi64ELi4ELi4ELi64ELc84ELc78EKaKiiEEvlllT_PT11_llS5_llS3_PT12_llPT13_lli
    .private_segment_fixed_size: 0
    .sgpr_count:     40
    .sgpr_spill_count: 0
    .symbol:         _ZN12_GLOBAL__N_127rocblas_gemm_batched_kernelIiLi16ELi16ELi64ELi64ELi4ELi64ELi4ELi4ELi64ELc84ELc78EKaKiiEEvlllT_PT11_llS5_llS3_PT12_llPT13_lli.kd
    .uniform_work_group_size: 1
    .uses_dynamic_stack: false
    .vgpr_count:     64
    .vgpr_spill_count: 0
    .wavefront_size: 32
  - .args:
      - .offset:         0
        .size:           8
        .value_kind:     by_value
      - .offset:         8
        .size:           8
        .value_kind:     by_value
      - .offset:         16
        .size:           8
        .value_kind:     by_value
      - .offset:         24
        .size:           4
        .value_kind:     by_value
      - .address_space:  global
        .offset:         32
        .size:           8
        .value_kind:     global_buffer
      - .offset:         40
        .size:           8
        .value_kind:     by_value
      - .offset:         48
        .size:           8
        .value_kind:     by_value
      - .address_space:  global
        .offset:         56
        .size:           8
        .value_kind:     global_buffer
      - .offset:         64
        .size:           8
        .value_kind:     by_value
      - .offset:         72
        .size:           8
        .value_kind:     by_value
      - .offset:         80
        .size:           4
        .value_kind:     by_value
      - .address_space:  global
        .offset:         88
        .size:           8
        .value_kind:     global_buffer
      - .offset:         96
        .size:           8
        .value_kind:     by_value
      - .offset:         104
        .size:           8
        .value_kind:     by_value
      - .address_space:  global
        .offset:         112
        .size:           8
        .value_kind:     global_buffer
      - .offset:         120
        .size:           8
        .value_kind:     by_value
      - .offset:         128
        .size:           8
        .value_kind:     by_value
      - .offset:         136
        .size:           4
        .value_kind:     by_value
    .group_segment_fixed_size: 2048
    .kernarg_segment_align: 8
    .kernarg_segment_size: 140
    .language:       OpenCL C
    .language_version:
      - 2
      - 0
    .max_flat_workgroup_size: 256
    .name:           _ZN12_GLOBAL__N_127rocblas_gemm_batched_kernelIiLi16ELi16ELi64ELi64ELi4ELi64ELi4ELi4ELi64ELc78ELc84EKaKiiEEvlllT_PT11_llS5_llS3_PT12_llPT13_lli
    .private_segment_fixed_size: 0
    .sgpr_count:     40
    .sgpr_spill_count: 0
    .symbol:         _ZN12_GLOBAL__N_127rocblas_gemm_batched_kernelIiLi16ELi16ELi64ELi64ELi4ELi64ELi4ELi4ELi64ELc78ELc84EKaKiiEEvlllT_PT11_llS5_llS3_PT12_llPT13_lli.kd
    .uniform_work_group_size: 1
    .uses_dynamic_stack: false
    .vgpr_count:     64
    .vgpr_spill_count: 0
    .wavefront_size: 32
  - .args:
      - .offset:         0
        .size:           8
        .value_kind:     by_value
      - .offset:         8
        .size:           8
        .value_kind:     by_value
      - .offset:         16
        .size:           8
        .value_kind:     by_value
      - .offset:         24
        .size:           4
        .value_kind:     by_value
      - .address_space:  global
        .offset:         32
        .size:           8
        .value_kind:     global_buffer
      - .offset:         40
        .size:           8
        .value_kind:     by_value
      - .offset:         48
        .size:           8
        .value_kind:     by_value
      - .address_space:  global
        .offset:         56
        .size:           8
        .value_kind:     global_buffer
      - .offset:         64
        .size:           8
        .value_kind:     by_value
      - .offset:         72
        .size:           8
        .value_kind:     by_value
      - .offset:         80
        .size:           4
        .value_kind:     by_value
      - .address_space:  global
        .offset:         88
        .size:           8
        .value_kind:     global_buffer
      - .offset:         96
        .size:           8
        .value_kind:     by_value
      - .offset:         104
        .size:           8
        .value_kind:     by_value
      - .address_space:  global
        .offset:         112
        .size:           8
        .value_kind:     global_buffer
      - .offset:         120
        .size:           8
        .value_kind:     by_value
      - .offset:         128
        .size:           8
        .value_kind:     by_value
      - .offset:         136
        .size:           4
        .value_kind:     by_value
    .group_segment_fixed_size: 2048
    .kernarg_segment_align: 8
    .kernarg_segment_size: 140
    .language:       OpenCL C
    .language_version:
      - 2
      - 0
    .max_flat_workgroup_size: 256
    .name:           _ZN12_GLOBAL__N_127rocblas_gemm_batched_kernelIiLi16ELi16ELi64ELi64ELi4ELi64ELi4ELi4ELi64ELc84ELc84EKaKiiEEvlllT_PT11_llS5_llS3_PT12_llPT13_lli
    .private_segment_fixed_size: 0
    .sgpr_count:     40
    .sgpr_spill_count: 0
    .symbol:         _ZN12_GLOBAL__N_127rocblas_gemm_batched_kernelIiLi16ELi16ELi64ELi64ELi4ELi64ELi4ELi4ELi64ELc84ELc84EKaKiiEEvlllT_PT11_llS5_llS3_PT12_llPT13_lli.kd
    .uniform_work_group_size: 1
    .uses_dynamic_stack: false
    .vgpr_count:     64
    .vgpr_spill_count: 0
    .wavefront_size: 32
  - .args:
      - .offset:         0
        .size:           8
        .value_kind:     by_value
      - .offset:         8
        .size:           8
        .value_kind:     by_value
      - .offset:         16
        .size:           8
        .value_kind:     by_value
      - .offset:         24
        .size:           4
        .value_kind:     by_value
      - .address_space:  global
        .offset:         32
        .size:           8
        .value_kind:     global_buffer
      - .offset:         40
        .size:           8
        .value_kind:     by_value
      - .offset:         48
        .size:           8
        .value_kind:     by_value
      - .address_space:  global
        .offset:         56
        .size:           8
        .value_kind:     global_buffer
      - .offset:         64
        .size:           8
        .value_kind:     by_value
      - .offset:         72
        .size:           8
        .value_kind:     by_value
      - .offset:         80
        .size:           4
        .value_kind:     by_value
      - .address_space:  global
        .offset:         88
        .size:           8
        .value_kind:     global_buffer
      - .offset:         96
        .size:           8
        .value_kind:     by_value
      - .offset:         104
        .size:           8
        .value_kind:     by_value
      - .address_space:  global
        .offset:         112
        .size:           8
        .value_kind:     global_buffer
      - .offset:         120
        .size:           8
        .value_kind:     by_value
      - .offset:         128
        .size:           8
        .value_kind:     by_value
      - .offset:         136
        .size:           4
        .value_kind:     by_value
    .group_segment_fixed_size: 2048
    .kernarg_segment_align: 8
    .kernarg_segment_size: 140
    .language:       OpenCL C
    .language_version:
      - 2
      - 0
    .max_flat_workgroup_size: 256
    .name:           _ZN12_GLOBAL__N_127rocblas_gemm_batched_kernelIiLi16ELi16ELi64ELi64ELi4ELi64ELi4ELi4ELi64ELc67ELc67EKaKiiEEvlllT_PT11_llS5_llS3_PT12_llPT13_lli
    .private_segment_fixed_size: 0
    .sgpr_count:     40
    .sgpr_spill_count: 0
    .symbol:         _ZN12_GLOBAL__N_127rocblas_gemm_batched_kernelIiLi16ELi16ELi64ELi64ELi4ELi64ELi4ELi4ELi64ELc67ELc67EKaKiiEEvlllT_PT11_llS5_llS3_PT12_llPT13_lli.kd
    .uniform_work_group_size: 1
    .uses_dynamic_stack: false
    .vgpr_count:     64
    .vgpr_spill_count: 0
    .wavefront_size: 32
  - .args:
      - .offset:         0
        .size:           8
        .value_kind:     by_value
      - .offset:         8
        .size:           8
        .value_kind:     by_value
      - .offset:         16
        .size:           8
        .value_kind:     by_value
      - .offset:         24
        .size:           4
        .value_kind:     by_value
      - .address_space:  global
        .offset:         32
        .size:           8
        .value_kind:     global_buffer
      - .offset:         40
        .size:           8
        .value_kind:     by_value
      - .offset:         48
        .size:           8
        .value_kind:     by_value
      - .address_space:  global
        .offset:         56
        .size:           8
        .value_kind:     global_buffer
      - .offset:         64
        .size:           8
        .value_kind:     by_value
      - .offset:         72
        .size:           8
        .value_kind:     by_value
      - .offset:         80
        .size:           4
        .value_kind:     by_value
      - .address_space:  global
        .offset:         88
        .size:           8
        .value_kind:     global_buffer
      - .offset:         96
        .size:           8
        .value_kind:     by_value
      - .offset:         104
        .size:           8
        .value_kind:     by_value
      - .address_space:  global
        .offset:         112
        .size:           8
        .value_kind:     global_buffer
      - .offset:         120
        .size:           8
        .value_kind:     by_value
      - .offset:         128
        .size:           8
        .value_kind:     by_value
      - .offset:         136
        .size:           4
        .value_kind:     by_value
    .group_segment_fixed_size: 2048
    .kernarg_segment_align: 8
    .kernarg_segment_size: 140
    .language:       OpenCL C
    .language_version:
      - 2
      - 0
    .max_flat_workgroup_size: 256
    .name:           _ZN12_GLOBAL__N_127rocblas_gemm_batched_kernelIiLi16ELi16ELi64ELi64ELi4ELi64ELi4ELi4ELi64ELc67ELc78EKaKiiEEvlllT_PT11_llS5_llS3_PT12_llPT13_lli
    .private_segment_fixed_size: 0
    .sgpr_count:     40
    .sgpr_spill_count: 0
    .symbol:         _ZN12_GLOBAL__N_127rocblas_gemm_batched_kernelIiLi16ELi16ELi64ELi64ELi4ELi64ELi4ELi4ELi64ELc67ELc78EKaKiiEEvlllT_PT11_llS5_llS3_PT12_llPT13_lli.kd
    .uniform_work_group_size: 1
    .uses_dynamic_stack: false
    .vgpr_count:     64
    .vgpr_spill_count: 0
    .wavefront_size: 32
  - .args:
      - .offset:         0
        .size:           8
        .value_kind:     by_value
      - .offset:         8
        .size:           8
        .value_kind:     by_value
      - .offset:         16
        .size:           8
        .value_kind:     by_value
      - .offset:         24
        .size:           4
        .value_kind:     by_value
      - .address_space:  global
        .offset:         32
        .size:           8
        .value_kind:     global_buffer
      - .offset:         40
        .size:           8
        .value_kind:     by_value
      - .offset:         48
        .size:           8
        .value_kind:     by_value
      - .address_space:  global
        .offset:         56
        .size:           8
        .value_kind:     global_buffer
      - .offset:         64
        .size:           8
        .value_kind:     by_value
      - .offset:         72
        .size:           8
        .value_kind:     by_value
      - .offset:         80
        .size:           4
        .value_kind:     by_value
      - .address_space:  global
        .offset:         88
        .size:           8
        .value_kind:     global_buffer
      - .offset:         96
        .size:           8
        .value_kind:     by_value
      - .offset:         104
        .size:           8
        .value_kind:     by_value
      - .address_space:  global
        .offset:         112
        .size:           8
        .value_kind:     global_buffer
      - .offset:         120
        .size:           8
        .value_kind:     by_value
      - .offset:         128
        .size:           8
        .value_kind:     by_value
      - .offset:         136
        .size:           4
        .value_kind:     by_value
    .group_segment_fixed_size: 2048
    .kernarg_segment_align: 8
    .kernarg_segment_size: 140
    .language:       OpenCL C
    .language_version:
      - 2
      - 0
    .max_flat_workgroup_size: 256
    .name:           _ZN12_GLOBAL__N_127rocblas_gemm_batched_kernelIiLi16ELi16ELi64ELi64ELi4ELi64ELi4ELi4ELi64ELc67ELc84EKaKiiEEvlllT_PT11_llS5_llS3_PT12_llPT13_lli
    .private_segment_fixed_size: 0
    .sgpr_count:     40
    .sgpr_spill_count: 0
    .symbol:         _ZN12_GLOBAL__N_127rocblas_gemm_batched_kernelIiLi16ELi16ELi64ELi64ELi4ELi64ELi4ELi4ELi64ELc67ELc84EKaKiiEEvlllT_PT11_llS5_llS3_PT12_llPT13_lli.kd
    .uniform_work_group_size: 1
    .uses_dynamic_stack: false
    .vgpr_count:     64
    .vgpr_spill_count: 0
    .wavefront_size: 32
  - .args:
      - .offset:         0
        .size:           8
        .value_kind:     by_value
      - .offset:         8
        .size:           8
        .value_kind:     by_value
      - .offset:         16
        .size:           8
        .value_kind:     by_value
      - .offset:         24
        .size:           4
        .value_kind:     by_value
      - .address_space:  global
        .offset:         32
        .size:           8
        .value_kind:     global_buffer
      - .offset:         40
        .size:           8
        .value_kind:     by_value
      - .offset:         48
        .size:           8
        .value_kind:     by_value
      - .address_space:  global
        .offset:         56
        .size:           8
        .value_kind:     global_buffer
      - .offset:         64
        .size:           8
        .value_kind:     by_value
      - .offset:         72
        .size:           8
        .value_kind:     by_value
      - .offset:         80
        .size:           4
        .value_kind:     by_value
      - .address_space:  global
        .offset:         88
        .size:           8
        .value_kind:     global_buffer
      - .offset:         96
        .size:           8
        .value_kind:     by_value
      - .offset:         104
        .size:           8
        .value_kind:     by_value
      - .address_space:  global
        .offset:         112
        .size:           8
        .value_kind:     global_buffer
      - .offset:         120
        .size:           8
        .value_kind:     by_value
      - .offset:         128
        .size:           8
        .value_kind:     by_value
      - .offset:         136
        .size:           4
        .value_kind:     by_value
    .group_segment_fixed_size: 2048
    .kernarg_segment_align: 8
    .kernarg_segment_size: 140
    .language:       OpenCL C
    .language_version:
      - 2
      - 0
    .max_flat_workgroup_size: 256
    .name:           _ZN12_GLOBAL__N_127rocblas_gemm_batched_kernelIiLi16ELi16ELi64ELi64ELi4ELi64ELi4ELi4ELi64ELc78ELc67EKaKiiEEvlllT_PT11_llS5_llS3_PT12_llPT13_lli
    .private_segment_fixed_size: 0
    .sgpr_count:     40
    .sgpr_spill_count: 0
    .symbol:         _ZN12_GLOBAL__N_127rocblas_gemm_batched_kernelIiLi16ELi16ELi64ELi64ELi4ELi64ELi4ELi4ELi64ELc78ELc67EKaKiiEEvlllT_PT11_llS5_llS3_PT12_llPT13_lli.kd
    .uniform_work_group_size: 1
    .uses_dynamic_stack: false
    .vgpr_count:     64
    .vgpr_spill_count: 0
    .wavefront_size: 32
  - .args:
      - .offset:         0
        .size:           8
        .value_kind:     by_value
      - .offset:         8
        .size:           8
        .value_kind:     by_value
      - .offset:         16
        .size:           8
        .value_kind:     by_value
      - .offset:         24
        .size:           4
        .value_kind:     by_value
      - .address_space:  global
        .offset:         32
        .size:           8
        .value_kind:     global_buffer
      - .offset:         40
        .size:           8
        .value_kind:     by_value
      - .offset:         48
        .size:           8
        .value_kind:     by_value
      - .address_space:  global
        .offset:         56
        .size:           8
        .value_kind:     global_buffer
      - .offset:         64
        .size:           8
        .value_kind:     by_value
      - .offset:         72
        .size:           8
        .value_kind:     by_value
      - .offset:         80
        .size:           4
        .value_kind:     by_value
      - .address_space:  global
        .offset:         88
        .size:           8
        .value_kind:     global_buffer
      - .offset:         96
        .size:           8
        .value_kind:     by_value
      - .offset:         104
        .size:           8
        .value_kind:     by_value
      - .address_space:  global
        .offset:         112
        .size:           8
        .value_kind:     global_buffer
      - .offset:         120
        .size:           8
        .value_kind:     by_value
      - .offset:         128
        .size:           8
        .value_kind:     by_value
      - .offset:         136
        .size:           4
        .value_kind:     by_value
    .group_segment_fixed_size: 2048
    .kernarg_segment_align: 8
    .kernarg_segment_size: 140
    .language:       OpenCL C
    .language_version:
      - 2
      - 0
    .max_flat_workgroup_size: 256
    .name:           _ZN12_GLOBAL__N_127rocblas_gemm_batched_kernelIiLi16ELi16ELi64ELi64ELi4ELi64ELi4ELi4ELi64ELc84ELc67EKaKiiEEvlllT_PT11_llS5_llS3_PT12_llPT13_lli
    .private_segment_fixed_size: 0
    .sgpr_count:     40
    .sgpr_spill_count: 0
    .symbol:         _ZN12_GLOBAL__N_127rocblas_gemm_batched_kernelIiLi16ELi16ELi64ELi64ELi4ELi64ELi4ELi4ELi64ELc84ELc67EKaKiiEEvlllT_PT11_llS5_llS3_PT12_llPT13_lli.kd
    .uniform_work_group_size: 1
    .uses_dynamic_stack: false
    .vgpr_count:     64
    .vgpr_spill_count: 0
    .wavefront_size: 32
  - .args:
      - .offset:         0
        .size:           8
        .value_kind:     by_value
      - .offset:         8
        .size:           8
        .value_kind:     by_value
      - .offset:         16
        .size:           8
        .value_kind:     by_value
      - .offset:         24
        .size:           4
        .value_kind:     by_value
      - .address_space:  global
        .offset:         32
        .size:           8
        .value_kind:     global_buffer
      - .offset:         40
        .size:           8
        .value_kind:     by_value
      - .offset:         48
        .size:           8
        .value_kind:     by_value
      - .address_space:  global
        .offset:         56
        .size:           8
        .value_kind:     global_buffer
      - .offset:         64
        .size:           8
        .value_kind:     by_value
      - .offset:         72
        .size:           8
        .value_kind:     by_value
      - .offset:         80
        .size:           4
        .value_kind:     by_value
      - .address_space:  global
        .offset:         88
        .size:           8
        .value_kind:     global_buffer
      - .offset:         96
        .size:           8
        .value_kind:     by_value
      - .offset:         104
        .size:           8
        .value_kind:     by_value
      - .address_space:  global
        .offset:         112
        .size:           8
        .value_kind:     global_buffer
      - .offset:         120
        .size:           8
        .value_kind:     by_value
      - .offset:         128
        .size:           8
        .value_kind:     by_value
      - .offset:         136
        .size:           4
        .value_kind:     by_value
    .group_segment_fixed_size: 2048
    .kernarg_segment_align: 8
    .kernarg_segment_size: 140
    .language:       OpenCL C
    .language_version:
      - 2
      - 0
    .max_flat_workgroup_size: 256
    .name:           _ZN12_GLOBAL__N_127rocblas_gemm_batched_kernelIiLi16ELi16ELi32ELi32ELi8ELi32ELi8ELi8ELi32ELc78ELc78EKaKiiEEvlllT_PT11_llS5_llS3_PT12_llPT13_lli
    .private_segment_fixed_size: 0
    .sgpr_count:     38
    .sgpr_spill_count: 0
    .symbol:         _ZN12_GLOBAL__N_127rocblas_gemm_batched_kernelIiLi16ELi16ELi32ELi32ELi8ELi32ELi8ELi8ELi32ELc78ELc78EKaKiiEEvlllT_PT11_llS5_llS3_PT12_llPT13_lli.kd
    .uniform_work_group_size: 1
    .uses_dynamic_stack: false
    .vgpr_count:     42
    .vgpr_spill_count: 0
    .wavefront_size: 32
  - .args:
      - .offset:         0
        .size:           8
        .value_kind:     by_value
      - .offset:         8
        .size:           8
        .value_kind:     by_value
      - .offset:         16
        .size:           8
        .value_kind:     by_value
      - .offset:         24
        .size:           4
        .value_kind:     by_value
      - .address_space:  global
        .offset:         32
        .size:           8
        .value_kind:     global_buffer
      - .offset:         40
        .size:           8
        .value_kind:     by_value
      - .offset:         48
        .size:           8
        .value_kind:     by_value
      - .address_space:  global
        .offset:         56
        .size:           8
        .value_kind:     global_buffer
      - .offset:         64
        .size:           8
        .value_kind:     by_value
      - .offset:         72
        .size:           8
        .value_kind:     by_value
      - .offset:         80
        .size:           4
        .value_kind:     by_value
      - .address_space:  global
        .offset:         88
        .size:           8
        .value_kind:     global_buffer
      - .offset:         96
        .size:           8
        .value_kind:     by_value
      - .offset:         104
        .size:           8
        .value_kind:     by_value
      - .address_space:  global
        .offset:         112
        .size:           8
        .value_kind:     global_buffer
      - .offset:         120
        .size:           8
        .value_kind:     by_value
      - .offset:         128
        .size:           8
        .value_kind:     by_value
      - .offset:         136
        .size:           4
        .value_kind:     by_value
    .group_segment_fixed_size: 2048
    .kernarg_segment_align: 8
    .kernarg_segment_size: 140
    .language:       OpenCL C
    .language_version:
      - 2
      - 0
    .max_flat_workgroup_size: 256
    .name:           _ZN12_GLOBAL__N_127rocblas_gemm_batched_kernelIiLi16ELi16ELi32ELi32ELi8ELi32ELi8ELi8ELi32ELc84ELc78EKaKiiEEvlllT_PT11_llS5_llS3_PT12_llPT13_lli
    .private_segment_fixed_size: 0
    .sgpr_count:     40
    .sgpr_spill_count: 0
    .symbol:         _ZN12_GLOBAL__N_127rocblas_gemm_batched_kernelIiLi16ELi16ELi32ELi32ELi8ELi32ELi8ELi8ELi32ELc84ELc78EKaKiiEEvlllT_PT11_llS5_llS3_PT12_llPT13_lli.kd
    .uniform_work_group_size: 1
    .uses_dynamic_stack: false
    .vgpr_count:     42
    .vgpr_spill_count: 0
    .wavefront_size: 32
  - .args:
      - .offset:         0
        .size:           8
        .value_kind:     by_value
      - .offset:         8
        .size:           8
        .value_kind:     by_value
      - .offset:         16
        .size:           8
        .value_kind:     by_value
      - .offset:         24
        .size:           4
        .value_kind:     by_value
      - .address_space:  global
        .offset:         32
        .size:           8
        .value_kind:     global_buffer
      - .offset:         40
        .size:           8
        .value_kind:     by_value
      - .offset:         48
        .size:           8
        .value_kind:     by_value
      - .address_space:  global
        .offset:         56
        .size:           8
        .value_kind:     global_buffer
      - .offset:         64
        .size:           8
        .value_kind:     by_value
      - .offset:         72
        .size:           8
        .value_kind:     by_value
      - .offset:         80
        .size:           4
        .value_kind:     by_value
      - .address_space:  global
        .offset:         88
        .size:           8
        .value_kind:     global_buffer
      - .offset:         96
        .size:           8
        .value_kind:     by_value
      - .offset:         104
        .size:           8
        .value_kind:     by_value
      - .address_space:  global
        .offset:         112
        .size:           8
        .value_kind:     global_buffer
      - .offset:         120
        .size:           8
        .value_kind:     by_value
      - .offset:         128
        .size:           8
        .value_kind:     by_value
      - .offset:         136
        .size:           4
        .value_kind:     by_value
    .group_segment_fixed_size: 2048
    .kernarg_segment_align: 8
    .kernarg_segment_size: 140
    .language:       OpenCL C
    .language_version:
      - 2
      - 0
    .max_flat_workgroup_size: 256
    .name:           _ZN12_GLOBAL__N_127rocblas_gemm_batched_kernelIiLi16ELi16ELi32ELi32ELi8ELi32ELi8ELi8ELi32ELc78ELc84EKaKiiEEvlllT_PT11_llS5_llS3_PT12_llPT13_lli
    .private_segment_fixed_size: 0
    .sgpr_count:     40
    .sgpr_spill_count: 0
    .symbol:         _ZN12_GLOBAL__N_127rocblas_gemm_batched_kernelIiLi16ELi16ELi32ELi32ELi8ELi32ELi8ELi8ELi32ELc78ELc84EKaKiiEEvlllT_PT11_llS5_llS3_PT12_llPT13_lli.kd
    .uniform_work_group_size: 1
    .uses_dynamic_stack: false
    .vgpr_count:     42
    .vgpr_spill_count: 0
    .wavefront_size: 32
  - .args:
      - .offset:         0
        .size:           8
        .value_kind:     by_value
      - .offset:         8
        .size:           8
        .value_kind:     by_value
      - .offset:         16
        .size:           8
        .value_kind:     by_value
      - .offset:         24
        .size:           4
        .value_kind:     by_value
      - .address_space:  global
        .offset:         32
        .size:           8
        .value_kind:     global_buffer
      - .offset:         40
        .size:           8
        .value_kind:     by_value
      - .offset:         48
        .size:           8
        .value_kind:     by_value
      - .address_space:  global
        .offset:         56
        .size:           8
        .value_kind:     global_buffer
      - .offset:         64
        .size:           8
        .value_kind:     by_value
      - .offset:         72
        .size:           8
        .value_kind:     by_value
      - .offset:         80
        .size:           4
        .value_kind:     by_value
      - .address_space:  global
        .offset:         88
        .size:           8
        .value_kind:     global_buffer
      - .offset:         96
        .size:           8
        .value_kind:     by_value
      - .offset:         104
        .size:           8
        .value_kind:     by_value
      - .address_space:  global
        .offset:         112
        .size:           8
        .value_kind:     global_buffer
      - .offset:         120
        .size:           8
        .value_kind:     by_value
      - .offset:         128
        .size:           8
        .value_kind:     by_value
      - .offset:         136
        .size:           4
        .value_kind:     by_value
    .group_segment_fixed_size: 2048
    .kernarg_segment_align: 8
    .kernarg_segment_size: 140
    .language:       OpenCL C
    .language_version:
      - 2
      - 0
    .max_flat_workgroup_size: 256
    .name:           _ZN12_GLOBAL__N_127rocblas_gemm_batched_kernelIiLi16ELi16ELi32ELi32ELi8ELi32ELi8ELi8ELi32ELc84ELc84EKaKiiEEvlllT_PT11_llS5_llS3_PT12_llPT13_lli
    .private_segment_fixed_size: 0
    .sgpr_count:     40
    .sgpr_spill_count: 0
    .symbol:         _ZN12_GLOBAL__N_127rocblas_gemm_batched_kernelIiLi16ELi16ELi32ELi32ELi8ELi32ELi8ELi8ELi32ELc84ELc84EKaKiiEEvlllT_PT11_llS5_llS3_PT12_llPT13_lli.kd
    .uniform_work_group_size: 1
    .uses_dynamic_stack: false
    .vgpr_count:     42
    .vgpr_spill_count: 0
    .wavefront_size: 32
  - .args:
      - .offset:         0
        .size:           8
        .value_kind:     by_value
      - .offset:         8
        .size:           8
        .value_kind:     by_value
      - .offset:         16
        .size:           8
        .value_kind:     by_value
      - .offset:         24
        .size:           4
        .value_kind:     by_value
      - .address_space:  global
        .offset:         32
        .size:           8
        .value_kind:     global_buffer
      - .offset:         40
        .size:           8
        .value_kind:     by_value
      - .offset:         48
        .size:           8
        .value_kind:     by_value
      - .address_space:  global
        .offset:         56
        .size:           8
        .value_kind:     global_buffer
      - .offset:         64
        .size:           8
        .value_kind:     by_value
      - .offset:         72
        .size:           8
        .value_kind:     by_value
      - .offset:         80
        .size:           4
        .value_kind:     by_value
      - .address_space:  global
        .offset:         88
        .size:           8
        .value_kind:     global_buffer
      - .offset:         96
        .size:           8
        .value_kind:     by_value
      - .offset:         104
        .size:           8
        .value_kind:     by_value
      - .address_space:  global
        .offset:         112
        .size:           8
        .value_kind:     global_buffer
      - .offset:         120
        .size:           8
        .value_kind:     by_value
      - .offset:         128
        .size:           8
        .value_kind:     by_value
      - .offset:         136
        .size:           4
        .value_kind:     by_value
    .group_segment_fixed_size: 2048
    .kernarg_segment_align: 8
    .kernarg_segment_size: 140
    .language:       OpenCL C
    .language_version:
      - 2
      - 0
    .max_flat_workgroup_size: 256
    .name:           _ZN12_GLOBAL__N_127rocblas_gemm_batched_kernelIiLi16ELi16ELi32ELi32ELi8ELi32ELi8ELi8ELi32ELc67ELc67EKaKiiEEvlllT_PT11_llS5_llS3_PT12_llPT13_lli
    .private_segment_fixed_size: 0
    .sgpr_count:     40
    .sgpr_spill_count: 0
    .symbol:         _ZN12_GLOBAL__N_127rocblas_gemm_batched_kernelIiLi16ELi16ELi32ELi32ELi8ELi32ELi8ELi8ELi32ELc67ELc67EKaKiiEEvlllT_PT11_llS5_llS3_PT12_llPT13_lli.kd
    .uniform_work_group_size: 1
    .uses_dynamic_stack: false
    .vgpr_count:     42
    .vgpr_spill_count: 0
    .wavefront_size: 32
  - .args:
      - .offset:         0
        .size:           8
        .value_kind:     by_value
      - .offset:         8
        .size:           8
        .value_kind:     by_value
      - .offset:         16
        .size:           8
        .value_kind:     by_value
      - .offset:         24
        .size:           4
        .value_kind:     by_value
      - .address_space:  global
        .offset:         32
        .size:           8
        .value_kind:     global_buffer
      - .offset:         40
        .size:           8
        .value_kind:     by_value
      - .offset:         48
        .size:           8
        .value_kind:     by_value
      - .address_space:  global
        .offset:         56
        .size:           8
        .value_kind:     global_buffer
      - .offset:         64
        .size:           8
        .value_kind:     by_value
      - .offset:         72
        .size:           8
        .value_kind:     by_value
      - .offset:         80
        .size:           4
        .value_kind:     by_value
      - .address_space:  global
        .offset:         88
        .size:           8
        .value_kind:     global_buffer
      - .offset:         96
        .size:           8
        .value_kind:     by_value
      - .offset:         104
        .size:           8
        .value_kind:     by_value
      - .address_space:  global
        .offset:         112
        .size:           8
        .value_kind:     global_buffer
      - .offset:         120
        .size:           8
        .value_kind:     by_value
      - .offset:         128
        .size:           8
        .value_kind:     by_value
      - .offset:         136
        .size:           4
        .value_kind:     by_value
    .group_segment_fixed_size: 2048
    .kernarg_segment_align: 8
    .kernarg_segment_size: 140
    .language:       OpenCL C
    .language_version:
      - 2
      - 0
    .max_flat_workgroup_size: 256
    .name:           _ZN12_GLOBAL__N_127rocblas_gemm_batched_kernelIiLi16ELi16ELi32ELi32ELi8ELi32ELi8ELi8ELi32ELc67ELc78EKaKiiEEvlllT_PT11_llS5_llS3_PT12_llPT13_lli
    .private_segment_fixed_size: 0
    .sgpr_count:     40
    .sgpr_spill_count: 0
    .symbol:         _ZN12_GLOBAL__N_127rocblas_gemm_batched_kernelIiLi16ELi16ELi32ELi32ELi8ELi32ELi8ELi8ELi32ELc67ELc78EKaKiiEEvlllT_PT11_llS5_llS3_PT12_llPT13_lli.kd
    .uniform_work_group_size: 1
    .uses_dynamic_stack: false
    .vgpr_count:     42
    .vgpr_spill_count: 0
    .wavefront_size: 32
  - .args:
      - .offset:         0
        .size:           8
        .value_kind:     by_value
      - .offset:         8
        .size:           8
        .value_kind:     by_value
      - .offset:         16
        .size:           8
        .value_kind:     by_value
      - .offset:         24
        .size:           4
        .value_kind:     by_value
      - .address_space:  global
        .offset:         32
        .size:           8
        .value_kind:     global_buffer
      - .offset:         40
        .size:           8
        .value_kind:     by_value
      - .offset:         48
        .size:           8
        .value_kind:     by_value
      - .address_space:  global
        .offset:         56
        .size:           8
        .value_kind:     global_buffer
      - .offset:         64
        .size:           8
        .value_kind:     by_value
      - .offset:         72
        .size:           8
        .value_kind:     by_value
      - .offset:         80
        .size:           4
        .value_kind:     by_value
      - .address_space:  global
        .offset:         88
        .size:           8
        .value_kind:     global_buffer
      - .offset:         96
        .size:           8
        .value_kind:     by_value
      - .offset:         104
        .size:           8
        .value_kind:     by_value
      - .address_space:  global
        .offset:         112
        .size:           8
        .value_kind:     global_buffer
      - .offset:         120
        .size:           8
        .value_kind:     by_value
      - .offset:         128
        .size:           8
        .value_kind:     by_value
      - .offset:         136
        .size:           4
        .value_kind:     by_value
    .group_segment_fixed_size: 2048
    .kernarg_segment_align: 8
    .kernarg_segment_size: 140
    .language:       OpenCL C
    .language_version:
      - 2
      - 0
    .max_flat_workgroup_size: 256
    .name:           _ZN12_GLOBAL__N_127rocblas_gemm_batched_kernelIiLi16ELi16ELi32ELi32ELi8ELi32ELi8ELi8ELi32ELc67ELc84EKaKiiEEvlllT_PT11_llS5_llS3_PT12_llPT13_lli
    .private_segment_fixed_size: 0
    .sgpr_count:     40
    .sgpr_spill_count: 0
    .symbol:         _ZN12_GLOBAL__N_127rocblas_gemm_batched_kernelIiLi16ELi16ELi32ELi32ELi8ELi32ELi8ELi8ELi32ELc67ELc84EKaKiiEEvlllT_PT11_llS5_llS3_PT12_llPT13_lli.kd
    .uniform_work_group_size: 1
    .uses_dynamic_stack: false
    .vgpr_count:     42
    .vgpr_spill_count: 0
    .wavefront_size: 32
  - .args:
      - .offset:         0
        .size:           8
        .value_kind:     by_value
      - .offset:         8
        .size:           8
        .value_kind:     by_value
      - .offset:         16
        .size:           8
        .value_kind:     by_value
      - .offset:         24
        .size:           4
        .value_kind:     by_value
      - .address_space:  global
        .offset:         32
        .size:           8
        .value_kind:     global_buffer
      - .offset:         40
        .size:           8
        .value_kind:     by_value
      - .offset:         48
        .size:           8
        .value_kind:     by_value
      - .address_space:  global
        .offset:         56
        .size:           8
        .value_kind:     global_buffer
      - .offset:         64
        .size:           8
        .value_kind:     by_value
      - .offset:         72
        .size:           8
        .value_kind:     by_value
      - .offset:         80
        .size:           4
        .value_kind:     by_value
      - .address_space:  global
        .offset:         88
        .size:           8
        .value_kind:     global_buffer
      - .offset:         96
        .size:           8
        .value_kind:     by_value
      - .offset:         104
        .size:           8
        .value_kind:     by_value
      - .address_space:  global
        .offset:         112
        .size:           8
        .value_kind:     global_buffer
      - .offset:         120
        .size:           8
        .value_kind:     by_value
      - .offset:         128
        .size:           8
        .value_kind:     by_value
      - .offset:         136
        .size:           4
        .value_kind:     by_value
    .group_segment_fixed_size: 2048
    .kernarg_segment_align: 8
    .kernarg_segment_size: 140
    .language:       OpenCL C
    .language_version:
      - 2
      - 0
    .max_flat_workgroup_size: 256
    .name:           _ZN12_GLOBAL__N_127rocblas_gemm_batched_kernelIiLi16ELi16ELi32ELi32ELi8ELi32ELi8ELi8ELi32ELc78ELc67EKaKiiEEvlllT_PT11_llS5_llS3_PT12_llPT13_lli
    .private_segment_fixed_size: 0
    .sgpr_count:     40
    .sgpr_spill_count: 0
    .symbol:         _ZN12_GLOBAL__N_127rocblas_gemm_batched_kernelIiLi16ELi16ELi32ELi32ELi8ELi32ELi8ELi8ELi32ELc78ELc67EKaKiiEEvlllT_PT11_llS5_llS3_PT12_llPT13_lli.kd
    .uniform_work_group_size: 1
    .uses_dynamic_stack: false
    .vgpr_count:     42
    .vgpr_spill_count: 0
    .wavefront_size: 32
  - .args:
      - .offset:         0
        .size:           8
        .value_kind:     by_value
      - .offset:         8
        .size:           8
        .value_kind:     by_value
      - .offset:         16
        .size:           8
        .value_kind:     by_value
      - .offset:         24
        .size:           4
        .value_kind:     by_value
      - .address_space:  global
        .offset:         32
        .size:           8
        .value_kind:     global_buffer
      - .offset:         40
        .size:           8
        .value_kind:     by_value
      - .offset:         48
        .size:           8
        .value_kind:     by_value
      - .address_space:  global
        .offset:         56
        .size:           8
        .value_kind:     global_buffer
      - .offset:         64
        .size:           8
        .value_kind:     by_value
      - .offset:         72
        .size:           8
        .value_kind:     by_value
      - .offset:         80
        .size:           4
        .value_kind:     by_value
      - .address_space:  global
        .offset:         88
        .size:           8
        .value_kind:     global_buffer
      - .offset:         96
        .size:           8
        .value_kind:     by_value
      - .offset:         104
        .size:           8
        .value_kind:     by_value
      - .address_space:  global
        .offset:         112
        .size:           8
        .value_kind:     global_buffer
      - .offset:         120
        .size:           8
        .value_kind:     by_value
      - .offset:         128
        .size:           8
        .value_kind:     by_value
      - .offset:         136
        .size:           4
        .value_kind:     by_value
    .group_segment_fixed_size: 2048
    .kernarg_segment_align: 8
    .kernarg_segment_size: 140
    .language:       OpenCL C
    .language_version:
      - 2
      - 0
    .max_flat_workgroup_size: 256
    .name:           _ZN12_GLOBAL__N_127rocblas_gemm_batched_kernelIiLi16ELi16ELi32ELi32ELi8ELi32ELi8ELi8ELi32ELc84ELc67EKaKiiEEvlllT_PT11_llS5_llS3_PT12_llPT13_lli
    .private_segment_fixed_size: 0
    .sgpr_count:     40
    .sgpr_spill_count: 0
    .symbol:         _ZN12_GLOBAL__N_127rocblas_gemm_batched_kernelIiLi16ELi16ELi32ELi32ELi8ELi32ELi8ELi8ELi32ELc84ELc67EKaKiiEEvlllT_PT11_llS5_llS3_PT12_llPT13_lli.kd
    .uniform_work_group_size: 1
    .uses_dynamic_stack: false
    .vgpr_count:     42
    .vgpr_spill_count: 0
    .wavefront_size: 32
  - .args:
      - .offset:         0
        .size:           8
        .value_kind:     by_value
      - .offset:         8
        .size:           8
        .value_kind:     by_value
      - .offset:         16
        .size:           8
        .value_kind:     by_value
      - .offset:         24
        .size:           4
        .value_kind:     by_value
      - .address_space:  global
        .offset:         32
        .size:           8
        .value_kind:     global_buffer
      - .offset:         40
        .size:           8
        .value_kind:     by_value
      - .offset:         48
        .size:           8
        .value_kind:     by_value
      - .address_space:  global
        .offset:         56
        .size:           8
        .value_kind:     global_buffer
      - .offset:         64
        .size:           8
        .value_kind:     by_value
      - .offset:         72
        .size:           8
        .value_kind:     by_value
      - .offset:         80
        .size:           4
        .value_kind:     by_value
      - .address_space:  global
        .offset:         88
        .size:           8
        .value_kind:     global_buffer
      - .offset:         96
        .size:           8
        .value_kind:     by_value
      - .offset:         104
        .size:           8
        .value_kind:     by_value
      - .address_space:  global
        .offset:         112
        .size:           8
        .value_kind:     global_buffer
      - .offset:         120
        .size:           8
        .value_kind:     by_value
      - .offset:         128
        .size:           8
        .value_kind:     by_value
      - .offset:         136
        .size:           4
        .value_kind:     by_value
    .group_segment_fixed_size: 2048
    .kernarg_segment_align: 8
    .kernarg_segment_size: 140
    .language:       OpenCL C
    .language_version:
      - 2
      - 0
    .max_flat_workgroup_size: 256
    .name:           _ZN12_GLOBAL__N_135rocblas_gemm_batched_general_kernelIiLi16ELi16ELi32ELi32ELi8ELi32ELi8ELi8ELi32ELc78ELc78EKaKiiEEvlllT_PT11_llS5_llS3_PT12_llPT13_lli
    .private_segment_fixed_size: 0
    .sgpr_count:     44
    .sgpr_spill_count: 0
    .symbol:         _ZN12_GLOBAL__N_135rocblas_gemm_batched_general_kernelIiLi16ELi16ELi32ELi32ELi8ELi32ELi8ELi8ELi32ELc78ELc78EKaKiiEEvlllT_PT11_llS5_llS3_PT12_llPT13_lli.kd
    .uniform_work_group_size: 1
    .uses_dynamic_stack: false
    .vgpr_count:     48
    .vgpr_spill_count: 0
    .wavefront_size: 32
  - .args:
      - .offset:         0
        .size:           8
        .value_kind:     by_value
      - .offset:         8
        .size:           8
        .value_kind:     by_value
      - .offset:         16
        .size:           8
        .value_kind:     by_value
      - .offset:         24
        .size:           4
        .value_kind:     by_value
      - .address_space:  global
        .offset:         32
        .size:           8
        .value_kind:     global_buffer
      - .offset:         40
        .size:           8
        .value_kind:     by_value
      - .offset:         48
        .size:           8
        .value_kind:     by_value
      - .address_space:  global
        .offset:         56
        .size:           8
        .value_kind:     global_buffer
      - .offset:         64
        .size:           8
        .value_kind:     by_value
      - .offset:         72
        .size:           8
        .value_kind:     by_value
      - .offset:         80
        .size:           4
        .value_kind:     by_value
      - .address_space:  global
        .offset:         88
        .size:           8
        .value_kind:     global_buffer
      - .offset:         96
        .size:           8
        .value_kind:     by_value
      - .offset:         104
        .size:           8
        .value_kind:     by_value
      - .address_space:  global
        .offset:         112
        .size:           8
        .value_kind:     global_buffer
      - .offset:         120
        .size:           8
        .value_kind:     by_value
      - .offset:         128
        .size:           8
        .value_kind:     by_value
      - .offset:         136
        .size:           4
        .value_kind:     by_value
    .group_segment_fixed_size: 2048
    .kernarg_segment_align: 8
    .kernarg_segment_size: 140
    .language:       OpenCL C
    .language_version:
      - 2
      - 0
    .max_flat_workgroup_size: 256
    .name:           _ZN12_GLOBAL__N_135rocblas_gemm_batched_general_kernelIiLi16ELi16ELi32ELi32ELi8ELi32ELi8ELi8ELi32ELc84ELc78EKaKiiEEvlllT_PT11_llS5_llS3_PT12_llPT13_lli
    .private_segment_fixed_size: 0
    .sgpr_count:     42
    .sgpr_spill_count: 0
    .symbol:         _ZN12_GLOBAL__N_135rocblas_gemm_batched_general_kernelIiLi16ELi16ELi32ELi32ELi8ELi32ELi8ELi8ELi32ELc84ELc78EKaKiiEEvlllT_PT11_llS5_llS3_PT12_llPT13_lli.kd
    .uniform_work_group_size: 1
    .uses_dynamic_stack: false
    .vgpr_count:     48
    .vgpr_spill_count: 0
    .wavefront_size: 32
  - .args:
      - .offset:         0
        .size:           8
        .value_kind:     by_value
      - .offset:         8
        .size:           8
        .value_kind:     by_value
      - .offset:         16
        .size:           8
        .value_kind:     by_value
      - .offset:         24
        .size:           4
        .value_kind:     by_value
      - .address_space:  global
        .offset:         32
        .size:           8
        .value_kind:     global_buffer
      - .offset:         40
        .size:           8
        .value_kind:     by_value
      - .offset:         48
        .size:           8
        .value_kind:     by_value
      - .address_space:  global
        .offset:         56
        .size:           8
        .value_kind:     global_buffer
      - .offset:         64
        .size:           8
        .value_kind:     by_value
      - .offset:         72
        .size:           8
        .value_kind:     by_value
      - .offset:         80
        .size:           4
        .value_kind:     by_value
      - .address_space:  global
        .offset:         88
        .size:           8
        .value_kind:     global_buffer
      - .offset:         96
        .size:           8
        .value_kind:     by_value
      - .offset:         104
        .size:           8
        .value_kind:     by_value
      - .address_space:  global
        .offset:         112
        .size:           8
        .value_kind:     global_buffer
      - .offset:         120
        .size:           8
        .value_kind:     by_value
      - .offset:         128
        .size:           8
        .value_kind:     by_value
      - .offset:         136
        .size:           4
        .value_kind:     by_value
    .group_segment_fixed_size: 2048
    .kernarg_segment_align: 8
    .kernarg_segment_size: 140
    .language:       OpenCL C
    .language_version:
      - 2
      - 0
    .max_flat_workgroup_size: 256
    .name:           _ZN12_GLOBAL__N_135rocblas_gemm_batched_general_kernelIiLi16ELi16ELi32ELi32ELi8ELi32ELi8ELi8ELi32ELc78ELc84EKaKiiEEvlllT_PT11_llS5_llS3_PT12_llPT13_lli
    .private_segment_fixed_size: 0
    .sgpr_count:     46
    .sgpr_spill_count: 0
    .symbol:         _ZN12_GLOBAL__N_135rocblas_gemm_batched_general_kernelIiLi16ELi16ELi32ELi32ELi8ELi32ELi8ELi8ELi32ELc78ELc84EKaKiiEEvlllT_PT11_llS5_llS3_PT12_llPT13_lli.kd
    .uniform_work_group_size: 1
    .uses_dynamic_stack: false
    .vgpr_count:     48
    .vgpr_spill_count: 0
    .wavefront_size: 32
  - .args:
      - .offset:         0
        .size:           8
        .value_kind:     by_value
      - .offset:         8
        .size:           8
        .value_kind:     by_value
      - .offset:         16
        .size:           8
        .value_kind:     by_value
      - .offset:         24
        .size:           4
        .value_kind:     by_value
      - .address_space:  global
        .offset:         32
        .size:           8
        .value_kind:     global_buffer
      - .offset:         40
        .size:           8
        .value_kind:     by_value
      - .offset:         48
        .size:           8
        .value_kind:     by_value
      - .address_space:  global
        .offset:         56
        .size:           8
        .value_kind:     global_buffer
      - .offset:         64
        .size:           8
        .value_kind:     by_value
      - .offset:         72
        .size:           8
        .value_kind:     by_value
      - .offset:         80
        .size:           4
        .value_kind:     by_value
      - .address_space:  global
        .offset:         88
        .size:           8
        .value_kind:     global_buffer
      - .offset:         96
        .size:           8
        .value_kind:     by_value
      - .offset:         104
        .size:           8
        .value_kind:     by_value
      - .address_space:  global
        .offset:         112
        .size:           8
        .value_kind:     global_buffer
      - .offset:         120
        .size:           8
        .value_kind:     by_value
      - .offset:         128
        .size:           8
        .value_kind:     by_value
      - .offset:         136
        .size:           4
        .value_kind:     by_value
    .group_segment_fixed_size: 2048
    .kernarg_segment_align: 8
    .kernarg_segment_size: 140
    .language:       OpenCL C
    .language_version:
      - 2
      - 0
    .max_flat_workgroup_size: 256
    .name:           _ZN12_GLOBAL__N_135rocblas_gemm_batched_general_kernelIiLi16ELi16ELi32ELi32ELi8ELi32ELi8ELi8ELi32ELc84ELc84EKaKiiEEvlllT_PT11_llS5_llS3_PT12_llPT13_lli
    .private_segment_fixed_size: 0
    .sgpr_count:     46
    .sgpr_spill_count: 0
    .symbol:         _ZN12_GLOBAL__N_135rocblas_gemm_batched_general_kernelIiLi16ELi16ELi32ELi32ELi8ELi32ELi8ELi8ELi32ELc84ELc84EKaKiiEEvlllT_PT11_llS5_llS3_PT12_llPT13_lli.kd
    .uniform_work_group_size: 1
    .uses_dynamic_stack: false
    .vgpr_count:     48
    .vgpr_spill_count: 0
    .wavefront_size: 32
  - .args:
      - .offset:         0
        .size:           8
        .value_kind:     by_value
      - .offset:         8
        .size:           8
        .value_kind:     by_value
      - .offset:         16
        .size:           8
        .value_kind:     by_value
      - .offset:         24
        .size:           4
        .value_kind:     by_value
      - .address_space:  global
        .offset:         32
        .size:           8
        .value_kind:     global_buffer
      - .offset:         40
        .size:           8
        .value_kind:     by_value
      - .offset:         48
        .size:           8
        .value_kind:     by_value
      - .address_space:  global
        .offset:         56
        .size:           8
        .value_kind:     global_buffer
      - .offset:         64
        .size:           8
        .value_kind:     by_value
      - .offset:         72
        .size:           8
        .value_kind:     by_value
      - .offset:         80
        .size:           4
        .value_kind:     by_value
      - .address_space:  global
        .offset:         88
        .size:           8
        .value_kind:     global_buffer
      - .offset:         96
        .size:           8
        .value_kind:     by_value
      - .offset:         104
        .size:           8
        .value_kind:     by_value
      - .address_space:  global
        .offset:         112
        .size:           8
        .value_kind:     global_buffer
      - .offset:         120
        .size:           8
        .value_kind:     by_value
      - .offset:         128
        .size:           8
        .value_kind:     by_value
      - .offset:         136
        .size:           4
        .value_kind:     by_value
    .group_segment_fixed_size: 2048
    .kernarg_segment_align: 8
    .kernarg_segment_size: 140
    .language:       OpenCL C
    .language_version:
      - 2
      - 0
    .max_flat_workgroup_size: 256
    .name:           _ZN12_GLOBAL__N_135rocblas_gemm_batched_general_kernelIiLi16ELi16ELi32ELi32ELi8ELi32ELi8ELi8ELi32ELc67ELc67EKaKiiEEvlllT_PT11_llS5_llS3_PT12_llPT13_lli
    .private_segment_fixed_size: 0
    .sgpr_count:     46
    .sgpr_spill_count: 0
    .symbol:         _ZN12_GLOBAL__N_135rocblas_gemm_batched_general_kernelIiLi16ELi16ELi32ELi32ELi8ELi32ELi8ELi8ELi32ELc67ELc67EKaKiiEEvlllT_PT11_llS5_llS3_PT12_llPT13_lli.kd
    .uniform_work_group_size: 1
    .uses_dynamic_stack: false
    .vgpr_count:     48
    .vgpr_spill_count: 0
    .wavefront_size: 32
  - .args:
      - .offset:         0
        .size:           8
        .value_kind:     by_value
      - .offset:         8
        .size:           8
        .value_kind:     by_value
      - .offset:         16
        .size:           8
        .value_kind:     by_value
      - .offset:         24
        .size:           4
        .value_kind:     by_value
      - .address_space:  global
        .offset:         32
        .size:           8
        .value_kind:     global_buffer
      - .offset:         40
        .size:           8
        .value_kind:     by_value
      - .offset:         48
        .size:           8
        .value_kind:     by_value
      - .address_space:  global
        .offset:         56
        .size:           8
        .value_kind:     global_buffer
      - .offset:         64
        .size:           8
        .value_kind:     by_value
      - .offset:         72
        .size:           8
        .value_kind:     by_value
      - .offset:         80
        .size:           4
        .value_kind:     by_value
      - .address_space:  global
        .offset:         88
        .size:           8
        .value_kind:     global_buffer
      - .offset:         96
        .size:           8
        .value_kind:     by_value
      - .offset:         104
        .size:           8
        .value_kind:     by_value
      - .address_space:  global
        .offset:         112
        .size:           8
        .value_kind:     global_buffer
      - .offset:         120
        .size:           8
        .value_kind:     by_value
      - .offset:         128
        .size:           8
        .value_kind:     by_value
      - .offset:         136
        .size:           4
        .value_kind:     by_value
    .group_segment_fixed_size: 2048
    .kernarg_segment_align: 8
    .kernarg_segment_size: 140
    .language:       OpenCL C
    .language_version:
      - 2
      - 0
    .max_flat_workgroup_size: 256
    .name:           _ZN12_GLOBAL__N_135rocblas_gemm_batched_general_kernelIiLi16ELi16ELi32ELi32ELi8ELi32ELi8ELi8ELi32ELc67ELc78EKaKiiEEvlllT_PT11_llS5_llS3_PT12_llPT13_lli
    .private_segment_fixed_size: 0
    .sgpr_count:     42
    .sgpr_spill_count: 0
    .symbol:         _ZN12_GLOBAL__N_135rocblas_gemm_batched_general_kernelIiLi16ELi16ELi32ELi32ELi8ELi32ELi8ELi8ELi32ELc67ELc78EKaKiiEEvlllT_PT11_llS5_llS3_PT12_llPT13_lli.kd
    .uniform_work_group_size: 1
    .uses_dynamic_stack: false
    .vgpr_count:     48
    .vgpr_spill_count: 0
    .wavefront_size: 32
  - .args:
      - .offset:         0
        .size:           8
        .value_kind:     by_value
      - .offset:         8
        .size:           8
        .value_kind:     by_value
      - .offset:         16
        .size:           8
        .value_kind:     by_value
      - .offset:         24
        .size:           4
        .value_kind:     by_value
      - .address_space:  global
        .offset:         32
        .size:           8
        .value_kind:     global_buffer
      - .offset:         40
        .size:           8
        .value_kind:     by_value
      - .offset:         48
        .size:           8
        .value_kind:     by_value
      - .address_space:  global
        .offset:         56
        .size:           8
        .value_kind:     global_buffer
      - .offset:         64
        .size:           8
        .value_kind:     by_value
      - .offset:         72
        .size:           8
        .value_kind:     by_value
      - .offset:         80
        .size:           4
        .value_kind:     by_value
      - .address_space:  global
        .offset:         88
        .size:           8
        .value_kind:     global_buffer
      - .offset:         96
        .size:           8
        .value_kind:     by_value
      - .offset:         104
        .size:           8
        .value_kind:     by_value
      - .address_space:  global
        .offset:         112
        .size:           8
        .value_kind:     global_buffer
      - .offset:         120
        .size:           8
        .value_kind:     by_value
      - .offset:         128
        .size:           8
        .value_kind:     by_value
      - .offset:         136
        .size:           4
        .value_kind:     by_value
    .group_segment_fixed_size: 2048
    .kernarg_segment_align: 8
    .kernarg_segment_size: 140
    .language:       OpenCL C
    .language_version:
      - 2
      - 0
    .max_flat_workgroup_size: 256
    .name:           _ZN12_GLOBAL__N_135rocblas_gemm_batched_general_kernelIiLi16ELi16ELi32ELi32ELi8ELi32ELi8ELi8ELi32ELc67ELc84EKaKiiEEvlllT_PT11_llS5_llS3_PT12_llPT13_lli
    .private_segment_fixed_size: 0
    .sgpr_count:     46
    .sgpr_spill_count: 0
    .symbol:         _ZN12_GLOBAL__N_135rocblas_gemm_batched_general_kernelIiLi16ELi16ELi32ELi32ELi8ELi32ELi8ELi8ELi32ELc67ELc84EKaKiiEEvlllT_PT11_llS5_llS3_PT12_llPT13_lli.kd
    .uniform_work_group_size: 1
    .uses_dynamic_stack: false
    .vgpr_count:     48
    .vgpr_spill_count: 0
    .wavefront_size: 32
  - .args:
      - .offset:         0
        .size:           8
        .value_kind:     by_value
      - .offset:         8
        .size:           8
        .value_kind:     by_value
      - .offset:         16
        .size:           8
        .value_kind:     by_value
      - .offset:         24
        .size:           4
        .value_kind:     by_value
      - .address_space:  global
        .offset:         32
        .size:           8
        .value_kind:     global_buffer
      - .offset:         40
        .size:           8
        .value_kind:     by_value
      - .offset:         48
        .size:           8
        .value_kind:     by_value
      - .address_space:  global
        .offset:         56
        .size:           8
        .value_kind:     global_buffer
      - .offset:         64
        .size:           8
        .value_kind:     by_value
      - .offset:         72
        .size:           8
        .value_kind:     by_value
      - .offset:         80
        .size:           4
        .value_kind:     by_value
      - .address_space:  global
        .offset:         88
        .size:           8
        .value_kind:     global_buffer
      - .offset:         96
        .size:           8
        .value_kind:     by_value
      - .offset:         104
        .size:           8
        .value_kind:     by_value
      - .address_space:  global
        .offset:         112
        .size:           8
        .value_kind:     global_buffer
      - .offset:         120
        .size:           8
        .value_kind:     by_value
      - .offset:         128
        .size:           8
        .value_kind:     by_value
      - .offset:         136
        .size:           4
        .value_kind:     by_value
    .group_segment_fixed_size: 2048
    .kernarg_segment_align: 8
    .kernarg_segment_size: 140
    .language:       OpenCL C
    .language_version:
      - 2
      - 0
    .max_flat_workgroup_size: 256
    .name:           _ZN12_GLOBAL__N_135rocblas_gemm_batched_general_kernelIiLi16ELi16ELi32ELi32ELi8ELi32ELi8ELi8ELi32ELc78ELc67EKaKiiEEvlllT_PT11_llS5_llS3_PT12_llPT13_lli
    .private_segment_fixed_size: 0
    .sgpr_count:     46
    .sgpr_spill_count: 0
    .symbol:         _ZN12_GLOBAL__N_135rocblas_gemm_batched_general_kernelIiLi16ELi16ELi32ELi32ELi8ELi32ELi8ELi8ELi32ELc78ELc67EKaKiiEEvlllT_PT11_llS5_llS3_PT12_llPT13_lli.kd
    .uniform_work_group_size: 1
    .uses_dynamic_stack: false
    .vgpr_count:     48
    .vgpr_spill_count: 0
    .wavefront_size: 32
  - .args:
      - .offset:         0
        .size:           8
        .value_kind:     by_value
      - .offset:         8
        .size:           8
        .value_kind:     by_value
      - .offset:         16
        .size:           8
        .value_kind:     by_value
      - .offset:         24
        .size:           4
        .value_kind:     by_value
      - .address_space:  global
        .offset:         32
        .size:           8
        .value_kind:     global_buffer
      - .offset:         40
        .size:           8
        .value_kind:     by_value
      - .offset:         48
        .size:           8
        .value_kind:     by_value
      - .address_space:  global
        .offset:         56
        .size:           8
        .value_kind:     global_buffer
      - .offset:         64
        .size:           8
        .value_kind:     by_value
      - .offset:         72
        .size:           8
        .value_kind:     by_value
      - .offset:         80
        .size:           4
        .value_kind:     by_value
      - .address_space:  global
        .offset:         88
        .size:           8
        .value_kind:     global_buffer
      - .offset:         96
        .size:           8
        .value_kind:     by_value
      - .offset:         104
        .size:           8
        .value_kind:     by_value
      - .address_space:  global
        .offset:         112
        .size:           8
        .value_kind:     global_buffer
      - .offset:         120
        .size:           8
        .value_kind:     by_value
      - .offset:         128
        .size:           8
        .value_kind:     by_value
      - .offset:         136
        .size:           4
        .value_kind:     by_value
    .group_segment_fixed_size: 2048
    .kernarg_segment_align: 8
    .kernarg_segment_size: 140
    .language:       OpenCL C
    .language_version:
      - 2
      - 0
    .max_flat_workgroup_size: 256
    .name:           _ZN12_GLOBAL__N_135rocblas_gemm_batched_general_kernelIiLi16ELi16ELi32ELi32ELi8ELi32ELi8ELi8ELi32ELc84ELc67EKaKiiEEvlllT_PT11_llS5_llS3_PT12_llPT13_lli
    .private_segment_fixed_size: 0
    .sgpr_count:     46
    .sgpr_spill_count: 0
    .symbol:         _ZN12_GLOBAL__N_135rocblas_gemm_batched_general_kernelIiLi16ELi16ELi32ELi32ELi8ELi32ELi8ELi8ELi32ELc84ELc67EKaKiiEEvlllT_PT11_llS5_llS3_PT12_llPT13_lli.kd
    .uniform_work_group_size: 1
    .uses_dynamic_stack: false
    .vgpr_count:     48
    .vgpr_spill_count: 0
    .wavefront_size: 32
  - .args:
      - .offset:         0
        .size:           4
        .value_kind:     by_value
      - .offset:         4
        .size:           4
        .value_kind:     by_value
      - .offset:         8
        .size:           8
        .value_kind:     by_value
      - .address_space:  global
        .offset:         16
        .size:           8
        .value_kind:     global_buffer
      - .offset:         24
        .size:           8
        .value_kind:     by_value
      - .offset:         32
        .size:           8
        .value_kind:     by_value
      - .offset:         40
        .size:           8
        .value_kind:     by_value
      - .address_space:  global
        .offset:         48
        .size:           8
        .value_kind:     global_buffer
      - .offset:         56
        .size:           8
        .value_kind:     by_value
      - .offset:         64
        .size:           8
        .value_kind:     by_value
      - .offset:         72
        .size:           8
        .value_kind:     by_value
      - .offset:         80
        .size:           4
        .value_kind:     by_value
    .group_segment_fixed_size: 0
    .kernarg_segment_align: 8
    .kernarg_segment_size: 84
    .language:       OpenCL C
    .language_version:
      - 2
      - 0
    .max_flat_workgroup_size: 1024
    .name:           _ZN12_GLOBAL__N_120gemm_ex_scale_kernelILi32ELi32E19rocblas_complex_numIfEPKS2_PS2_EEviiT1_T2_lllT3_llli
    .private_segment_fixed_size: 0
    .sgpr_count:     29
    .sgpr_spill_count: 0
    .symbol:         _ZN12_GLOBAL__N_120gemm_ex_scale_kernelILi32ELi32E19rocblas_complex_numIfEPKS2_PS2_EEviiT1_T2_lllT3_llli.kd
    .uniform_work_group_size: 1
    .uses_dynamic_stack: false
    .vgpr_count:     12
    .vgpr_spill_count: 0
    .wavefront_size: 32
  - .args:
      - .offset:         0
        .size:           8
        .value_kind:     by_value
      - .offset:         8
        .size:           8
        .value_kind:     by_value
      - .offset:         16
        .size:           8
        .value_kind:     by_value
      - .offset:         24
        .size:           8
        .value_kind:     by_value
      - .address_space:  global
        .offset:         32
        .size:           8
        .value_kind:     global_buffer
      - .offset:         40
        .size:           8
        .value_kind:     by_value
      - .offset:         48
        .size:           8
        .value_kind:     by_value
      - .address_space:  global
        .offset:         56
        .size:           8
        .value_kind:     global_buffer
      - .offset:         64
        .size:           8
        .value_kind:     by_value
      - .offset:         72
        .size:           8
        .value_kind:     by_value
      - .offset:         80
        .size:           8
        .value_kind:     by_value
      - .address_space:  global
        .offset:         88
        .size:           8
        .value_kind:     global_buffer
      - .offset:         96
        .size:           8
        .value_kind:     by_value
      - .offset:         104
        .size:           8
        .value_kind:     by_value
      - .address_space:  global
        .offset:         112
        .size:           8
        .value_kind:     global_buffer
      - .offset:         120
        .size:           8
        .value_kind:     by_value
      - .offset:         128
        .size:           8
        .value_kind:     by_value
      - .offset:         136
        .size:           4
        .value_kind:     by_value
    .group_segment_fixed_size: 4096
    .kernarg_segment_align: 8
    .kernarg_segment_size: 140
    .language:       OpenCL C
    .language_version:
      - 2
      - 0
    .max_flat_workgroup_size: 256
    .name:           _ZN12_GLOBAL__N_127rocblas_gemm_batched_kernelI19rocblas_complex_numIfELi16ELi16ELi64ELi64ELi4ELi64ELi4ELi4ELi64ELc78ELc78EKS2_S3_S2_EEvlllT_PT11_llS6_llS4_PT12_llPT13_lli
    .private_segment_fixed_size: 0
    .sgpr_count:     46
    .sgpr_spill_count: 0
    .symbol:         _ZN12_GLOBAL__N_127rocblas_gemm_batched_kernelI19rocblas_complex_numIfELi16ELi16ELi64ELi64ELi4ELi64ELi4ELi4ELi64ELc78ELc78EKS2_S3_S2_EEvlllT_PT11_llS6_llS4_PT12_llPT13_lli.kd
    .uniform_work_group_size: 1
    .uses_dynamic_stack: false
    .vgpr_count:     193
    .vgpr_spill_count: 0
    .wavefront_size: 32
  - .args:
      - .offset:         0
        .size:           8
        .value_kind:     by_value
      - .offset:         8
        .size:           8
        .value_kind:     by_value
      - .offset:         16
        .size:           8
        .value_kind:     by_value
      - .offset:         24
        .size:           8
        .value_kind:     by_value
      - .address_space:  global
        .offset:         32
        .size:           8
        .value_kind:     global_buffer
      - .offset:         40
        .size:           8
        .value_kind:     by_value
      - .offset:         48
        .size:           8
        .value_kind:     by_value
      - .address_space:  global
        .offset:         56
        .size:           8
        .value_kind:     global_buffer
      - .offset:         64
        .size:           8
        .value_kind:     by_value
      - .offset:         72
        .size:           8
        .value_kind:     by_value
      - .offset:         80
        .size:           8
        .value_kind:     by_value
      - .address_space:  global
        .offset:         88
        .size:           8
        .value_kind:     global_buffer
      - .offset:         96
        .size:           8
        .value_kind:     by_value
      - .offset:         104
        .size:           8
        .value_kind:     by_value
      - .address_space:  global
        .offset:         112
        .size:           8
        .value_kind:     global_buffer
      - .offset:         120
        .size:           8
        .value_kind:     by_value
      - .offset:         128
        .size:           8
        .value_kind:     by_value
      - .offset:         136
        .size:           4
        .value_kind:     by_value
    .group_segment_fixed_size: 4096
    .kernarg_segment_align: 8
    .kernarg_segment_size: 140
    .language:       OpenCL C
    .language_version:
      - 2
      - 0
    .max_flat_workgroup_size: 256
    .name:           _ZN12_GLOBAL__N_127rocblas_gemm_batched_kernelI19rocblas_complex_numIfELi16ELi16ELi64ELi64ELi4ELi64ELi4ELi4ELi64ELc84ELc78EKS2_S3_S2_EEvlllT_PT11_llS6_llS4_PT12_llPT13_lli
    .private_segment_fixed_size: 0
    .sgpr_count:     44
    .sgpr_spill_count: 0
    .symbol:         _ZN12_GLOBAL__N_127rocblas_gemm_batched_kernelI19rocblas_complex_numIfELi16ELi16ELi64ELi64ELi4ELi64ELi4ELi4ELi64ELc84ELc78EKS2_S3_S2_EEvlllT_PT11_llS6_llS4_PT12_llPT13_lli.kd
    .uniform_work_group_size: 1
    .uses_dynamic_stack: false
    .vgpr_count:     193
    .vgpr_spill_count: 0
    .wavefront_size: 32
  - .args:
      - .offset:         0
        .size:           8
        .value_kind:     by_value
      - .offset:         8
        .size:           8
        .value_kind:     by_value
      - .offset:         16
        .size:           8
        .value_kind:     by_value
      - .offset:         24
        .size:           8
        .value_kind:     by_value
      - .address_space:  global
        .offset:         32
        .size:           8
        .value_kind:     global_buffer
      - .offset:         40
        .size:           8
        .value_kind:     by_value
      - .offset:         48
        .size:           8
        .value_kind:     by_value
      - .address_space:  global
        .offset:         56
        .size:           8
        .value_kind:     global_buffer
      - .offset:         64
        .size:           8
        .value_kind:     by_value
      - .offset:         72
        .size:           8
        .value_kind:     by_value
      - .offset:         80
        .size:           8
        .value_kind:     by_value
      - .address_space:  global
        .offset:         88
        .size:           8
        .value_kind:     global_buffer
      - .offset:         96
        .size:           8
        .value_kind:     by_value
      - .offset:         104
        .size:           8
        .value_kind:     by_value
      - .address_space:  global
        .offset:         112
        .size:           8
        .value_kind:     global_buffer
      - .offset:         120
        .size:           8
        .value_kind:     by_value
      - .offset:         128
        .size:           8
        .value_kind:     by_value
      - .offset:         136
        .size:           4
        .value_kind:     by_value
    .group_segment_fixed_size: 4096
    .kernarg_segment_align: 8
    .kernarg_segment_size: 140
    .language:       OpenCL C
    .language_version:
      - 2
      - 0
    .max_flat_workgroup_size: 256
    .name:           _ZN12_GLOBAL__N_127rocblas_gemm_batched_kernelI19rocblas_complex_numIfELi16ELi16ELi64ELi64ELi4ELi64ELi4ELi4ELi64ELc78ELc84EKS2_S3_S2_EEvlllT_PT11_llS6_llS4_PT12_llPT13_lli
    .private_segment_fixed_size: 0
    .sgpr_count:     48
    .sgpr_spill_count: 0
    .symbol:         _ZN12_GLOBAL__N_127rocblas_gemm_batched_kernelI19rocblas_complex_numIfELi16ELi16ELi64ELi64ELi4ELi64ELi4ELi4ELi64ELc78ELc84EKS2_S3_S2_EEvlllT_PT11_llS6_llS4_PT12_llPT13_lli.kd
    .uniform_work_group_size: 1
    .uses_dynamic_stack: false
    .vgpr_count:     193
    .vgpr_spill_count: 0
    .wavefront_size: 32
  - .args:
      - .offset:         0
        .size:           8
        .value_kind:     by_value
      - .offset:         8
        .size:           8
        .value_kind:     by_value
      - .offset:         16
        .size:           8
        .value_kind:     by_value
      - .offset:         24
        .size:           8
        .value_kind:     by_value
      - .address_space:  global
        .offset:         32
        .size:           8
        .value_kind:     global_buffer
      - .offset:         40
        .size:           8
        .value_kind:     by_value
      - .offset:         48
        .size:           8
        .value_kind:     by_value
      - .address_space:  global
        .offset:         56
        .size:           8
        .value_kind:     global_buffer
      - .offset:         64
        .size:           8
        .value_kind:     by_value
      - .offset:         72
        .size:           8
        .value_kind:     by_value
      - .offset:         80
        .size:           8
        .value_kind:     by_value
      - .address_space:  global
        .offset:         88
        .size:           8
        .value_kind:     global_buffer
      - .offset:         96
        .size:           8
        .value_kind:     by_value
      - .offset:         104
        .size:           8
        .value_kind:     by_value
      - .address_space:  global
        .offset:         112
        .size:           8
        .value_kind:     global_buffer
      - .offset:         120
        .size:           8
        .value_kind:     by_value
      - .offset:         128
        .size:           8
        .value_kind:     by_value
      - .offset:         136
        .size:           4
        .value_kind:     by_value
    .group_segment_fixed_size: 4096
    .kernarg_segment_align: 8
    .kernarg_segment_size: 140
    .language:       OpenCL C
    .language_version:
      - 2
      - 0
    .max_flat_workgroup_size: 256
    .name:           _ZN12_GLOBAL__N_127rocblas_gemm_batched_kernelI19rocblas_complex_numIfELi16ELi16ELi64ELi64ELi4ELi64ELi4ELi4ELi64ELc84ELc84EKS2_S3_S2_EEvlllT_PT11_llS6_llS4_PT12_llPT13_lli
    .private_segment_fixed_size: 0
    .sgpr_count:     46
    .sgpr_spill_count: 0
    .symbol:         _ZN12_GLOBAL__N_127rocblas_gemm_batched_kernelI19rocblas_complex_numIfELi16ELi16ELi64ELi64ELi4ELi64ELi4ELi4ELi64ELc84ELc84EKS2_S3_S2_EEvlllT_PT11_llS6_llS4_PT12_llPT13_lli.kd
    .uniform_work_group_size: 1
    .uses_dynamic_stack: false
    .vgpr_count:     193
    .vgpr_spill_count: 0
    .wavefront_size: 32
  - .args:
      - .offset:         0
        .size:           8
        .value_kind:     by_value
      - .offset:         8
        .size:           8
        .value_kind:     by_value
      - .offset:         16
        .size:           8
        .value_kind:     by_value
      - .offset:         24
        .size:           8
        .value_kind:     by_value
      - .address_space:  global
        .offset:         32
        .size:           8
        .value_kind:     global_buffer
      - .offset:         40
        .size:           8
        .value_kind:     by_value
      - .offset:         48
        .size:           8
        .value_kind:     by_value
      - .address_space:  global
        .offset:         56
        .size:           8
        .value_kind:     global_buffer
      - .offset:         64
        .size:           8
        .value_kind:     by_value
      - .offset:         72
        .size:           8
        .value_kind:     by_value
      - .offset:         80
        .size:           8
        .value_kind:     by_value
      - .address_space:  global
        .offset:         88
        .size:           8
        .value_kind:     global_buffer
      - .offset:         96
        .size:           8
        .value_kind:     by_value
      - .offset:         104
        .size:           8
        .value_kind:     by_value
      - .address_space:  global
        .offset:         112
        .size:           8
        .value_kind:     global_buffer
      - .offset:         120
        .size:           8
        .value_kind:     by_value
      - .offset:         128
        .size:           8
        .value_kind:     by_value
      - .offset:         136
        .size:           4
        .value_kind:     by_value
    .group_segment_fixed_size: 4096
    .kernarg_segment_align: 8
    .kernarg_segment_size: 140
    .language:       OpenCL C
    .language_version:
      - 2
      - 0
    .max_flat_workgroup_size: 256
    .name:           _ZN12_GLOBAL__N_127rocblas_gemm_batched_kernelI19rocblas_complex_numIfELi16ELi16ELi64ELi64ELi4ELi64ELi4ELi4ELi64ELc67ELc67EKS2_S3_S2_EEvlllT_PT11_llS6_llS4_PT12_llPT13_lli
    .private_segment_fixed_size: 0
    .sgpr_count:     46
    .sgpr_spill_count: 0
    .symbol:         _ZN12_GLOBAL__N_127rocblas_gemm_batched_kernelI19rocblas_complex_numIfELi16ELi16ELi64ELi64ELi4ELi64ELi4ELi4ELi64ELc67ELc67EKS2_S3_S2_EEvlllT_PT11_llS6_llS4_PT12_llPT13_lli.kd
    .uniform_work_group_size: 1
    .uses_dynamic_stack: false
    .vgpr_count:     193
    .vgpr_spill_count: 0
    .wavefront_size: 32
  - .args:
      - .offset:         0
        .size:           8
        .value_kind:     by_value
      - .offset:         8
        .size:           8
        .value_kind:     by_value
      - .offset:         16
        .size:           8
        .value_kind:     by_value
      - .offset:         24
        .size:           8
        .value_kind:     by_value
      - .address_space:  global
        .offset:         32
        .size:           8
        .value_kind:     global_buffer
      - .offset:         40
        .size:           8
        .value_kind:     by_value
      - .offset:         48
        .size:           8
        .value_kind:     by_value
      - .address_space:  global
        .offset:         56
        .size:           8
        .value_kind:     global_buffer
      - .offset:         64
        .size:           8
        .value_kind:     by_value
      - .offset:         72
        .size:           8
        .value_kind:     by_value
      - .offset:         80
        .size:           8
        .value_kind:     by_value
      - .address_space:  global
        .offset:         88
        .size:           8
        .value_kind:     global_buffer
      - .offset:         96
        .size:           8
        .value_kind:     by_value
      - .offset:         104
        .size:           8
        .value_kind:     by_value
      - .address_space:  global
        .offset:         112
        .size:           8
        .value_kind:     global_buffer
      - .offset:         120
        .size:           8
        .value_kind:     by_value
      - .offset:         128
        .size:           8
        .value_kind:     by_value
      - .offset:         136
        .size:           4
        .value_kind:     by_value
    .group_segment_fixed_size: 4096
    .kernarg_segment_align: 8
    .kernarg_segment_size: 140
    .language:       OpenCL C
    .language_version:
      - 2
      - 0
    .max_flat_workgroup_size: 256
    .name:           _ZN12_GLOBAL__N_127rocblas_gemm_batched_kernelI19rocblas_complex_numIfELi16ELi16ELi64ELi64ELi4ELi64ELi4ELi4ELi64ELc67ELc78EKS2_S3_S2_EEvlllT_PT11_llS6_llS4_PT12_llPT13_lli
    .private_segment_fixed_size: 0
    .sgpr_count:     42
    .sgpr_spill_count: 0
    .symbol:         _ZN12_GLOBAL__N_127rocblas_gemm_batched_kernelI19rocblas_complex_numIfELi16ELi16ELi64ELi64ELi4ELi64ELi4ELi4ELi64ELc67ELc78EKS2_S3_S2_EEvlllT_PT11_llS6_llS4_PT12_llPT13_lli.kd
    .uniform_work_group_size: 1
    .uses_dynamic_stack: false
    .vgpr_count:     193
    .vgpr_spill_count: 0
    .wavefront_size: 32
  - .args:
      - .offset:         0
        .size:           8
        .value_kind:     by_value
      - .offset:         8
        .size:           8
        .value_kind:     by_value
      - .offset:         16
        .size:           8
        .value_kind:     by_value
      - .offset:         24
        .size:           8
        .value_kind:     by_value
      - .address_space:  global
        .offset:         32
        .size:           8
        .value_kind:     global_buffer
      - .offset:         40
        .size:           8
        .value_kind:     by_value
      - .offset:         48
        .size:           8
        .value_kind:     by_value
      - .address_space:  global
        .offset:         56
        .size:           8
        .value_kind:     global_buffer
      - .offset:         64
        .size:           8
        .value_kind:     by_value
      - .offset:         72
        .size:           8
        .value_kind:     by_value
      - .offset:         80
        .size:           8
        .value_kind:     by_value
      - .address_space:  global
        .offset:         88
        .size:           8
        .value_kind:     global_buffer
      - .offset:         96
        .size:           8
        .value_kind:     by_value
      - .offset:         104
        .size:           8
        .value_kind:     by_value
      - .address_space:  global
        .offset:         112
        .size:           8
        .value_kind:     global_buffer
      - .offset:         120
        .size:           8
        .value_kind:     by_value
      - .offset:         128
        .size:           8
        .value_kind:     by_value
      - .offset:         136
        .size:           4
        .value_kind:     by_value
    .group_segment_fixed_size: 4096
    .kernarg_segment_align: 8
    .kernarg_segment_size: 140
    .language:       OpenCL C
    .language_version:
      - 2
      - 0
    .max_flat_workgroup_size: 256
    .name:           _ZN12_GLOBAL__N_127rocblas_gemm_batched_kernelI19rocblas_complex_numIfELi16ELi16ELi64ELi64ELi4ELi64ELi4ELi4ELi64ELc67ELc84EKS2_S3_S2_EEvlllT_PT11_llS6_llS4_PT12_llPT13_lli
    .private_segment_fixed_size: 0
    .sgpr_count:     44
    .sgpr_spill_count: 0
    .symbol:         _ZN12_GLOBAL__N_127rocblas_gemm_batched_kernelI19rocblas_complex_numIfELi16ELi16ELi64ELi64ELi4ELi64ELi4ELi4ELi64ELc67ELc84EKS2_S3_S2_EEvlllT_PT11_llS6_llS4_PT12_llPT13_lli.kd
    .uniform_work_group_size: 1
    .uses_dynamic_stack: false
    .vgpr_count:     193
    .vgpr_spill_count: 0
    .wavefront_size: 32
  - .args:
      - .offset:         0
        .size:           8
        .value_kind:     by_value
      - .offset:         8
        .size:           8
        .value_kind:     by_value
      - .offset:         16
        .size:           8
        .value_kind:     by_value
      - .offset:         24
        .size:           8
        .value_kind:     by_value
      - .address_space:  global
        .offset:         32
        .size:           8
        .value_kind:     global_buffer
      - .offset:         40
        .size:           8
        .value_kind:     by_value
      - .offset:         48
        .size:           8
        .value_kind:     by_value
      - .address_space:  global
        .offset:         56
        .size:           8
        .value_kind:     global_buffer
      - .offset:         64
        .size:           8
        .value_kind:     by_value
      - .offset:         72
        .size:           8
        .value_kind:     by_value
      - .offset:         80
        .size:           8
        .value_kind:     by_value
      - .address_space:  global
        .offset:         88
        .size:           8
        .value_kind:     global_buffer
      - .offset:         96
        .size:           8
        .value_kind:     by_value
      - .offset:         104
        .size:           8
        .value_kind:     by_value
      - .address_space:  global
        .offset:         112
        .size:           8
        .value_kind:     global_buffer
      - .offset:         120
        .size:           8
        .value_kind:     by_value
      - .offset:         128
        .size:           8
        .value_kind:     by_value
      - .offset:         136
        .size:           4
        .value_kind:     by_value
    .group_segment_fixed_size: 4096
    .kernarg_segment_align: 8
    .kernarg_segment_size: 140
    .language:       OpenCL C
    .language_version:
      - 2
      - 0
    .max_flat_workgroup_size: 256
    .name:           _ZN12_GLOBAL__N_127rocblas_gemm_batched_kernelI19rocblas_complex_numIfELi16ELi16ELi64ELi64ELi4ELi64ELi4ELi4ELi64ELc78ELc67EKS2_S3_S2_EEvlllT_PT11_llS6_llS4_PT12_llPT13_lli
    .private_segment_fixed_size: 0
    .sgpr_count:     48
    .sgpr_spill_count: 0
    .symbol:         _ZN12_GLOBAL__N_127rocblas_gemm_batched_kernelI19rocblas_complex_numIfELi16ELi16ELi64ELi64ELi4ELi64ELi4ELi4ELi64ELc78ELc67EKS2_S3_S2_EEvlllT_PT11_llS6_llS4_PT12_llPT13_lli.kd
    .uniform_work_group_size: 1
    .uses_dynamic_stack: false
    .vgpr_count:     193
    .vgpr_spill_count: 0
    .wavefront_size: 32
  - .args:
      - .offset:         0
        .size:           8
        .value_kind:     by_value
      - .offset:         8
        .size:           8
        .value_kind:     by_value
      - .offset:         16
        .size:           8
        .value_kind:     by_value
      - .offset:         24
        .size:           8
        .value_kind:     by_value
      - .address_space:  global
        .offset:         32
        .size:           8
        .value_kind:     global_buffer
      - .offset:         40
        .size:           8
        .value_kind:     by_value
      - .offset:         48
        .size:           8
        .value_kind:     by_value
      - .address_space:  global
        .offset:         56
        .size:           8
        .value_kind:     global_buffer
      - .offset:         64
        .size:           8
        .value_kind:     by_value
      - .offset:         72
        .size:           8
        .value_kind:     by_value
      - .offset:         80
        .size:           8
        .value_kind:     by_value
      - .address_space:  global
        .offset:         88
        .size:           8
        .value_kind:     global_buffer
      - .offset:         96
        .size:           8
        .value_kind:     by_value
      - .offset:         104
        .size:           8
        .value_kind:     by_value
      - .address_space:  global
        .offset:         112
        .size:           8
        .value_kind:     global_buffer
      - .offset:         120
        .size:           8
        .value_kind:     by_value
      - .offset:         128
        .size:           8
        .value_kind:     by_value
      - .offset:         136
        .size:           4
        .value_kind:     by_value
    .group_segment_fixed_size: 4096
    .kernarg_segment_align: 8
    .kernarg_segment_size: 140
    .language:       OpenCL C
    .language_version:
      - 2
      - 0
    .max_flat_workgroup_size: 256
    .name:           _ZN12_GLOBAL__N_127rocblas_gemm_batched_kernelI19rocblas_complex_numIfELi16ELi16ELi64ELi64ELi4ELi64ELi4ELi4ELi64ELc84ELc67EKS2_S3_S2_EEvlllT_PT11_llS6_llS4_PT12_llPT13_lli
    .private_segment_fixed_size: 0
    .sgpr_count:     46
    .sgpr_spill_count: 0
    .symbol:         _ZN12_GLOBAL__N_127rocblas_gemm_batched_kernelI19rocblas_complex_numIfELi16ELi16ELi64ELi64ELi4ELi64ELi4ELi4ELi64ELc84ELc67EKS2_S3_S2_EEvlllT_PT11_llS6_llS4_PT12_llPT13_lli.kd
    .uniform_work_group_size: 1
    .uses_dynamic_stack: false
    .vgpr_count:     193
    .vgpr_spill_count: 0
    .wavefront_size: 32
  - .args:
      - .offset:         0
        .size:           8
        .value_kind:     by_value
      - .offset:         8
        .size:           8
        .value_kind:     by_value
      - .offset:         16
        .size:           8
        .value_kind:     by_value
      - .offset:         24
        .size:           8
        .value_kind:     by_value
      - .address_space:  global
        .offset:         32
        .size:           8
        .value_kind:     global_buffer
      - .offset:         40
        .size:           8
        .value_kind:     by_value
      - .offset:         48
        .size:           8
        .value_kind:     by_value
      - .address_space:  global
        .offset:         56
        .size:           8
        .value_kind:     global_buffer
      - .offset:         64
        .size:           8
        .value_kind:     by_value
      - .offset:         72
        .size:           8
        .value_kind:     by_value
      - .offset:         80
        .size:           8
        .value_kind:     by_value
      - .address_space:  global
        .offset:         88
        .size:           8
        .value_kind:     global_buffer
      - .offset:         96
        .size:           8
        .value_kind:     by_value
      - .offset:         104
        .size:           8
        .value_kind:     by_value
      - .address_space:  global
        .offset:         112
        .size:           8
        .value_kind:     global_buffer
      - .offset:         120
        .size:           8
        .value_kind:     by_value
      - .offset:         128
        .size:           8
        .value_kind:     by_value
      - .offset:         136
        .size:           4
        .value_kind:     by_value
    .group_segment_fixed_size: 4096
    .kernarg_segment_align: 8
    .kernarg_segment_size: 140
    .language:       OpenCL C
    .language_version:
      - 2
      - 0
    .max_flat_workgroup_size: 256
    .name:           _ZN12_GLOBAL__N_127rocblas_gemm_batched_kernelI19rocblas_complex_numIfELi16ELi16ELi32ELi32ELi8ELi32ELi8ELi8ELi32ELc78ELc78EKS2_S3_S2_EEvlllT_PT11_llS6_llS4_PT12_llPT13_lli
    .private_segment_fixed_size: 0
    .sgpr_count:     46
    .sgpr_spill_count: 0
    .symbol:         _ZN12_GLOBAL__N_127rocblas_gemm_batched_kernelI19rocblas_complex_numIfELi16ELi16ELi32ELi32ELi8ELi32ELi8ELi8ELi32ELc78ELc78EKS2_S3_S2_EEvlllT_PT11_llS6_llS4_PT12_llPT13_lli.kd
    .uniform_work_group_size: 1
    .uses_dynamic_stack: false
    .vgpr_count:     116
    .vgpr_spill_count: 0
    .wavefront_size: 32
  - .args:
      - .offset:         0
        .size:           8
        .value_kind:     by_value
      - .offset:         8
        .size:           8
        .value_kind:     by_value
      - .offset:         16
        .size:           8
        .value_kind:     by_value
      - .offset:         24
        .size:           8
        .value_kind:     by_value
      - .address_space:  global
        .offset:         32
        .size:           8
        .value_kind:     global_buffer
      - .offset:         40
        .size:           8
        .value_kind:     by_value
      - .offset:         48
        .size:           8
        .value_kind:     by_value
      - .address_space:  global
        .offset:         56
        .size:           8
        .value_kind:     global_buffer
      - .offset:         64
        .size:           8
        .value_kind:     by_value
      - .offset:         72
        .size:           8
        .value_kind:     by_value
      - .offset:         80
        .size:           8
        .value_kind:     by_value
      - .address_space:  global
        .offset:         88
        .size:           8
        .value_kind:     global_buffer
      - .offset:         96
        .size:           8
        .value_kind:     by_value
      - .offset:         104
        .size:           8
        .value_kind:     by_value
      - .address_space:  global
        .offset:         112
        .size:           8
        .value_kind:     global_buffer
      - .offset:         120
        .size:           8
        .value_kind:     by_value
      - .offset:         128
        .size:           8
        .value_kind:     by_value
      - .offset:         136
        .size:           4
        .value_kind:     by_value
    .group_segment_fixed_size: 4096
    .kernarg_segment_align: 8
    .kernarg_segment_size: 140
    .language:       OpenCL C
    .language_version:
      - 2
      - 0
    .max_flat_workgroup_size: 256
    .name:           _ZN12_GLOBAL__N_127rocblas_gemm_batched_kernelI19rocblas_complex_numIfELi16ELi16ELi32ELi32ELi8ELi32ELi8ELi8ELi32ELc84ELc78EKS2_S3_S2_EEvlllT_PT11_llS6_llS4_PT12_llPT13_lli
    .private_segment_fixed_size: 0
    .sgpr_count:     44
    .sgpr_spill_count: 0
    .symbol:         _ZN12_GLOBAL__N_127rocblas_gemm_batched_kernelI19rocblas_complex_numIfELi16ELi16ELi32ELi32ELi8ELi32ELi8ELi8ELi32ELc84ELc78EKS2_S3_S2_EEvlllT_PT11_llS6_llS4_PT12_llPT13_lli.kd
    .uniform_work_group_size: 1
    .uses_dynamic_stack: false
    .vgpr_count:     116
    .vgpr_spill_count: 0
    .wavefront_size: 32
  - .args:
      - .offset:         0
        .size:           8
        .value_kind:     by_value
      - .offset:         8
        .size:           8
        .value_kind:     by_value
      - .offset:         16
        .size:           8
        .value_kind:     by_value
      - .offset:         24
        .size:           8
        .value_kind:     by_value
      - .address_space:  global
        .offset:         32
        .size:           8
        .value_kind:     global_buffer
      - .offset:         40
        .size:           8
        .value_kind:     by_value
      - .offset:         48
        .size:           8
        .value_kind:     by_value
      - .address_space:  global
        .offset:         56
        .size:           8
        .value_kind:     global_buffer
      - .offset:         64
        .size:           8
        .value_kind:     by_value
      - .offset:         72
        .size:           8
        .value_kind:     by_value
      - .offset:         80
        .size:           8
        .value_kind:     by_value
      - .address_space:  global
        .offset:         88
        .size:           8
        .value_kind:     global_buffer
      - .offset:         96
        .size:           8
        .value_kind:     by_value
      - .offset:         104
        .size:           8
        .value_kind:     by_value
      - .address_space:  global
        .offset:         112
        .size:           8
        .value_kind:     global_buffer
      - .offset:         120
        .size:           8
        .value_kind:     by_value
      - .offset:         128
        .size:           8
        .value_kind:     by_value
      - .offset:         136
        .size:           4
        .value_kind:     by_value
    .group_segment_fixed_size: 4096
    .kernarg_segment_align: 8
    .kernarg_segment_size: 140
    .language:       OpenCL C
    .language_version:
      - 2
      - 0
    .max_flat_workgroup_size: 256
    .name:           _ZN12_GLOBAL__N_127rocblas_gemm_batched_kernelI19rocblas_complex_numIfELi16ELi16ELi32ELi32ELi8ELi32ELi8ELi8ELi32ELc78ELc84EKS2_S3_S2_EEvlllT_PT11_llS6_llS4_PT12_llPT13_lli
    .private_segment_fixed_size: 0
    .sgpr_count:     48
    .sgpr_spill_count: 0
    .symbol:         _ZN12_GLOBAL__N_127rocblas_gemm_batched_kernelI19rocblas_complex_numIfELi16ELi16ELi32ELi32ELi8ELi32ELi8ELi8ELi32ELc78ELc84EKS2_S3_S2_EEvlllT_PT11_llS6_llS4_PT12_llPT13_lli.kd
    .uniform_work_group_size: 1
    .uses_dynamic_stack: false
    .vgpr_count:     116
    .vgpr_spill_count: 0
    .wavefront_size: 32
  - .args:
      - .offset:         0
        .size:           8
        .value_kind:     by_value
      - .offset:         8
        .size:           8
        .value_kind:     by_value
      - .offset:         16
        .size:           8
        .value_kind:     by_value
      - .offset:         24
        .size:           8
        .value_kind:     by_value
      - .address_space:  global
        .offset:         32
        .size:           8
        .value_kind:     global_buffer
      - .offset:         40
        .size:           8
        .value_kind:     by_value
      - .offset:         48
        .size:           8
        .value_kind:     by_value
      - .address_space:  global
        .offset:         56
        .size:           8
        .value_kind:     global_buffer
      - .offset:         64
        .size:           8
        .value_kind:     by_value
      - .offset:         72
        .size:           8
        .value_kind:     by_value
      - .offset:         80
        .size:           8
        .value_kind:     by_value
      - .address_space:  global
        .offset:         88
        .size:           8
        .value_kind:     global_buffer
      - .offset:         96
        .size:           8
        .value_kind:     by_value
      - .offset:         104
        .size:           8
        .value_kind:     by_value
      - .address_space:  global
        .offset:         112
        .size:           8
        .value_kind:     global_buffer
      - .offset:         120
        .size:           8
        .value_kind:     by_value
      - .offset:         128
        .size:           8
        .value_kind:     by_value
      - .offset:         136
        .size:           4
        .value_kind:     by_value
    .group_segment_fixed_size: 4096
    .kernarg_segment_align: 8
    .kernarg_segment_size: 140
    .language:       OpenCL C
    .language_version:
      - 2
      - 0
    .max_flat_workgroup_size: 256
    .name:           _ZN12_GLOBAL__N_127rocblas_gemm_batched_kernelI19rocblas_complex_numIfELi16ELi16ELi32ELi32ELi8ELi32ELi8ELi8ELi32ELc84ELc84EKS2_S3_S2_EEvlllT_PT11_llS6_llS4_PT12_llPT13_lli
    .private_segment_fixed_size: 0
    .sgpr_count:     46
    .sgpr_spill_count: 0
    .symbol:         _ZN12_GLOBAL__N_127rocblas_gemm_batched_kernelI19rocblas_complex_numIfELi16ELi16ELi32ELi32ELi8ELi32ELi8ELi8ELi32ELc84ELc84EKS2_S3_S2_EEvlllT_PT11_llS6_llS4_PT12_llPT13_lli.kd
    .uniform_work_group_size: 1
    .uses_dynamic_stack: false
    .vgpr_count:     116
    .vgpr_spill_count: 0
    .wavefront_size: 32
  - .args:
      - .offset:         0
        .size:           8
        .value_kind:     by_value
      - .offset:         8
        .size:           8
        .value_kind:     by_value
      - .offset:         16
        .size:           8
        .value_kind:     by_value
      - .offset:         24
        .size:           8
        .value_kind:     by_value
      - .address_space:  global
        .offset:         32
        .size:           8
        .value_kind:     global_buffer
      - .offset:         40
        .size:           8
        .value_kind:     by_value
      - .offset:         48
        .size:           8
        .value_kind:     by_value
      - .address_space:  global
        .offset:         56
        .size:           8
        .value_kind:     global_buffer
      - .offset:         64
        .size:           8
        .value_kind:     by_value
      - .offset:         72
        .size:           8
        .value_kind:     by_value
      - .offset:         80
        .size:           8
        .value_kind:     by_value
      - .address_space:  global
        .offset:         88
        .size:           8
        .value_kind:     global_buffer
      - .offset:         96
        .size:           8
        .value_kind:     by_value
      - .offset:         104
        .size:           8
        .value_kind:     by_value
      - .address_space:  global
        .offset:         112
        .size:           8
        .value_kind:     global_buffer
      - .offset:         120
        .size:           8
        .value_kind:     by_value
      - .offset:         128
        .size:           8
        .value_kind:     by_value
      - .offset:         136
        .size:           4
        .value_kind:     by_value
    .group_segment_fixed_size: 4096
    .kernarg_segment_align: 8
    .kernarg_segment_size: 140
    .language:       OpenCL C
    .language_version:
      - 2
      - 0
    .max_flat_workgroup_size: 256
    .name:           _ZN12_GLOBAL__N_127rocblas_gemm_batched_kernelI19rocblas_complex_numIfELi16ELi16ELi32ELi32ELi8ELi32ELi8ELi8ELi32ELc67ELc67EKS2_S3_S2_EEvlllT_PT11_llS6_llS4_PT12_llPT13_lli
    .private_segment_fixed_size: 0
    .sgpr_count:     46
    .sgpr_spill_count: 0
    .symbol:         _ZN12_GLOBAL__N_127rocblas_gemm_batched_kernelI19rocblas_complex_numIfELi16ELi16ELi32ELi32ELi8ELi32ELi8ELi8ELi32ELc67ELc67EKS2_S3_S2_EEvlllT_PT11_llS6_llS4_PT12_llPT13_lli.kd
    .uniform_work_group_size: 1
    .uses_dynamic_stack: false
    .vgpr_count:     116
    .vgpr_spill_count: 0
    .wavefront_size: 32
  - .args:
      - .offset:         0
        .size:           8
        .value_kind:     by_value
      - .offset:         8
        .size:           8
        .value_kind:     by_value
      - .offset:         16
        .size:           8
        .value_kind:     by_value
      - .offset:         24
        .size:           8
        .value_kind:     by_value
      - .address_space:  global
        .offset:         32
        .size:           8
        .value_kind:     global_buffer
      - .offset:         40
        .size:           8
        .value_kind:     by_value
      - .offset:         48
        .size:           8
        .value_kind:     by_value
      - .address_space:  global
        .offset:         56
        .size:           8
        .value_kind:     global_buffer
      - .offset:         64
        .size:           8
        .value_kind:     by_value
      - .offset:         72
        .size:           8
        .value_kind:     by_value
      - .offset:         80
        .size:           8
        .value_kind:     by_value
      - .address_space:  global
        .offset:         88
        .size:           8
        .value_kind:     global_buffer
      - .offset:         96
        .size:           8
        .value_kind:     by_value
      - .offset:         104
        .size:           8
        .value_kind:     by_value
      - .address_space:  global
        .offset:         112
        .size:           8
        .value_kind:     global_buffer
      - .offset:         120
        .size:           8
        .value_kind:     by_value
      - .offset:         128
        .size:           8
        .value_kind:     by_value
      - .offset:         136
        .size:           4
        .value_kind:     by_value
    .group_segment_fixed_size: 4096
    .kernarg_segment_align: 8
    .kernarg_segment_size: 140
    .language:       OpenCL C
    .language_version:
      - 2
      - 0
    .max_flat_workgroup_size: 256
    .name:           _ZN12_GLOBAL__N_127rocblas_gemm_batched_kernelI19rocblas_complex_numIfELi16ELi16ELi32ELi32ELi8ELi32ELi8ELi8ELi32ELc67ELc78EKS2_S3_S2_EEvlllT_PT11_llS6_llS4_PT12_llPT13_lli
    .private_segment_fixed_size: 0
    .sgpr_count:     42
    .sgpr_spill_count: 0
    .symbol:         _ZN12_GLOBAL__N_127rocblas_gemm_batched_kernelI19rocblas_complex_numIfELi16ELi16ELi32ELi32ELi8ELi32ELi8ELi8ELi32ELc67ELc78EKS2_S3_S2_EEvlllT_PT11_llS6_llS4_PT12_llPT13_lli.kd
    .uniform_work_group_size: 1
    .uses_dynamic_stack: false
    .vgpr_count:     116
    .vgpr_spill_count: 0
    .wavefront_size: 32
  - .args:
      - .offset:         0
        .size:           8
        .value_kind:     by_value
      - .offset:         8
        .size:           8
        .value_kind:     by_value
      - .offset:         16
        .size:           8
        .value_kind:     by_value
      - .offset:         24
        .size:           8
        .value_kind:     by_value
      - .address_space:  global
        .offset:         32
        .size:           8
        .value_kind:     global_buffer
      - .offset:         40
        .size:           8
        .value_kind:     by_value
      - .offset:         48
        .size:           8
        .value_kind:     by_value
      - .address_space:  global
        .offset:         56
        .size:           8
        .value_kind:     global_buffer
      - .offset:         64
        .size:           8
        .value_kind:     by_value
      - .offset:         72
        .size:           8
        .value_kind:     by_value
      - .offset:         80
        .size:           8
        .value_kind:     by_value
      - .address_space:  global
        .offset:         88
        .size:           8
        .value_kind:     global_buffer
      - .offset:         96
        .size:           8
        .value_kind:     by_value
      - .offset:         104
        .size:           8
        .value_kind:     by_value
      - .address_space:  global
        .offset:         112
        .size:           8
        .value_kind:     global_buffer
      - .offset:         120
        .size:           8
        .value_kind:     by_value
      - .offset:         128
        .size:           8
        .value_kind:     by_value
      - .offset:         136
        .size:           4
        .value_kind:     by_value
    .group_segment_fixed_size: 4096
    .kernarg_segment_align: 8
    .kernarg_segment_size: 140
    .language:       OpenCL C
    .language_version:
      - 2
      - 0
    .max_flat_workgroup_size: 256
    .name:           _ZN12_GLOBAL__N_127rocblas_gemm_batched_kernelI19rocblas_complex_numIfELi16ELi16ELi32ELi32ELi8ELi32ELi8ELi8ELi32ELc67ELc84EKS2_S3_S2_EEvlllT_PT11_llS6_llS4_PT12_llPT13_lli
    .private_segment_fixed_size: 0
    .sgpr_count:     44
    .sgpr_spill_count: 0
    .symbol:         _ZN12_GLOBAL__N_127rocblas_gemm_batched_kernelI19rocblas_complex_numIfELi16ELi16ELi32ELi32ELi8ELi32ELi8ELi8ELi32ELc67ELc84EKS2_S3_S2_EEvlllT_PT11_llS6_llS4_PT12_llPT13_lli.kd
    .uniform_work_group_size: 1
    .uses_dynamic_stack: false
    .vgpr_count:     116
    .vgpr_spill_count: 0
    .wavefront_size: 32
  - .args:
      - .offset:         0
        .size:           8
        .value_kind:     by_value
      - .offset:         8
        .size:           8
        .value_kind:     by_value
      - .offset:         16
        .size:           8
        .value_kind:     by_value
      - .offset:         24
        .size:           8
        .value_kind:     by_value
      - .address_space:  global
        .offset:         32
        .size:           8
        .value_kind:     global_buffer
      - .offset:         40
        .size:           8
        .value_kind:     by_value
      - .offset:         48
        .size:           8
        .value_kind:     by_value
      - .address_space:  global
        .offset:         56
        .size:           8
        .value_kind:     global_buffer
      - .offset:         64
        .size:           8
        .value_kind:     by_value
      - .offset:         72
        .size:           8
        .value_kind:     by_value
      - .offset:         80
        .size:           8
        .value_kind:     by_value
      - .address_space:  global
        .offset:         88
        .size:           8
        .value_kind:     global_buffer
      - .offset:         96
        .size:           8
        .value_kind:     by_value
      - .offset:         104
        .size:           8
        .value_kind:     by_value
      - .address_space:  global
        .offset:         112
        .size:           8
        .value_kind:     global_buffer
      - .offset:         120
        .size:           8
        .value_kind:     by_value
      - .offset:         128
        .size:           8
        .value_kind:     by_value
      - .offset:         136
        .size:           4
        .value_kind:     by_value
    .group_segment_fixed_size: 4096
    .kernarg_segment_align: 8
    .kernarg_segment_size: 140
    .language:       OpenCL C
    .language_version:
      - 2
      - 0
    .max_flat_workgroup_size: 256
    .name:           _ZN12_GLOBAL__N_127rocblas_gemm_batched_kernelI19rocblas_complex_numIfELi16ELi16ELi32ELi32ELi8ELi32ELi8ELi8ELi32ELc78ELc67EKS2_S3_S2_EEvlllT_PT11_llS6_llS4_PT12_llPT13_lli
    .private_segment_fixed_size: 0
    .sgpr_count:     48
    .sgpr_spill_count: 0
    .symbol:         _ZN12_GLOBAL__N_127rocblas_gemm_batched_kernelI19rocblas_complex_numIfELi16ELi16ELi32ELi32ELi8ELi32ELi8ELi8ELi32ELc78ELc67EKS2_S3_S2_EEvlllT_PT11_llS6_llS4_PT12_llPT13_lli.kd
    .uniform_work_group_size: 1
    .uses_dynamic_stack: false
    .vgpr_count:     116
    .vgpr_spill_count: 0
    .wavefront_size: 32
  - .args:
      - .offset:         0
        .size:           8
        .value_kind:     by_value
      - .offset:         8
        .size:           8
        .value_kind:     by_value
      - .offset:         16
        .size:           8
        .value_kind:     by_value
      - .offset:         24
        .size:           8
        .value_kind:     by_value
      - .address_space:  global
        .offset:         32
        .size:           8
        .value_kind:     global_buffer
      - .offset:         40
        .size:           8
        .value_kind:     by_value
      - .offset:         48
        .size:           8
        .value_kind:     by_value
      - .address_space:  global
        .offset:         56
        .size:           8
        .value_kind:     global_buffer
      - .offset:         64
        .size:           8
        .value_kind:     by_value
      - .offset:         72
        .size:           8
        .value_kind:     by_value
      - .offset:         80
        .size:           8
        .value_kind:     by_value
      - .address_space:  global
        .offset:         88
        .size:           8
        .value_kind:     global_buffer
      - .offset:         96
        .size:           8
        .value_kind:     by_value
      - .offset:         104
        .size:           8
        .value_kind:     by_value
      - .address_space:  global
        .offset:         112
        .size:           8
        .value_kind:     global_buffer
      - .offset:         120
        .size:           8
        .value_kind:     by_value
      - .offset:         128
        .size:           8
        .value_kind:     by_value
      - .offset:         136
        .size:           4
        .value_kind:     by_value
    .group_segment_fixed_size: 4096
    .kernarg_segment_align: 8
    .kernarg_segment_size: 140
    .language:       OpenCL C
    .language_version:
      - 2
      - 0
    .max_flat_workgroup_size: 256
    .name:           _ZN12_GLOBAL__N_127rocblas_gemm_batched_kernelI19rocblas_complex_numIfELi16ELi16ELi32ELi32ELi8ELi32ELi8ELi8ELi32ELc84ELc67EKS2_S3_S2_EEvlllT_PT11_llS6_llS4_PT12_llPT13_lli
    .private_segment_fixed_size: 0
    .sgpr_count:     46
    .sgpr_spill_count: 0
    .symbol:         _ZN12_GLOBAL__N_127rocblas_gemm_batched_kernelI19rocblas_complex_numIfELi16ELi16ELi32ELi32ELi8ELi32ELi8ELi8ELi32ELc84ELc67EKS2_S3_S2_EEvlllT_PT11_llS6_llS4_PT12_llPT13_lli.kd
    .uniform_work_group_size: 1
    .uses_dynamic_stack: false
    .vgpr_count:     116
    .vgpr_spill_count: 0
    .wavefront_size: 32
  - .args:
      - .offset:         0
        .size:           8
        .value_kind:     by_value
      - .offset:         8
        .size:           8
        .value_kind:     by_value
      - .offset:         16
        .size:           8
        .value_kind:     by_value
      - .offset:         24
        .size:           8
        .value_kind:     by_value
      - .address_space:  global
        .offset:         32
        .size:           8
        .value_kind:     global_buffer
      - .offset:         40
        .size:           8
        .value_kind:     by_value
      - .offset:         48
        .size:           8
        .value_kind:     by_value
      - .address_space:  global
        .offset:         56
        .size:           8
        .value_kind:     global_buffer
      - .offset:         64
        .size:           8
        .value_kind:     by_value
      - .offset:         72
        .size:           8
        .value_kind:     by_value
      - .offset:         80
        .size:           8
        .value_kind:     by_value
      - .address_space:  global
        .offset:         88
        .size:           8
        .value_kind:     global_buffer
      - .offset:         96
        .size:           8
        .value_kind:     by_value
      - .offset:         104
        .size:           8
        .value_kind:     by_value
      - .address_space:  global
        .offset:         112
        .size:           8
        .value_kind:     global_buffer
      - .offset:         120
        .size:           8
        .value_kind:     by_value
      - .offset:         128
        .size:           8
        .value_kind:     by_value
      - .offset:         136
        .size:           4
        .value_kind:     by_value
    .group_segment_fixed_size: 4096
    .kernarg_segment_align: 8
    .kernarg_segment_size: 140
    .language:       OpenCL C
    .language_version:
      - 2
      - 0
    .max_flat_workgroup_size: 256
    .name:           _ZN12_GLOBAL__N_135rocblas_gemm_batched_general_kernelI19rocblas_complex_numIfELi16ELi16ELi32ELi32ELi8ELi32ELi8ELi8ELi32ELc78ELc78EKS2_S3_S2_EEvlllT_PT11_llS6_llS4_PT12_llPT13_lli
    .private_segment_fixed_size: 0
    .sgpr_count:     48
    .sgpr_spill_count: 0
    .symbol:         _ZN12_GLOBAL__N_135rocblas_gemm_batched_general_kernelI19rocblas_complex_numIfELi16ELi16ELi32ELi32ELi8ELi32ELi8ELi8ELi32ELc78ELc78EKS2_S3_S2_EEvlllT_PT11_llS6_llS4_PT12_llPT13_lli.kd
    .uniform_work_group_size: 1
    .uses_dynamic_stack: false
    .vgpr_count:     84
    .vgpr_spill_count: 0
    .wavefront_size: 32
  - .args:
      - .offset:         0
        .size:           8
        .value_kind:     by_value
      - .offset:         8
        .size:           8
        .value_kind:     by_value
      - .offset:         16
        .size:           8
        .value_kind:     by_value
      - .offset:         24
        .size:           8
        .value_kind:     by_value
      - .address_space:  global
        .offset:         32
        .size:           8
        .value_kind:     global_buffer
      - .offset:         40
        .size:           8
        .value_kind:     by_value
      - .offset:         48
        .size:           8
        .value_kind:     by_value
      - .address_space:  global
        .offset:         56
        .size:           8
        .value_kind:     global_buffer
      - .offset:         64
        .size:           8
        .value_kind:     by_value
      - .offset:         72
        .size:           8
        .value_kind:     by_value
      - .offset:         80
        .size:           8
        .value_kind:     by_value
      - .address_space:  global
        .offset:         88
        .size:           8
        .value_kind:     global_buffer
      - .offset:         96
        .size:           8
        .value_kind:     by_value
      - .offset:         104
        .size:           8
        .value_kind:     by_value
      - .address_space:  global
        .offset:         112
        .size:           8
        .value_kind:     global_buffer
      - .offset:         120
        .size:           8
        .value_kind:     by_value
      - .offset:         128
        .size:           8
        .value_kind:     by_value
      - .offset:         136
        .size:           4
        .value_kind:     by_value
    .group_segment_fixed_size: 4096
    .kernarg_segment_align: 8
    .kernarg_segment_size: 140
    .language:       OpenCL C
    .language_version:
      - 2
      - 0
    .max_flat_workgroup_size: 256
    .name:           _ZN12_GLOBAL__N_135rocblas_gemm_batched_general_kernelI19rocblas_complex_numIfELi16ELi16ELi32ELi32ELi8ELi32ELi8ELi8ELi32ELc84ELc78EKS2_S3_S2_EEvlllT_PT11_llS6_llS4_PT12_llPT13_lli
    .private_segment_fixed_size: 0
    .sgpr_count:     46
    .sgpr_spill_count: 0
    .symbol:         _ZN12_GLOBAL__N_135rocblas_gemm_batched_general_kernelI19rocblas_complex_numIfELi16ELi16ELi32ELi32ELi8ELi32ELi8ELi8ELi32ELc84ELc78EKS2_S3_S2_EEvlllT_PT11_llS6_llS4_PT12_llPT13_lli.kd
    .uniform_work_group_size: 1
    .uses_dynamic_stack: false
    .vgpr_count:     84
    .vgpr_spill_count: 0
    .wavefront_size: 32
  - .args:
      - .offset:         0
        .size:           8
        .value_kind:     by_value
      - .offset:         8
        .size:           8
        .value_kind:     by_value
      - .offset:         16
        .size:           8
        .value_kind:     by_value
      - .offset:         24
        .size:           8
        .value_kind:     by_value
      - .address_space:  global
        .offset:         32
        .size:           8
        .value_kind:     global_buffer
      - .offset:         40
        .size:           8
        .value_kind:     by_value
      - .offset:         48
        .size:           8
        .value_kind:     by_value
      - .address_space:  global
        .offset:         56
        .size:           8
        .value_kind:     global_buffer
      - .offset:         64
        .size:           8
        .value_kind:     by_value
      - .offset:         72
        .size:           8
        .value_kind:     by_value
      - .offset:         80
        .size:           8
        .value_kind:     by_value
      - .address_space:  global
        .offset:         88
        .size:           8
        .value_kind:     global_buffer
      - .offset:         96
        .size:           8
        .value_kind:     by_value
      - .offset:         104
        .size:           8
        .value_kind:     by_value
      - .address_space:  global
        .offset:         112
        .size:           8
        .value_kind:     global_buffer
      - .offset:         120
        .size:           8
        .value_kind:     by_value
      - .offset:         128
        .size:           8
        .value_kind:     by_value
      - .offset:         136
        .size:           4
        .value_kind:     by_value
    .group_segment_fixed_size: 4096
    .kernarg_segment_align: 8
    .kernarg_segment_size: 140
    .language:       OpenCL C
    .language_version:
      - 2
      - 0
    .max_flat_workgroup_size: 256
    .name:           _ZN12_GLOBAL__N_135rocblas_gemm_batched_general_kernelI19rocblas_complex_numIfELi16ELi16ELi32ELi32ELi8ELi32ELi8ELi8ELi32ELc78ELc84EKS2_S3_S2_EEvlllT_PT11_llS6_llS4_PT12_llPT13_lli
    .private_segment_fixed_size: 0
    .sgpr_count:     52
    .sgpr_spill_count: 0
    .symbol:         _ZN12_GLOBAL__N_135rocblas_gemm_batched_general_kernelI19rocblas_complex_numIfELi16ELi16ELi32ELi32ELi8ELi32ELi8ELi8ELi32ELc78ELc84EKS2_S3_S2_EEvlllT_PT11_llS6_llS4_PT12_llPT13_lli.kd
    .uniform_work_group_size: 1
    .uses_dynamic_stack: false
    .vgpr_count:     84
    .vgpr_spill_count: 0
    .wavefront_size: 32
  - .args:
      - .offset:         0
        .size:           8
        .value_kind:     by_value
      - .offset:         8
        .size:           8
        .value_kind:     by_value
      - .offset:         16
        .size:           8
        .value_kind:     by_value
      - .offset:         24
        .size:           8
        .value_kind:     by_value
      - .address_space:  global
        .offset:         32
        .size:           8
        .value_kind:     global_buffer
      - .offset:         40
        .size:           8
        .value_kind:     by_value
      - .offset:         48
        .size:           8
        .value_kind:     by_value
      - .address_space:  global
        .offset:         56
        .size:           8
        .value_kind:     global_buffer
      - .offset:         64
        .size:           8
        .value_kind:     by_value
      - .offset:         72
        .size:           8
        .value_kind:     by_value
      - .offset:         80
        .size:           8
        .value_kind:     by_value
      - .address_space:  global
        .offset:         88
        .size:           8
        .value_kind:     global_buffer
      - .offset:         96
        .size:           8
        .value_kind:     by_value
      - .offset:         104
        .size:           8
        .value_kind:     by_value
      - .address_space:  global
        .offset:         112
        .size:           8
        .value_kind:     global_buffer
      - .offset:         120
        .size:           8
        .value_kind:     by_value
      - .offset:         128
        .size:           8
        .value_kind:     by_value
      - .offset:         136
        .size:           4
        .value_kind:     by_value
    .group_segment_fixed_size: 4096
    .kernarg_segment_align: 8
    .kernarg_segment_size: 140
    .language:       OpenCL C
    .language_version:
      - 2
      - 0
    .max_flat_workgroup_size: 256
    .name:           _ZN12_GLOBAL__N_135rocblas_gemm_batched_general_kernelI19rocblas_complex_numIfELi16ELi16ELi32ELi32ELi8ELi32ELi8ELi8ELi32ELc84ELc84EKS2_S3_S2_EEvlllT_PT11_llS6_llS4_PT12_llPT13_lli
    .private_segment_fixed_size: 0
    .sgpr_count:     46
    .sgpr_spill_count: 0
    .symbol:         _ZN12_GLOBAL__N_135rocblas_gemm_batched_general_kernelI19rocblas_complex_numIfELi16ELi16ELi32ELi32ELi8ELi32ELi8ELi8ELi32ELc84ELc84EKS2_S3_S2_EEvlllT_PT11_llS6_llS4_PT12_llPT13_lli.kd
    .uniform_work_group_size: 1
    .uses_dynamic_stack: false
    .vgpr_count:     84
    .vgpr_spill_count: 0
    .wavefront_size: 32
  - .args:
      - .offset:         0
        .size:           8
        .value_kind:     by_value
      - .offset:         8
        .size:           8
        .value_kind:     by_value
      - .offset:         16
        .size:           8
        .value_kind:     by_value
      - .offset:         24
        .size:           8
        .value_kind:     by_value
      - .address_space:  global
        .offset:         32
        .size:           8
        .value_kind:     global_buffer
      - .offset:         40
        .size:           8
        .value_kind:     by_value
      - .offset:         48
        .size:           8
        .value_kind:     by_value
      - .address_space:  global
        .offset:         56
        .size:           8
        .value_kind:     global_buffer
      - .offset:         64
        .size:           8
        .value_kind:     by_value
      - .offset:         72
        .size:           8
        .value_kind:     by_value
      - .offset:         80
        .size:           8
        .value_kind:     by_value
      - .address_space:  global
        .offset:         88
        .size:           8
        .value_kind:     global_buffer
      - .offset:         96
        .size:           8
        .value_kind:     by_value
      - .offset:         104
        .size:           8
        .value_kind:     by_value
      - .address_space:  global
        .offset:         112
        .size:           8
        .value_kind:     global_buffer
      - .offset:         120
        .size:           8
        .value_kind:     by_value
      - .offset:         128
        .size:           8
        .value_kind:     by_value
      - .offset:         136
        .size:           4
        .value_kind:     by_value
    .group_segment_fixed_size: 4096
    .kernarg_segment_align: 8
    .kernarg_segment_size: 140
    .language:       OpenCL C
    .language_version:
      - 2
      - 0
    .max_flat_workgroup_size: 256
    .name:           _ZN12_GLOBAL__N_135rocblas_gemm_batched_general_kernelI19rocblas_complex_numIfELi16ELi16ELi32ELi32ELi8ELi32ELi8ELi8ELi32ELc67ELc67EKS2_S3_S2_EEvlllT_PT11_llS6_llS4_PT12_llPT13_lli
    .private_segment_fixed_size: 0
    .sgpr_count:     47
    .sgpr_spill_count: 0
    .symbol:         _ZN12_GLOBAL__N_135rocblas_gemm_batched_general_kernelI19rocblas_complex_numIfELi16ELi16ELi32ELi32ELi8ELi32ELi8ELi8ELi32ELc67ELc67EKS2_S3_S2_EEvlllT_PT11_llS6_llS4_PT12_llPT13_lli.kd
    .uniform_work_group_size: 1
    .uses_dynamic_stack: false
    .vgpr_count:     84
    .vgpr_spill_count: 0
    .wavefront_size: 32
  - .args:
      - .offset:         0
        .size:           8
        .value_kind:     by_value
      - .offset:         8
        .size:           8
        .value_kind:     by_value
      - .offset:         16
        .size:           8
        .value_kind:     by_value
      - .offset:         24
        .size:           8
        .value_kind:     by_value
      - .address_space:  global
        .offset:         32
        .size:           8
        .value_kind:     global_buffer
      - .offset:         40
        .size:           8
        .value_kind:     by_value
      - .offset:         48
        .size:           8
        .value_kind:     by_value
      - .address_space:  global
        .offset:         56
        .size:           8
        .value_kind:     global_buffer
      - .offset:         64
        .size:           8
        .value_kind:     by_value
      - .offset:         72
        .size:           8
        .value_kind:     by_value
      - .offset:         80
        .size:           8
        .value_kind:     by_value
      - .address_space:  global
        .offset:         88
        .size:           8
        .value_kind:     global_buffer
      - .offset:         96
        .size:           8
        .value_kind:     by_value
      - .offset:         104
        .size:           8
        .value_kind:     by_value
      - .address_space:  global
        .offset:         112
        .size:           8
        .value_kind:     global_buffer
      - .offset:         120
        .size:           8
        .value_kind:     by_value
      - .offset:         128
        .size:           8
        .value_kind:     by_value
      - .offset:         136
        .size:           4
        .value_kind:     by_value
    .group_segment_fixed_size: 4096
    .kernarg_segment_align: 8
    .kernarg_segment_size: 140
    .language:       OpenCL C
    .language_version:
      - 2
      - 0
    .max_flat_workgroup_size: 256
    .name:           _ZN12_GLOBAL__N_135rocblas_gemm_batched_general_kernelI19rocblas_complex_numIfELi16ELi16ELi32ELi32ELi8ELi32ELi8ELi8ELi32ELc67ELc78EKS2_S3_S2_EEvlllT_PT11_llS6_llS4_PT12_llPT13_lli
    .private_segment_fixed_size: 0
    .sgpr_count:     46
    .sgpr_spill_count: 0
    .symbol:         _ZN12_GLOBAL__N_135rocblas_gemm_batched_general_kernelI19rocblas_complex_numIfELi16ELi16ELi32ELi32ELi8ELi32ELi8ELi8ELi32ELc67ELc78EKS2_S3_S2_EEvlllT_PT11_llS6_llS4_PT12_llPT13_lli.kd
    .uniform_work_group_size: 1
    .uses_dynamic_stack: false
    .vgpr_count:     84
    .vgpr_spill_count: 0
    .wavefront_size: 32
  - .args:
      - .offset:         0
        .size:           8
        .value_kind:     by_value
      - .offset:         8
        .size:           8
        .value_kind:     by_value
      - .offset:         16
        .size:           8
        .value_kind:     by_value
      - .offset:         24
        .size:           8
        .value_kind:     by_value
      - .address_space:  global
        .offset:         32
        .size:           8
        .value_kind:     global_buffer
      - .offset:         40
        .size:           8
        .value_kind:     by_value
      - .offset:         48
        .size:           8
        .value_kind:     by_value
      - .address_space:  global
        .offset:         56
        .size:           8
        .value_kind:     global_buffer
      - .offset:         64
        .size:           8
        .value_kind:     by_value
      - .offset:         72
        .size:           8
        .value_kind:     by_value
      - .offset:         80
        .size:           8
        .value_kind:     by_value
      - .address_space:  global
        .offset:         88
        .size:           8
        .value_kind:     global_buffer
      - .offset:         96
        .size:           8
        .value_kind:     by_value
      - .offset:         104
        .size:           8
        .value_kind:     by_value
      - .address_space:  global
        .offset:         112
        .size:           8
        .value_kind:     global_buffer
      - .offset:         120
        .size:           8
        .value_kind:     by_value
      - .offset:         128
        .size:           8
        .value_kind:     by_value
      - .offset:         136
        .size:           4
        .value_kind:     by_value
    .group_segment_fixed_size: 4096
    .kernarg_segment_align: 8
    .kernarg_segment_size: 140
    .language:       OpenCL C
    .language_version:
      - 2
      - 0
    .max_flat_workgroup_size: 256
    .name:           _ZN12_GLOBAL__N_135rocblas_gemm_batched_general_kernelI19rocblas_complex_numIfELi16ELi16ELi32ELi32ELi8ELi32ELi8ELi8ELi32ELc67ELc84EKS2_S3_S2_EEvlllT_PT11_llS6_llS4_PT12_llPT13_lli
    .private_segment_fixed_size: 0
    .sgpr_count:     46
    .sgpr_spill_count: 0
    .symbol:         _ZN12_GLOBAL__N_135rocblas_gemm_batched_general_kernelI19rocblas_complex_numIfELi16ELi16ELi32ELi32ELi8ELi32ELi8ELi8ELi32ELc67ELc84EKS2_S3_S2_EEvlllT_PT11_llS6_llS4_PT12_llPT13_lli.kd
    .uniform_work_group_size: 1
    .uses_dynamic_stack: false
    .vgpr_count:     84
    .vgpr_spill_count: 0
    .wavefront_size: 32
  - .args:
      - .offset:         0
        .size:           8
        .value_kind:     by_value
      - .offset:         8
        .size:           8
        .value_kind:     by_value
      - .offset:         16
        .size:           8
        .value_kind:     by_value
      - .offset:         24
        .size:           8
        .value_kind:     by_value
      - .address_space:  global
        .offset:         32
        .size:           8
        .value_kind:     global_buffer
      - .offset:         40
        .size:           8
        .value_kind:     by_value
      - .offset:         48
        .size:           8
        .value_kind:     by_value
      - .address_space:  global
        .offset:         56
        .size:           8
        .value_kind:     global_buffer
      - .offset:         64
        .size:           8
        .value_kind:     by_value
      - .offset:         72
        .size:           8
        .value_kind:     by_value
      - .offset:         80
        .size:           8
        .value_kind:     by_value
      - .address_space:  global
        .offset:         88
        .size:           8
        .value_kind:     global_buffer
      - .offset:         96
        .size:           8
        .value_kind:     by_value
      - .offset:         104
        .size:           8
        .value_kind:     by_value
      - .address_space:  global
        .offset:         112
        .size:           8
        .value_kind:     global_buffer
      - .offset:         120
        .size:           8
        .value_kind:     by_value
      - .offset:         128
        .size:           8
        .value_kind:     by_value
      - .offset:         136
        .size:           4
        .value_kind:     by_value
    .group_segment_fixed_size: 4096
    .kernarg_segment_align: 8
    .kernarg_segment_size: 140
    .language:       OpenCL C
    .language_version:
      - 2
      - 0
    .max_flat_workgroup_size: 256
    .name:           _ZN12_GLOBAL__N_135rocblas_gemm_batched_general_kernelI19rocblas_complex_numIfELi16ELi16ELi32ELi32ELi8ELi32ELi8ELi8ELi32ELc78ELc67EKS2_S3_S2_EEvlllT_PT11_llS6_llS4_PT12_llPT13_lli
    .private_segment_fixed_size: 0
    .sgpr_count:     50
    .sgpr_spill_count: 0
    .symbol:         _ZN12_GLOBAL__N_135rocblas_gemm_batched_general_kernelI19rocblas_complex_numIfELi16ELi16ELi32ELi32ELi8ELi32ELi8ELi8ELi32ELc78ELc67EKS2_S3_S2_EEvlllT_PT11_llS6_llS4_PT12_llPT13_lli.kd
    .uniform_work_group_size: 1
    .uses_dynamic_stack: false
    .vgpr_count:     84
    .vgpr_spill_count: 0
    .wavefront_size: 32
  - .args:
      - .offset:         0
        .size:           8
        .value_kind:     by_value
      - .offset:         8
        .size:           8
        .value_kind:     by_value
      - .offset:         16
        .size:           8
        .value_kind:     by_value
      - .offset:         24
        .size:           8
        .value_kind:     by_value
      - .address_space:  global
        .offset:         32
        .size:           8
        .value_kind:     global_buffer
      - .offset:         40
        .size:           8
        .value_kind:     by_value
      - .offset:         48
        .size:           8
        .value_kind:     by_value
      - .address_space:  global
        .offset:         56
        .size:           8
        .value_kind:     global_buffer
      - .offset:         64
        .size:           8
        .value_kind:     by_value
      - .offset:         72
        .size:           8
        .value_kind:     by_value
      - .offset:         80
        .size:           8
        .value_kind:     by_value
      - .address_space:  global
        .offset:         88
        .size:           8
        .value_kind:     global_buffer
      - .offset:         96
        .size:           8
        .value_kind:     by_value
      - .offset:         104
        .size:           8
        .value_kind:     by_value
      - .address_space:  global
        .offset:         112
        .size:           8
        .value_kind:     global_buffer
      - .offset:         120
        .size:           8
        .value_kind:     by_value
      - .offset:         128
        .size:           8
        .value_kind:     by_value
      - .offset:         136
        .size:           4
        .value_kind:     by_value
    .group_segment_fixed_size: 4096
    .kernarg_segment_align: 8
    .kernarg_segment_size: 140
    .language:       OpenCL C
    .language_version:
      - 2
      - 0
    .max_flat_workgroup_size: 256
    .name:           _ZN12_GLOBAL__N_135rocblas_gemm_batched_general_kernelI19rocblas_complex_numIfELi16ELi16ELi32ELi32ELi8ELi32ELi8ELi8ELi32ELc84ELc67EKS2_S3_S2_EEvlllT_PT11_llS6_llS4_PT12_llPT13_lli
    .private_segment_fixed_size: 0
    .sgpr_count:     47
    .sgpr_spill_count: 0
    .symbol:         _ZN12_GLOBAL__N_135rocblas_gemm_batched_general_kernelI19rocblas_complex_numIfELi16ELi16ELi32ELi32ELi8ELi32ELi8ELi8ELi32ELc84ELc67EKS2_S3_S2_EEvlllT_PT11_llS6_llS4_PT12_llPT13_lli.kd
    .uniform_work_group_size: 1
    .uses_dynamic_stack: false
    .vgpr_count:     84
    .vgpr_spill_count: 0
    .wavefront_size: 32
  - .args:
      - .offset:         0
        .size:           4
        .value_kind:     by_value
      - .offset:         4
        .size:           4
        .value_kind:     by_value
      - .offset:         8
        .size:           16
        .value_kind:     by_value
      - .address_space:  global
        .offset:         24
        .size:           8
        .value_kind:     global_buffer
      - .offset:         32
        .size:           8
        .value_kind:     by_value
      - .offset:         40
        .size:           8
        .value_kind:     by_value
      - .offset:         48
        .size:           8
        .value_kind:     by_value
      - .address_space:  global
        .offset:         56
        .size:           8
        .value_kind:     global_buffer
      - .offset:         64
        .size:           8
        .value_kind:     by_value
      - .offset:         72
        .size:           8
        .value_kind:     by_value
      - .offset:         80
        .size:           8
        .value_kind:     by_value
      - .offset:         88
        .size:           4
        .value_kind:     by_value
    .group_segment_fixed_size: 0
    .kernarg_segment_align: 8
    .kernarg_segment_size: 92
    .language:       OpenCL C
    .language_version:
      - 2
      - 0
    .max_flat_workgroup_size: 1024
    .name:           _ZN12_GLOBAL__N_120gemm_ex_scale_kernelILi32ELi32E19rocblas_complex_numIdEPKS2_PS2_EEviiT1_T2_lllT3_llli
    .private_segment_fixed_size: 0
    .sgpr_count:     33
    .sgpr_spill_count: 0
    .symbol:         _ZN12_GLOBAL__N_120gemm_ex_scale_kernelILi32ELi32E19rocblas_complex_numIdEPKS2_PS2_EEviiT1_T2_lllT3_llli.kd
    .uniform_work_group_size: 1
    .uses_dynamic_stack: false
    .vgpr_count:     12
    .vgpr_spill_count: 0
    .wavefront_size: 32
  - .args:
      - .offset:         0
        .size:           8
        .value_kind:     by_value
      - .offset:         8
        .size:           8
        .value_kind:     by_value
      - .offset:         16
        .size:           8
        .value_kind:     by_value
      - .offset:         24
        .size:           16
        .value_kind:     by_value
      - .address_space:  global
        .offset:         40
        .size:           8
        .value_kind:     global_buffer
      - .offset:         48
        .size:           8
        .value_kind:     by_value
      - .offset:         56
        .size:           8
        .value_kind:     by_value
      - .address_space:  global
        .offset:         64
        .size:           8
        .value_kind:     global_buffer
      - .offset:         72
        .size:           8
        .value_kind:     by_value
      - .offset:         80
        .size:           8
        .value_kind:     by_value
      - .offset:         88
        .size:           16
        .value_kind:     by_value
      - .address_space:  global
        .offset:         104
        .size:           8
        .value_kind:     global_buffer
      - .offset:         112
        .size:           8
        .value_kind:     by_value
      - .offset:         120
        .size:           8
        .value_kind:     by_value
      - .address_space:  global
        .offset:         128
        .size:           8
        .value_kind:     global_buffer
      - .offset:         136
        .size:           8
        .value_kind:     by_value
      - .offset:         144
        .size:           8
        .value_kind:     by_value
      - .offset:         152
        .size:           4
        .value_kind:     by_value
    .group_segment_fixed_size: 8192
    .kernarg_segment_align: 8
    .kernarg_segment_size: 156
    .language:       OpenCL C
    .language_version:
      - 2
      - 0
    .max_flat_workgroup_size: 256
    .name:           _ZN12_GLOBAL__N_127rocblas_gemm_batched_kernelI19rocblas_complex_numIdELi16ELi16ELi64ELi64ELi4ELi64ELi4ELi4ELi64ELc78ELc78EKS2_S3_S2_EEvlllT_PT11_llS6_llS4_PT12_llPT13_lli
    .private_segment_fixed_size: 0
    .sgpr_count:     54
    .sgpr_spill_count: 0
    .symbol:         _ZN12_GLOBAL__N_127rocblas_gemm_batched_kernelI19rocblas_complex_numIdELi16ELi16ELi64ELi64ELi4ELi64ELi4ELi4ELi64ELc78ELc78EKS2_S3_S2_EEvlllT_PT11_llS6_llS4_PT12_llPT13_lli.kd
    .uniform_work_group_size: 1
    .uses_dynamic_stack: false
    .vgpr_count:     144
    .vgpr_spill_count: 0
    .wavefront_size: 32
  - .args:
      - .offset:         0
        .size:           8
        .value_kind:     by_value
      - .offset:         8
        .size:           8
        .value_kind:     by_value
      - .offset:         16
        .size:           8
        .value_kind:     by_value
      - .offset:         24
        .size:           16
        .value_kind:     by_value
      - .address_space:  global
        .offset:         40
        .size:           8
        .value_kind:     global_buffer
      - .offset:         48
        .size:           8
        .value_kind:     by_value
      - .offset:         56
        .size:           8
        .value_kind:     by_value
      - .address_space:  global
        .offset:         64
        .size:           8
        .value_kind:     global_buffer
      - .offset:         72
        .size:           8
        .value_kind:     by_value
      - .offset:         80
        .size:           8
        .value_kind:     by_value
      - .offset:         88
        .size:           16
        .value_kind:     by_value
      - .address_space:  global
        .offset:         104
        .size:           8
        .value_kind:     global_buffer
      - .offset:         112
        .size:           8
        .value_kind:     by_value
      - .offset:         120
        .size:           8
        .value_kind:     by_value
      - .address_space:  global
        .offset:         128
        .size:           8
        .value_kind:     global_buffer
      - .offset:         136
        .size:           8
        .value_kind:     by_value
      - .offset:         144
        .size:           8
        .value_kind:     by_value
      - .offset:         152
        .size:           4
        .value_kind:     by_value
    .group_segment_fixed_size: 8192
    .kernarg_segment_align: 8
    .kernarg_segment_size: 156
    .language:       OpenCL C
    .language_version:
      - 2
      - 0
    .max_flat_workgroup_size: 256
    .name:           _ZN12_GLOBAL__N_127rocblas_gemm_batched_kernelI19rocblas_complex_numIdELi16ELi16ELi64ELi64ELi4ELi64ELi4ELi4ELi64ELc84ELc78EKS2_S3_S2_EEvlllT_PT11_llS6_llS4_PT12_llPT13_lli
    .private_segment_fixed_size: 0
    .sgpr_count:     54
    .sgpr_spill_count: 0
    .symbol:         _ZN12_GLOBAL__N_127rocblas_gemm_batched_kernelI19rocblas_complex_numIdELi16ELi16ELi64ELi64ELi4ELi64ELi4ELi4ELi64ELc84ELc78EKS2_S3_S2_EEvlllT_PT11_llS6_llS4_PT12_llPT13_lli.kd
    .uniform_work_group_size: 1
    .uses_dynamic_stack: false
    .vgpr_count:     144
    .vgpr_spill_count: 0
    .wavefront_size: 32
  - .args:
      - .offset:         0
        .size:           8
        .value_kind:     by_value
      - .offset:         8
        .size:           8
        .value_kind:     by_value
      - .offset:         16
        .size:           8
        .value_kind:     by_value
      - .offset:         24
        .size:           16
        .value_kind:     by_value
      - .address_space:  global
        .offset:         40
        .size:           8
        .value_kind:     global_buffer
      - .offset:         48
        .size:           8
        .value_kind:     by_value
      - .offset:         56
        .size:           8
        .value_kind:     by_value
      - .address_space:  global
        .offset:         64
        .size:           8
        .value_kind:     global_buffer
      - .offset:         72
        .size:           8
        .value_kind:     by_value
      - .offset:         80
        .size:           8
        .value_kind:     by_value
      - .offset:         88
        .size:           16
        .value_kind:     by_value
      - .address_space:  global
        .offset:         104
        .size:           8
        .value_kind:     global_buffer
      - .offset:         112
        .size:           8
        .value_kind:     by_value
      - .offset:         120
        .size:           8
        .value_kind:     by_value
      - .address_space:  global
        .offset:         128
        .size:           8
        .value_kind:     global_buffer
      - .offset:         136
        .size:           8
        .value_kind:     by_value
      - .offset:         144
        .size:           8
        .value_kind:     by_value
      - .offset:         152
        .size:           4
        .value_kind:     by_value
    .group_segment_fixed_size: 8192
    .kernarg_segment_align: 8
    .kernarg_segment_size: 156
    .language:       OpenCL C
    .language_version:
      - 2
      - 0
    .max_flat_workgroup_size: 256
    .name:           _ZN12_GLOBAL__N_127rocblas_gemm_batched_kernelI19rocblas_complex_numIdELi16ELi16ELi64ELi64ELi4ELi64ELi4ELi4ELi64ELc78ELc84EKS2_S3_S2_EEvlllT_PT11_llS6_llS4_PT12_llPT13_lli
    .private_segment_fixed_size: 0
    .sgpr_count:     54
    .sgpr_spill_count: 0
    .symbol:         _ZN12_GLOBAL__N_127rocblas_gemm_batched_kernelI19rocblas_complex_numIdELi16ELi16ELi64ELi64ELi4ELi64ELi4ELi4ELi64ELc78ELc84EKS2_S3_S2_EEvlllT_PT11_llS6_llS4_PT12_llPT13_lli.kd
    .uniform_work_group_size: 1
    .uses_dynamic_stack: false
    .vgpr_count:     144
    .vgpr_spill_count: 0
    .wavefront_size: 32
  - .args:
      - .offset:         0
        .size:           8
        .value_kind:     by_value
      - .offset:         8
        .size:           8
        .value_kind:     by_value
      - .offset:         16
        .size:           8
        .value_kind:     by_value
      - .offset:         24
        .size:           16
        .value_kind:     by_value
      - .address_space:  global
        .offset:         40
        .size:           8
        .value_kind:     global_buffer
      - .offset:         48
        .size:           8
        .value_kind:     by_value
      - .offset:         56
        .size:           8
        .value_kind:     by_value
      - .address_space:  global
        .offset:         64
        .size:           8
        .value_kind:     global_buffer
      - .offset:         72
        .size:           8
        .value_kind:     by_value
      - .offset:         80
        .size:           8
        .value_kind:     by_value
      - .offset:         88
        .size:           16
        .value_kind:     by_value
      - .address_space:  global
        .offset:         104
        .size:           8
        .value_kind:     global_buffer
      - .offset:         112
        .size:           8
        .value_kind:     by_value
      - .offset:         120
        .size:           8
        .value_kind:     by_value
      - .address_space:  global
        .offset:         128
        .size:           8
        .value_kind:     global_buffer
      - .offset:         136
        .size:           8
        .value_kind:     by_value
      - .offset:         144
        .size:           8
        .value_kind:     by_value
      - .offset:         152
        .size:           4
        .value_kind:     by_value
    .group_segment_fixed_size: 8192
    .kernarg_segment_align: 8
    .kernarg_segment_size: 156
    .language:       OpenCL C
    .language_version:
      - 2
      - 0
    .max_flat_workgroup_size: 256
    .name:           _ZN12_GLOBAL__N_127rocblas_gemm_batched_kernelI19rocblas_complex_numIdELi16ELi16ELi64ELi64ELi4ELi64ELi4ELi4ELi64ELc84ELc84EKS2_S3_S2_EEvlllT_PT11_llS6_llS4_PT12_llPT13_lli
    .private_segment_fixed_size: 0
    .sgpr_count:     54
    .sgpr_spill_count: 0
    .symbol:         _ZN12_GLOBAL__N_127rocblas_gemm_batched_kernelI19rocblas_complex_numIdELi16ELi16ELi64ELi64ELi4ELi64ELi4ELi4ELi64ELc84ELc84EKS2_S3_S2_EEvlllT_PT11_llS6_llS4_PT12_llPT13_lli.kd
    .uniform_work_group_size: 1
    .uses_dynamic_stack: false
    .vgpr_count:     144
    .vgpr_spill_count: 0
    .wavefront_size: 32
  - .args:
      - .offset:         0
        .size:           8
        .value_kind:     by_value
      - .offset:         8
        .size:           8
        .value_kind:     by_value
      - .offset:         16
        .size:           8
        .value_kind:     by_value
      - .offset:         24
        .size:           16
        .value_kind:     by_value
      - .address_space:  global
        .offset:         40
        .size:           8
        .value_kind:     global_buffer
      - .offset:         48
        .size:           8
        .value_kind:     by_value
      - .offset:         56
        .size:           8
        .value_kind:     by_value
      - .address_space:  global
        .offset:         64
        .size:           8
        .value_kind:     global_buffer
      - .offset:         72
        .size:           8
        .value_kind:     by_value
      - .offset:         80
        .size:           8
        .value_kind:     by_value
      - .offset:         88
        .size:           16
        .value_kind:     by_value
      - .address_space:  global
        .offset:         104
        .size:           8
        .value_kind:     global_buffer
      - .offset:         112
        .size:           8
        .value_kind:     by_value
      - .offset:         120
        .size:           8
        .value_kind:     by_value
      - .address_space:  global
        .offset:         128
        .size:           8
        .value_kind:     global_buffer
      - .offset:         136
        .size:           8
        .value_kind:     by_value
      - .offset:         144
        .size:           8
        .value_kind:     by_value
      - .offset:         152
        .size:           4
        .value_kind:     by_value
    .group_segment_fixed_size: 8192
    .kernarg_segment_align: 8
    .kernarg_segment_size: 156
    .language:       OpenCL C
    .language_version:
      - 2
      - 0
    .max_flat_workgroup_size: 256
    .name:           _ZN12_GLOBAL__N_127rocblas_gemm_batched_kernelI19rocblas_complex_numIdELi16ELi16ELi64ELi64ELi4ELi64ELi4ELi4ELi64ELc67ELc67EKS2_S3_S2_EEvlllT_PT11_llS6_llS4_PT12_llPT13_lli
    .private_segment_fixed_size: 0
    .sgpr_count:     54
    .sgpr_spill_count: 0
    .symbol:         _ZN12_GLOBAL__N_127rocblas_gemm_batched_kernelI19rocblas_complex_numIdELi16ELi16ELi64ELi64ELi4ELi64ELi4ELi4ELi64ELc67ELc67EKS2_S3_S2_EEvlllT_PT11_llS6_llS4_PT12_llPT13_lli.kd
    .uniform_work_group_size: 1
    .uses_dynamic_stack: false
    .vgpr_count:     144
    .vgpr_spill_count: 0
    .wavefront_size: 32
  - .args:
      - .offset:         0
        .size:           8
        .value_kind:     by_value
      - .offset:         8
        .size:           8
        .value_kind:     by_value
      - .offset:         16
        .size:           8
        .value_kind:     by_value
      - .offset:         24
        .size:           16
        .value_kind:     by_value
      - .address_space:  global
        .offset:         40
        .size:           8
        .value_kind:     global_buffer
      - .offset:         48
        .size:           8
        .value_kind:     by_value
      - .offset:         56
        .size:           8
        .value_kind:     by_value
      - .address_space:  global
        .offset:         64
        .size:           8
        .value_kind:     global_buffer
      - .offset:         72
        .size:           8
        .value_kind:     by_value
      - .offset:         80
        .size:           8
        .value_kind:     by_value
      - .offset:         88
        .size:           16
        .value_kind:     by_value
      - .address_space:  global
        .offset:         104
        .size:           8
        .value_kind:     global_buffer
      - .offset:         112
        .size:           8
        .value_kind:     by_value
      - .offset:         120
        .size:           8
        .value_kind:     by_value
      - .address_space:  global
        .offset:         128
        .size:           8
        .value_kind:     global_buffer
      - .offset:         136
        .size:           8
        .value_kind:     by_value
      - .offset:         144
        .size:           8
        .value_kind:     by_value
      - .offset:         152
        .size:           4
        .value_kind:     by_value
    .group_segment_fixed_size: 8192
    .kernarg_segment_align: 8
    .kernarg_segment_size: 156
    .language:       OpenCL C
    .language_version:
      - 2
      - 0
    .max_flat_workgroup_size: 256
    .name:           _ZN12_GLOBAL__N_127rocblas_gemm_batched_kernelI19rocblas_complex_numIdELi16ELi16ELi64ELi64ELi4ELi64ELi4ELi4ELi64ELc67ELc78EKS2_S3_S2_EEvlllT_PT11_llS6_llS4_PT12_llPT13_lli
    .private_segment_fixed_size: 0
    .sgpr_count:     54
    .sgpr_spill_count: 0
    .symbol:         _ZN12_GLOBAL__N_127rocblas_gemm_batched_kernelI19rocblas_complex_numIdELi16ELi16ELi64ELi64ELi4ELi64ELi4ELi4ELi64ELc67ELc78EKS2_S3_S2_EEvlllT_PT11_llS6_llS4_PT12_llPT13_lli.kd
    .uniform_work_group_size: 1
    .uses_dynamic_stack: false
    .vgpr_count:     144
    .vgpr_spill_count: 0
    .wavefront_size: 32
  - .args:
      - .offset:         0
        .size:           8
        .value_kind:     by_value
      - .offset:         8
        .size:           8
        .value_kind:     by_value
      - .offset:         16
        .size:           8
        .value_kind:     by_value
      - .offset:         24
        .size:           16
        .value_kind:     by_value
      - .address_space:  global
        .offset:         40
        .size:           8
        .value_kind:     global_buffer
      - .offset:         48
        .size:           8
        .value_kind:     by_value
      - .offset:         56
        .size:           8
        .value_kind:     by_value
      - .address_space:  global
        .offset:         64
        .size:           8
        .value_kind:     global_buffer
      - .offset:         72
        .size:           8
        .value_kind:     by_value
      - .offset:         80
        .size:           8
        .value_kind:     by_value
      - .offset:         88
        .size:           16
        .value_kind:     by_value
      - .address_space:  global
        .offset:         104
        .size:           8
        .value_kind:     global_buffer
      - .offset:         112
        .size:           8
        .value_kind:     by_value
      - .offset:         120
        .size:           8
        .value_kind:     by_value
      - .address_space:  global
        .offset:         128
        .size:           8
        .value_kind:     global_buffer
      - .offset:         136
        .size:           8
        .value_kind:     by_value
      - .offset:         144
        .size:           8
        .value_kind:     by_value
      - .offset:         152
        .size:           4
        .value_kind:     by_value
    .group_segment_fixed_size: 8192
    .kernarg_segment_align: 8
    .kernarg_segment_size: 156
    .language:       OpenCL C
    .language_version:
      - 2
      - 0
    .max_flat_workgroup_size: 256
    .name:           _ZN12_GLOBAL__N_127rocblas_gemm_batched_kernelI19rocblas_complex_numIdELi16ELi16ELi64ELi64ELi4ELi64ELi4ELi4ELi64ELc67ELc84EKS2_S3_S2_EEvlllT_PT11_llS6_llS4_PT12_llPT13_lli
    .private_segment_fixed_size: 0
    .sgpr_count:     54
    .sgpr_spill_count: 0
    .symbol:         _ZN12_GLOBAL__N_127rocblas_gemm_batched_kernelI19rocblas_complex_numIdELi16ELi16ELi64ELi64ELi4ELi64ELi4ELi4ELi64ELc67ELc84EKS2_S3_S2_EEvlllT_PT11_llS6_llS4_PT12_llPT13_lli.kd
    .uniform_work_group_size: 1
    .uses_dynamic_stack: false
    .vgpr_count:     144
    .vgpr_spill_count: 0
    .wavefront_size: 32
  - .args:
      - .offset:         0
        .size:           8
        .value_kind:     by_value
      - .offset:         8
        .size:           8
        .value_kind:     by_value
      - .offset:         16
        .size:           8
        .value_kind:     by_value
      - .offset:         24
        .size:           16
        .value_kind:     by_value
      - .address_space:  global
        .offset:         40
        .size:           8
        .value_kind:     global_buffer
      - .offset:         48
        .size:           8
        .value_kind:     by_value
      - .offset:         56
        .size:           8
        .value_kind:     by_value
      - .address_space:  global
        .offset:         64
        .size:           8
        .value_kind:     global_buffer
      - .offset:         72
        .size:           8
        .value_kind:     by_value
      - .offset:         80
        .size:           8
        .value_kind:     by_value
      - .offset:         88
        .size:           16
        .value_kind:     by_value
      - .address_space:  global
        .offset:         104
        .size:           8
        .value_kind:     global_buffer
      - .offset:         112
        .size:           8
        .value_kind:     by_value
      - .offset:         120
        .size:           8
        .value_kind:     by_value
      - .address_space:  global
        .offset:         128
        .size:           8
        .value_kind:     global_buffer
      - .offset:         136
        .size:           8
        .value_kind:     by_value
      - .offset:         144
        .size:           8
        .value_kind:     by_value
      - .offset:         152
        .size:           4
        .value_kind:     by_value
    .group_segment_fixed_size: 8192
    .kernarg_segment_align: 8
    .kernarg_segment_size: 156
    .language:       OpenCL C
    .language_version:
      - 2
      - 0
    .max_flat_workgroup_size: 256
    .name:           _ZN12_GLOBAL__N_127rocblas_gemm_batched_kernelI19rocblas_complex_numIdELi16ELi16ELi64ELi64ELi4ELi64ELi4ELi4ELi64ELc78ELc67EKS2_S3_S2_EEvlllT_PT11_llS6_llS4_PT12_llPT13_lli
    .private_segment_fixed_size: 0
    .sgpr_count:     54
    .sgpr_spill_count: 0
    .symbol:         _ZN12_GLOBAL__N_127rocblas_gemm_batched_kernelI19rocblas_complex_numIdELi16ELi16ELi64ELi64ELi4ELi64ELi4ELi4ELi64ELc78ELc67EKS2_S3_S2_EEvlllT_PT11_llS6_llS4_PT12_llPT13_lli.kd
    .uniform_work_group_size: 1
    .uses_dynamic_stack: false
    .vgpr_count:     144
    .vgpr_spill_count: 0
    .wavefront_size: 32
  - .args:
      - .offset:         0
        .size:           8
        .value_kind:     by_value
      - .offset:         8
        .size:           8
        .value_kind:     by_value
      - .offset:         16
        .size:           8
        .value_kind:     by_value
      - .offset:         24
        .size:           16
        .value_kind:     by_value
      - .address_space:  global
        .offset:         40
        .size:           8
        .value_kind:     global_buffer
      - .offset:         48
        .size:           8
        .value_kind:     by_value
      - .offset:         56
        .size:           8
        .value_kind:     by_value
      - .address_space:  global
        .offset:         64
        .size:           8
        .value_kind:     global_buffer
      - .offset:         72
        .size:           8
        .value_kind:     by_value
      - .offset:         80
        .size:           8
        .value_kind:     by_value
      - .offset:         88
        .size:           16
        .value_kind:     by_value
      - .address_space:  global
        .offset:         104
        .size:           8
        .value_kind:     global_buffer
      - .offset:         112
        .size:           8
        .value_kind:     by_value
      - .offset:         120
        .size:           8
        .value_kind:     by_value
      - .address_space:  global
        .offset:         128
        .size:           8
        .value_kind:     global_buffer
      - .offset:         136
        .size:           8
        .value_kind:     by_value
      - .offset:         144
        .size:           8
        .value_kind:     by_value
      - .offset:         152
        .size:           4
        .value_kind:     by_value
    .group_segment_fixed_size: 8192
    .kernarg_segment_align: 8
    .kernarg_segment_size: 156
    .language:       OpenCL C
    .language_version:
      - 2
      - 0
    .max_flat_workgroup_size: 256
    .name:           _ZN12_GLOBAL__N_127rocblas_gemm_batched_kernelI19rocblas_complex_numIdELi16ELi16ELi64ELi64ELi4ELi64ELi4ELi4ELi64ELc84ELc67EKS2_S3_S2_EEvlllT_PT11_llS6_llS4_PT12_llPT13_lli
    .private_segment_fixed_size: 0
    .sgpr_count:     54
    .sgpr_spill_count: 0
    .symbol:         _ZN12_GLOBAL__N_127rocblas_gemm_batched_kernelI19rocblas_complex_numIdELi16ELi16ELi64ELi64ELi4ELi64ELi4ELi4ELi64ELc84ELc67EKS2_S3_S2_EEvlllT_PT11_llS6_llS4_PT12_llPT13_lli.kd
    .uniform_work_group_size: 1
    .uses_dynamic_stack: false
    .vgpr_count:     144
    .vgpr_spill_count: 0
    .wavefront_size: 32
  - .args:
      - .offset:         0
        .size:           8
        .value_kind:     by_value
      - .offset:         8
        .size:           8
        .value_kind:     by_value
      - .offset:         16
        .size:           8
        .value_kind:     by_value
      - .offset:         24
        .size:           16
        .value_kind:     by_value
      - .address_space:  global
        .offset:         40
        .size:           8
        .value_kind:     global_buffer
      - .offset:         48
        .size:           8
        .value_kind:     by_value
      - .offset:         56
        .size:           8
        .value_kind:     by_value
      - .address_space:  global
        .offset:         64
        .size:           8
        .value_kind:     global_buffer
      - .offset:         72
        .size:           8
        .value_kind:     by_value
      - .offset:         80
        .size:           8
        .value_kind:     by_value
      - .offset:         88
        .size:           16
        .value_kind:     by_value
      - .address_space:  global
        .offset:         104
        .size:           8
        .value_kind:     global_buffer
      - .offset:         112
        .size:           8
        .value_kind:     by_value
      - .offset:         120
        .size:           8
        .value_kind:     by_value
      - .address_space:  global
        .offset:         128
        .size:           8
        .value_kind:     global_buffer
      - .offset:         136
        .size:           8
        .value_kind:     by_value
      - .offset:         144
        .size:           8
        .value_kind:     by_value
      - .offset:         152
        .size:           4
        .value_kind:     by_value
    .group_segment_fixed_size: 8192
    .kernarg_segment_align: 8
    .kernarg_segment_size: 156
    .language:       OpenCL C
    .language_version:
      - 2
      - 0
    .max_flat_workgroup_size: 256
    .name:           _ZN12_GLOBAL__N_127rocblas_gemm_batched_kernelI19rocblas_complex_numIdELi16ELi16ELi32ELi32ELi8ELi32ELi8ELi8ELi32ELc78ELc78EKS2_S3_S2_EEvlllT_PT11_llS6_llS4_PT12_llPT13_lli
    .private_segment_fixed_size: 0
    .sgpr_count:     54
    .sgpr_spill_count: 0
    .symbol:         _ZN12_GLOBAL__N_127rocblas_gemm_batched_kernelI19rocblas_complex_numIdELi16ELi16ELi32ELi32ELi8ELi32ELi8ELi8ELi32ELc78ELc78EKS2_S3_S2_EEvlllT_PT11_llS6_llS4_PT12_llPT13_lli.kd
    .uniform_work_group_size: 1
    .uses_dynamic_stack: false
    .vgpr_count:     166
    .vgpr_spill_count: 0
    .wavefront_size: 32
  - .args:
      - .offset:         0
        .size:           8
        .value_kind:     by_value
      - .offset:         8
        .size:           8
        .value_kind:     by_value
      - .offset:         16
        .size:           8
        .value_kind:     by_value
      - .offset:         24
        .size:           16
        .value_kind:     by_value
      - .address_space:  global
        .offset:         40
        .size:           8
        .value_kind:     global_buffer
      - .offset:         48
        .size:           8
        .value_kind:     by_value
      - .offset:         56
        .size:           8
        .value_kind:     by_value
      - .address_space:  global
        .offset:         64
        .size:           8
        .value_kind:     global_buffer
      - .offset:         72
        .size:           8
        .value_kind:     by_value
      - .offset:         80
        .size:           8
        .value_kind:     by_value
      - .offset:         88
        .size:           16
        .value_kind:     by_value
      - .address_space:  global
        .offset:         104
        .size:           8
        .value_kind:     global_buffer
      - .offset:         112
        .size:           8
        .value_kind:     by_value
      - .offset:         120
        .size:           8
        .value_kind:     by_value
      - .address_space:  global
        .offset:         128
        .size:           8
        .value_kind:     global_buffer
      - .offset:         136
        .size:           8
        .value_kind:     by_value
      - .offset:         144
        .size:           8
        .value_kind:     by_value
      - .offset:         152
        .size:           4
        .value_kind:     by_value
    .group_segment_fixed_size: 8192
    .kernarg_segment_align: 8
    .kernarg_segment_size: 156
    .language:       OpenCL C
    .language_version:
      - 2
      - 0
    .max_flat_workgroup_size: 256
    .name:           _ZN12_GLOBAL__N_127rocblas_gemm_batched_kernelI19rocblas_complex_numIdELi16ELi16ELi32ELi32ELi8ELi32ELi8ELi8ELi32ELc84ELc78EKS2_S3_S2_EEvlllT_PT11_llS6_llS4_PT12_llPT13_lli
    .private_segment_fixed_size: 0
    .sgpr_count:     54
    .sgpr_spill_count: 0
    .symbol:         _ZN12_GLOBAL__N_127rocblas_gemm_batched_kernelI19rocblas_complex_numIdELi16ELi16ELi32ELi32ELi8ELi32ELi8ELi8ELi32ELc84ELc78EKS2_S3_S2_EEvlllT_PT11_llS6_llS4_PT12_llPT13_lli.kd
    .uniform_work_group_size: 1
    .uses_dynamic_stack: false
    .vgpr_count:     166
    .vgpr_spill_count: 0
    .wavefront_size: 32
  - .args:
      - .offset:         0
        .size:           8
        .value_kind:     by_value
      - .offset:         8
        .size:           8
        .value_kind:     by_value
      - .offset:         16
        .size:           8
        .value_kind:     by_value
      - .offset:         24
        .size:           16
        .value_kind:     by_value
      - .address_space:  global
        .offset:         40
        .size:           8
        .value_kind:     global_buffer
      - .offset:         48
        .size:           8
        .value_kind:     by_value
      - .offset:         56
        .size:           8
        .value_kind:     by_value
      - .address_space:  global
        .offset:         64
        .size:           8
        .value_kind:     global_buffer
      - .offset:         72
        .size:           8
        .value_kind:     by_value
      - .offset:         80
        .size:           8
        .value_kind:     by_value
      - .offset:         88
        .size:           16
        .value_kind:     by_value
      - .address_space:  global
        .offset:         104
        .size:           8
        .value_kind:     global_buffer
      - .offset:         112
        .size:           8
        .value_kind:     by_value
      - .offset:         120
        .size:           8
        .value_kind:     by_value
      - .address_space:  global
        .offset:         128
        .size:           8
        .value_kind:     global_buffer
      - .offset:         136
        .size:           8
        .value_kind:     by_value
      - .offset:         144
        .size:           8
        .value_kind:     by_value
      - .offset:         152
        .size:           4
        .value_kind:     by_value
    .group_segment_fixed_size: 8192
    .kernarg_segment_align: 8
    .kernarg_segment_size: 156
    .language:       OpenCL C
    .language_version:
      - 2
      - 0
    .max_flat_workgroup_size: 256
    .name:           _ZN12_GLOBAL__N_127rocblas_gemm_batched_kernelI19rocblas_complex_numIdELi16ELi16ELi32ELi32ELi8ELi32ELi8ELi8ELi32ELc78ELc84EKS2_S3_S2_EEvlllT_PT11_llS6_llS4_PT12_llPT13_lli
    .private_segment_fixed_size: 0
    .sgpr_count:     54
    .sgpr_spill_count: 0
    .symbol:         _ZN12_GLOBAL__N_127rocblas_gemm_batched_kernelI19rocblas_complex_numIdELi16ELi16ELi32ELi32ELi8ELi32ELi8ELi8ELi32ELc78ELc84EKS2_S3_S2_EEvlllT_PT11_llS6_llS4_PT12_llPT13_lli.kd
    .uniform_work_group_size: 1
    .uses_dynamic_stack: false
    .vgpr_count:     166
    .vgpr_spill_count: 0
    .wavefront_size: 32
  - .args:
      - .offset:         0
        .size:           8
        .value_kind:     by_value
      - .offset:         8
        .size:           8
        .value_kind:     by_value
      - .offset:         16
        .size:           8
        .value_kind:     by_value
      - .offset:         24
        .size:           16
        .value_kind:     by_value
      - .address_space:  global
        .offset:         40
        .size:           8
        .value_kind:     global_buffer
      - .offset:         48
        .size:           8
        .value_kind:     by_value
      - .offset:         56
        .size:           8
        .value_kind:     by_value
      - .address_space:  global
        .offset:         64
        .size:           8
        .value_kind:     global_buffer
      - .offset:         72
        .size:           8
        .value_kind:     by_value
      - .offset:         80
        .size:           8
        .value_kind:     by_value
      - .offset:         88
        .size:           16
        .value_kind:     by_value
      - .address_space:  global
        .offset:         104
        .size:           8
        .value_kind:     global_buffer
      - .offset:         112
        .size:           8
        .value_kind:     by_value
      - .offset:         120
        .size:           8
        .value_kind:     by_value
      - .address_space:  global
        .offset:         128
        .size:           8
        .value_kind:     global_buffer
      - .offset:         136
        .size:           8
        .value_kind:     by_value
      - .offset:         144
        .size:           8
        .value_kind:     by_value
      - .offset:         152
        .size:           4
        .value_kind:     by_value
    .group_segment_fixed_size: 8192
    .kernarg_segment_align: 8
    .kernarg_segment_size: 156
    .language:       OpenCL C
    .language_version:
      - 2
      - 0
    .max_flat_workgroup_size: 256
    .name:           _ZN12_GLOBAL__N_127rocblas_gemm_batched_kernelI19rocblas_complex_numIdELi16ELi16ELi32ELi32ELi8ELi32ELi8ELi8ELi32ELc84ELc84EKS2_S3_S2_EEvlllT_PT11_llS6_llS4_PT12_llPT13_lli
    .private_segment_fixed_size: 0
    .sgpr_count:     54
    .sgpr_spill_count: 0
    .symbol:         _ZN12_GLOBAL__N_127rocblas_gemm_batched_kernelI19rocblas_complex_numIdELi16ELi16ELi32ELi32ELi8ELi32ELi8ELi8ELi32ELc84ELc84EKS2_S3_S2_EEvlllT_PT11_llS6_llS4_PT12_llPT13_lli.kd
    .uniform_work_group_size: 1
    .uses_dynamic_stack: false
    .vgpr_count:     166
    .vgpr_spill_count: 0
    .wavefront_size: 32
  - .args:
      - .offset:         0
        .size:           8
        .value_kind:     by_value
      - .offset:         8
        .size:           8
        .value_kind:     by_value
      - .offset:         16
        .size:           8
        .value_kind:     by_value
      - .offset:         24
        .size:           16
        .value_kind:     by_value
      - .address_space:  global
        .offset:         40
        .size:           8
        .value_kind:     global_buffer
      - .offset:         48
        .size:           8
        .value_kind:     by_value
      - .offset:         56
        .size:           8
        .value_kind:     by_value
      - .address_space:  global
        .offset:         64
        .size:           8
        .value_kind:     global_buffer
      - .offset:         72
        .size:           8
        .value_kind:     by_value
      - .offset:         80
        .size:           8
        .value_kind:     by_value
      - .offset:         88
        .size:           16
        .value_kind:     by_value
      - .address_space:  global
        .offset:         104
        .size:           8
        .value_kind:     global_buffer
      - .offset:         112
        .size:           8
        .value_kind:     by_value
      - .offset:         120
        .size:           8
        .value_kind:     by_value
      - .address_space:  global
        .offset:         128
        .size:           8
        .value_kind:     global_buffer
      - .offset:         136
        .size:           8
        .value_kind:     by_value
      - .offset:         144
        .size:           8
        .value_kind:     by_value
      - .offset:         152
        .size:           4
        .value_kind:     by_value
    .group_segment_fixed_size: 8192
    .kernarg_segment_align: 8
    .kernarg_segment_size: 156
    .language:       OpenCL C
    .language_version:
      - 2
      - 0
    .max_flat_workgroup_size: 256
    .name:           _ZN12_GLOBAL__N_127rocblas_gemm_batched_kernelI19rocblas_complex_numIdELi16ELi16ELi32ELi32ELi8ELi32ELi8ELi8ELi32ELc67ELc67EKS2_S3_S2_EEvlllT_PT11_llS6_llS4_PT12_llPT13_lli
    .private_segment_fixed_size: 0
    .sgpr_count:     54
    .sgpr_spill_count: 0
    .symbol:         _ZN12_GLOBAL__N_127rocblas_gemm_batched_kernelI19rocblas_complex_numIdELi16ELi16ELi32ELi32ELi8ELi32ELi8ELi8ELi32ELc67ELc67EKS2_S3_S2_EEvlllT_PT11_llS6_llS4_PT12_llPT13_lli.kd
    .uniform_work_group_size: 1
    .uses_dynamic_stack: false
    .vgpr_count:     166
    .vgpr_spill_count: 0
    .wavefront_size: 32
  - .args:
      - .offset:         0
        .size:           8
        .value_kind:     by_value
      - .offset:         8
        .size:           8
        .value_kind:     by_value
      - .offset:         16
        .size:           8
        .value_kind:     by_value
      - .offset:         24
        .size:           16
        .value_kind:     by_value
      - .address_space:  global
        .offset:         40
        .size:           8
        .value_kind:     global_buffer
      - .offset:         48
        .size:           8
        .value_kind:     by_value
      - .offset:         56
        .size:           8
        .value_kind:     by_value
      - .address_space:  global
        .offset:         64
        .size:           8
        .value_kind:     global_buffer
      - .offset:         72
        .size:           8
        .value_kind:     by_value
      - .offset:         80
        .size:           8
        .value_kind:     by_value
      - .offset:         88
        .size:           16
        .value_kind:     by_value
      - .address_space:  global
        .offset:         104
        .size:           8
        .value_kind:     global_buffer
      - .offset:         112
        .size:           8
        .value_kind:     by_value
      - .offset:         120
        .size:           8
        .value_kind:     by_value
      - .address_space:  global
        .offset:         128
        .size:           8
        .value_kind:     global_buffer
      - .offset:         136
        .size:           8
        .value_kind:     by_value
      - .offset:         144
        .size:           8
        .value_kind:     by_value
      - .offset:         152
        .size:           4
        .value_kind:     by_value
    .group_segment_fixed_size: 8192
    .kernarg_segment_align: 8
    .kernarg_segment_size: 156
    .language:       OpenCL C
    .language_version:
      - 2
      - 0
    .max_flat_workgroup_size: 256
    .name:           _ZN12_GLOBAL__N_127rocblas_gemm_batched_kernelI19rocblas_complex_numIdELi16ELi16ELi32ELi32ELi8ELi32ELi8ELi8ELi32ELc67ELc78EKS2_S3_S2_EEvlllT_PT11_llS6_llS4_PT12_llPT13_lli
    .private_segment_fixed_size: 0
    .sgpr_count:     54
    .sgpr_spill_count: 0
    .symbol:         _ZN12_GLOBAL__N_127rocblas_gemm_batched_kernelI19rocblas_complex_numIdELi16ELi16ELi32ELi32ELi8ELi32ELi8ELi8ELi32ELc67ELc78EKS2_S3_S2_EEvlllT_PT11_llS6_llS4_PT12_llPT13_lli.kd
    .uniform_work_group_size: 1
    .uses_dynamic_stack: false
    .vgpr_count:     166
    .vgpr_spill_count: 0
    .wavefront_size: 32
  - .args:
      - .offset:         0
        .size:           8
        .value_kind:     by_value
      - .offset:         8
        .size:           8
        .value_kind:     by_value
      - .offset:         16
        .size:           8
        .value_kind:     by_value
      - .offset:         24
        .size:           16
        .value_kind:     by_value
      - .address_space:  global
        .offset:         40
        .size:           8
        .value_kind:     global_buffer
      - .offset:         48
        .size:           8
        .value_kind:     by_value
      - .offset:         56
        .size:           8
        .value_kind:     by_value
      - .address_space:  global
        .offset:         64
        .size:           8
        .value_kind:     global_buffer
      - .offset:         72
        .size:           8
        .value_kind:     by_value
      - .offset:         80
        .size:           8
        .value_kind:     by_value
      - .offset:         88
        .size:           16
        .value_kind:     by_value
      - .address_space:  global
        .offset:         104
        .size:           8
        .value_kind:     global_buffer
      - .offset:         112
        .size:           8
        .value_kind:     by_value
      - .offset:         120
        .size:           8
        .value_kind:     by_value
      - .address_space:  global
        .offset:         128
        .size:           8
        .value_kind:     global_buffer
      - .offset:         136
        .size:           8
        .value_kind:     by_value
      - .offset:         144
        .size:           8
        .value_kind:     by_value
      - .offset:         152
        .size:           4
        .value_kind:     by_value
    .group_segment_fixed_size: 8192
    .kernarg_segment_align: 8
    .kernarg_segment_size: 156
    .language:       OpenCL C
    .language_version:
      - 2
      - 0
    .max_flat_workgroup_size: 256
    .name:           _ZN12_GLOBAL__N_127rocblas_gemm_batched_kernelI19rocblas_complex_numIdELi16ELi16ELi32ELi32ELi8ELi32ELi8ELi8ELi32ELc67ELc84EKS2_S3_S2_EEvlllT_PT11_llS6_llS4_PT12_llPT13_lli
    .private_segment_fixed_size: 0
    .sgpr_count:     54
    .sgpr_spill_count: 0
    .symbol:         _ZN12_GLOBAL__N_127rocblas_gemm_batched_kernelI19rocblas_complex_numIdELi16ELi16ELi32ELi32ELi8ELi32ELi8ELi8ELi32ELc67ELc84EKS2_S3_S2_EEvlllT_PT11_llS6_llS4_PT12_llPT13_lli.kd
    .uniform_work_group_size: 1
    .uses_dynamic_stack: false
    .vgpr_count:     166
    .vgpr_spill_count: 0
    .wavefront_size: 32
  - .args:
      - .offset:         0
        .size:           8
        .value_kind:     by_value
      - .offset:         8
        .size:           8
        .value_kind:     by_value
      - .offset:         16
        .size:           8
        .value_kind:     by_value
      - .offset:         24
        .size:           16
        .value_kind:     by_value
      - .address_space:  global
        .offset:         40
        .size:           8
        .value_kind:     global_buffer
      - .offset:         48
        .size:           8
        .value_kind:     by_value
      - .offset:         56
        .size:           8
        .value_kind:     by_value
      - .address_space:  global
        .offset:         64
        .size:           8
        .value_kind:     global_buffer
      - .offset:         72
        .size:           8
        .value_kind:     by_value
      - .offset:         80
        .size:           8
        .value_kind:     by_value
      - .offset:         88
        .size:           16
        .value_kind:     by_value
      - .address_space:  global
        .offset:         104
        .size:           8
        .value_kind:     global_buffer
      - .offset:         112
        .size:           8
        .value_kind:     by_value
      - .offset:         120
        .size:           8
        .value_kind:     by_value
      - .address_space:  global
        .offset:         128
        .size:           8
        .value_kind:     global_buffer
      - .offset:         136
        .size:           8
        .value_kind:     by_value
      - .offset:         144
        .size:           8
        .value_kind:     by_value
      - .offset:         152
        .size:           4
        .value_kind:     by_value
    .group_segment_fixed_size: 8192
    .kernarg_segment_align: 8
    .kernarg_segment_size: 156
    .language:       OpenCL C
    .language_version:
      - 2
      - 0
    .max_flat_workgroup_size: 256
    .name:           _ZN12_GLOBAL__N_127rocblas_gemm_batched_kernelI19rocblas_complex_numIdELi16ELi16ELi32ELi32ELi8ELi32ELi8ELi8ELi32ELc78ELc67EKS2_S3_S2_EEvlllT_PT11_llS6_llS4_PT12_llPT13_lli
    .private_segment_fixed_size: 0
    .sgpr_count:     54
    .sgpr_spill_count: 0
    .symbol:         _ZN12_GLOBAL__N_127rocblas_gemm_batched_kernelI19rocblas_complex_numIdELi16ELi16ELi32ELi32ELi8ELi32ELi8ELi8ELi32ELc78ELc67EKS2_S3_S2_EEvlllT_PT11_llS6_llS4_PT12_llPT13_lli.kd
    .uniform_work_group_size: 1
    .uses_dynamic_stack: false
    .vgpr_count:     166
    .vgpr_spill_count: 0
    .wavefront_size: 32
  - .args:
      - .offset:         0
        .size:           8
        .value_kind:     by_value
      - .offset:         8
        .size:           8
        .value_kind:     by_value
      - .offset:         16
        .size:           8
        .value_kind:     by_value
      - .offset:         24
        .size:           16
        .value_kind:     by_value
      - .address_space:  global
        .offset:         40
        .size:           8
        .value_kind:     global_buffer
      - .offset:         48
        .size:           8
        .value_kind:     by_value
      - .offset:         56
        .size:           8
        .value_kind:     by_value
      - .address_space:  global
        .offset:         64
        .size:           8
        .value_kind:     global_buffer
      - .offset:         72
        .size:           8
        .value_kind:     by_value
      - .offset:         80
        .size:           8
        .value_kind:     by_value
      - .offset:         88
        .size:           16
        .value_kind:     by_value
      - .address_space:  global
        .offset:         104
        .size:           8
        .value_kind:     global_buffer
      - .offset:         112
        .size:           8
        .value_kind:     by_value
      - .offset:         120
        .size:           8
        .value_kind:     by_value
      - .address_space:  global
        .offset:         128
        .size:           8
        .value_kind:     global_buffer
      - .offset:         136
        .size:           8
        .value_kind:     by_value
      - .offset:         144
        .size:           8
        .value_kind:     by_value
      - .offset:         152
        .size:           4
        .value_kind:     by_value
    .group_segment_fixed_size: 8192
    .kernarg_segment_align: 8
    .kernarg_segment_size: 156
    .language:       OpenCL C
    .language_version:
      - 2
      - 0
    .max_flat_workgroup_size: 256
    .name:           _ZN12_GLOBAL__N_127rocblas_gemm_batched_kernelI19rocblas_complex_numIdELi16ELi16ELi32ELi32ELi8ELi32ELi8ELi8ELi32ELc84ELc67EKS2_S3_S2_EEvlllT_PT11_llS6_llS4_PT12_llPT13_lli
    .private_segment_fixed_size: 0
    .sgpr_count:     54
    .sgpr_spill_count: 0
    .symbol:         _ZN12_GLOBAL__N_127rocblas_gemm_batched_kernelI19rocblas_complex_numIdELi16ELi16ELi32ELi32ELi8ELi32ELi8ELi8ELi32ELc84ELc67EKS2_S3_S2_EEvlllT_PT11_llS6_llS4_PT12_llPT13_lli.kd
    .uniform_work_group_size: 1
    .uses_dynamic_stack: false
    .vgpr_count:     166
    .vgpr_spill_count: 0
    .wavefront_size: 32
  - .args:
      - .offset:         0
        .size:           8
        .value_kind:     by_value
      - .offset:         8
        .size:           8
        .value_kind:     by_value
      - .offset:         16
        .size:           8
        .value_kind:     by_value
      - .offset:         24
        .size:           16
        .value_kind:     by_value
      - .address_space:  global
        .offset:         40
        .size:           8
        .value_kind:     global_buffer
      - .offset:         48
        .size:           8
        .value_kind:     by_value
      - .offset:         56
        .size:           8
        .value_kind:     by_value
      - .address_space:  global
        .offset:         64
        .size:           8
        .value_kind:     global_buffer
      - .offset:         72
        .size:           8
        .value_kind:     by_value
      - .offset:         80
        .size:           8
        .value_kind:     by_value
      - .offset:         88
        .size:           16
        .value_kind:     by_value
      - .address_space:  global
        .offset:         104
        .size:           8
        .value_kind:     global_buffer
      - .offset:         112
        .size:           8
        .value_kind:     by_value
      - .offset:         120
        .size:           8
        .value_kind:     by_value
      - .address_space:  global
        .offset:         128
        .size:           8
        .value_kind:     global_buffer
      - .offset:         136
        .size:           8
        .value_kind:     by_value
      - .offset:         144
        .size:           8
        .value_kind:     by_value
      - .offset:         152
        .size:           4
        .value_kind:     by_value
    .group_segment_fixed_size: 8192
    .kernarg_segment_align: 8
    .kernarg_segment_size: 156
    .language:       OpenCL C
    .language_version:
      - 2
      - 0
    .max_flat_workgroup_size: 256
    .name:           _ZN12_GLOBAL__N_135rocblas_gemm_batched_general_kernelI19rocblas_complex_numIdELi16ELi16ELi32ELi32ELi8ELi32ELi8ELi8ELi32ELc78ELc78EKS2_S3_S2_EEvlllT_PT11_llS6_llS4_PT12_llPT13_lli
    .private_segment_fixed_size: 0
    .sgpr_count:     54
    .sgpr_spill_count: 0
    .symbol:         _ZN12_GLOBAL__N_135rocblas_gemm_batched_general_kernelI19rocblas_complex_numIdELi16ELi16ELi32ELi32ELi8ELi32ELi8ELi8ELi32ELc78ELc78EKS2_S3_S2_EEvlllT_PT11_llS6_llS4_PT12_llPT13_lli.kd
    .uniform_work_group_size: 1
    .uses_dynamic_stack: false
    .vgpr_count:     66
    .vgpr_spill_count: 0
    .wavefront_size: 32
  - .args:
      - .offset:         0
        .size:           8
        .value_kind:     by_value
      - .offset:         8
        .size:           8
        .value_kind:     by_value
      - .offset:         16
        .size:           8
        .value_kind:     by_value
      - .offset:         24
        .size:           16
        .value_kind:     by_value
      - .address_space:  global
        .offset:         40
        .size:           8
        .value_kind:     global_buffer
      - .offset:         48
        .size:           8
        .value_kind:     by_value
      - .offset:         56
        .size:           8
        .value_kind:     by_value
      - .address_space:  global
        .offset:         64
        .size:           8
        .value_kind:     global_buffer
      - .offset:         72
        .size:           8
        .value_kind:     by_value
      - .offset:         80
        .size:           8
        .value_kind:     by_value
      - .offset:         88
        .size:           16
        .value_kind:     by_value
      - .address_space:  global
        .offset:         104
        .size:           8
        .value_kind:     global_buffer
      - .offset:         112
        .size:           8
        .value_kind:     by_value
      - .offset:         120
        .size:           8
        .value_kind:     by_value
      - .address_space:  global
        .offset:         128
        .size:           8
        .value_kind:     global_buffer
      - .offset:         136
        .size:           8
        .value_kind:     by_value
      - .offset:         144
        .size:           8
        .value_kind:     by_value
      - .offset:         152
        .size:           4
        .value_kind:     by_value
    .group_segment_fixed_size: 8192
    .kernarg_segment_align: 8
    .kernarg_segment_size: 156
    .language:       OpenCL C
    .language_version:
      - 2
      - 0
    .max_flat_workgroup_size: 256
    .name:           _ZN12_GLOBAL__N_135rocblas_gemm_batched_general_kernelI19rocblas_complex_numIdELi16ELi16ELi32ELi32ELi8ELi32ELi8ELi8ELi32ELc84ELc78EKS2_S3_S2_EEvlllT_PT11_llS6_llS4_PT12_llPT13_lli
    .private_segment_fixed_size: 0
    .sgpr_count:     54
    .sgpr_spill_count: 0
    .symbol:         _ZN12_GLOBAL__N_135rocblas_gemm_batched_general_kernelI19rocblas_complex_numIdELi16ELi16ELi32ELi32ELi8ELi32ELi8ELi8ELi32ELc84ELc78EKS2_S3_S2_EEvlllT_PT11_llS6_llS4_PT12_llPT13_lli.kd
    .uniform_work_group_size: 1
    .uses_dynamic_stack: false
    .vgpr_count:     66
    .vgpr_spill_count: 0
    .wavefront_size: 32
  - .args:
      - .offset:         0
        .size:           8
        .value_kind:     by_value
      - .offset:         8
        .size:           8
        .value_kind:     by_value
      - .offset:         16
        .size:           8
        .value_kind:     by_value
      - .offset:         24
        .size:           16
        .value_kind:     by_value
      - .address_space:  global
        .offset:         40
        .size:           8
        .value_kind:     global_buffer
      - .offset:         48
        .size:           8
        .value_kind:     by_value
      - .offset:         56
        .size:           8
        .value_kind:     by_value
      - .address_space:  global
        .offset:         64
        .size:           8
        .value_kind:     global_buffer
      - .offset:         72
        .size:           8
        .value_kind:     by_value
      - .offset:         80
        .size:           8
        .value_kind:     by_value
      - .offset:         88
        .size:           16
        .value_kind:     by_value
      - .address_space:  global
        .offset:         104
        .size:           8
        .value_kind:     global_buffer
      - .offset:         112
        .size:           8
        .value_kind:     by_value
      - .offset:         120
        .size:           8
        .value_kind:     by_value
      - .address_space:  global
        .offset:         128
        .size:           8
        .value_kind:     global_buffer
      - .offset:         136
        .size:           8
        .value_kind:     by_value
      - .offset:         144
        .size:           8
        .value_kind:     by_value
      - .offset:         152
        .size:           4
        .value_kind:     by_value
    .group_segment_fixed_size: 8192
    .kernarg_segment_align: 8
    .kernarg_segment_size: 156
    .language:       OpenCL C
    .language_version:
      - 2
      - 0
    .max_flat_workgroup_size: 256
    .name:           _ZN12_GLOBAL__N_135rocblas_gemm_batched_general_kernelI19rocblas_complex_numIdELi16ELi16ELi32ELi32ELi8ELi32ELi8ELi8ELi32ELc78ELc84EKS2_S3_S2_EEvlllT_PT11_llS6_llS4_PT12_llPT13_lli
    .private_segment_fixed_size: 0
    .sgpr_count:     55
    .sgpr_spill_count: 0
    .symbol:         _ZN12_GLOBAL__N_135rocblas_gemm_batched_general_kernelI19rocblas_complex_numIdELi16ELi16ELi32ELi32ELi8ELi32ELi8ELi8ELi32ELc78ELc84EKS2_S3_S2_EEvlllT_PT11_llS6_llS4_PT12_llPT13_lli.kd
    .uniform_work_group_size: 1
    .uses_dynamic_stack: false
    .vgpr_count:     66
    .vgpr_spill_count: 0
    .wavefront_size: 32
  - .args:
      - .offset:         0
        .size:           8
        .value_kind:     by_value
      - .offset:         8
        .size:           8
        .value_kind:     by_value
      - .offset:         16
        .size:           8
        .value_kind:     by_value
      - .offset:         24
        .size:           16
        .value_kind:     by_value
      - .address_space:  global
        .offset:         40
        .size:           8
        .value_kind:     global_buffer
      - .offset:         48
        .size:           8
        .value_kind:     by_value
      - .offset:         56
        .size:           8
        .value_kind:     by_value
      - .address_space:  global
        .offset:         64
        .size:           8
        .value_kind:     global_buffer
      - .offset:         72
        .size:           8
        .value_kind:     by_value
      - .offset:         80
        .size:           8
        .value_kind:     by_value
      - .offset:         88
        .size:           16
        .value_kind:     by_value
      - .address_space:  global
        .offset:         104
        .size:           8
        .value_kind:     global_buffer
      - .offset:         112
        .size:           8
        .value_kind:     by_value
      - .offset:         120
        .size:           8
        .value_kind:     by_value
      - .address_space:  global
        .offset:         128
        .size:           8
        .value_kind:     global_buffer
      - .offset:         136
        .size:           8
        .value_kind:     by_value
      - .offset:         144
        .size:           8
        .value_kind:     by_value
      - .offset:         152
        .size:           4
        .value_kind:     by_value
    .group_segment_fixed_size: 8192
    .kernarg_segment_align: 8
    .kernarg_segment_size: 156
    .language:       OpenCL C
    .language_version:
      - 2
      - 0
    .max_flat_workgroup_size: 256
    .name:           _ZN12_GLOBAL__N_135rocblas_gemm_batched_general_kernelI19rocblas_complex_numIdELi16ELi16ELi32ELi32ELi8ELi32ELi8ELi8ELi32ELc84ELc84EKS2_S3_S2_EEvlllT_PT11_llS6_llS4_PT12_llPT13_lli
    .private_segment_fixed_size: 0
    .sgpr_count:     54
    .sgpr_spill_count: 0
    .symbol:         _ZN12_GLOBAL__N_135rocblas_gemm_batched_general_kernelI19rocblas_complex_numIdELi16ELi16ELi32ELi32ELi8ELi32ELi8ELi8ELi32ELc84ELc84EKS2_S3_S2_EEvlllT_PT11_llS6_llS4_PT12_llPT13_lli.kd
    .uniform_work_group_size: 1
    .uses_dynamic_stack: false
    .vgpr_count:     66
    .vgpr_spill_count: 0
    .wavefront_size: 32
  - .args:
      - .offset:         0
        .size:           8
        .value_kind:     by_value
      - .offset:         8
        .size:           8
        .value_kind:     by_value
      - .offset:         16
        .size:           8
        .value_kind:     by_value
      - .offset:         24
        .size:           16
        .value_kind:     by_value
      - .address_space:  global
        .offset:         40
        .size:           8
        .value_kind:     global_buffer
      - .offset:         48
        .size:           8
        .value_kind:     by_value
      - .offset:         56
        .size:           8
        .value_kind:     by_value
      - .address_space:  global
        .offset:         64
        .size:           8
        .value_kind:     global_buffer
      - .offset:         72
        .size:           8
        .value_kind:     by_value
      - .offset:         80
        .size:           8
        .value_kind:     by_value
      - .offset:         88
        .size:           16
        .value_kind:     by_value
      - .address_space:  global
        .offset:         104
        .size:           8
        .value_kind:     global_buffer
      - .offset:         112
        .size:           8
        .value_kind:     by_value
      - .offset:         120
        .size:           8
        .value_kind:     by_value
      - .address_space:  global
        .offset:         128
        .size:           8
        .value_kind:     global_buffer
      - .offset:         136
        .size:           8
        .value_kind:     by_value
      - .offset:         144
        .size:           8
        .value_kind:     by_value
      - .offset:         152
        .size:           4
        .value_kind:     by_value
    .group_segment_fixed_size: 8192
    .kernarg_segment_align: 8
    .kernarg_segment_size: 156
    .language:       OpenCL C
    .language_version:
      - 2
      - 0
    .max_flat_workgroup_size: 256
    .name:           _ZN12_GLOBAL__N_135rocblas_gemm_batched_general_kernelI19rocblas_complex_numIdELi16ELi16ELi32ELi32ELi8ELi32ELi8ELi8ELi32ELc67ELc67EKS2_S3_S2_EEvlllT_PT11_llS6_llS4_PT12_llPT13_lli
    .private_segment_fixed_size: 0
    .sgpr_count:     54
    .sgpr_spill_count: 0
    .symbol:         _ZN12_GLOBAL__N_135rocblas_gemm_batched_general_kernelI19rocblas_complex_numIdELi16ELi16ELi32ELi32ELi8ELi32ELi8ELi8ELi32ELc67ELc67EKS2_S3_S2_EEvlllT_PT11_llS6_llS4_PT12_llPT13_lli.kd
    .uniform_work_group_size: 1
    .uses_dynamic_stack: false
    .vgpr_count:     130
    .vgpr_spill_count: 0
    .wavefront_size: 32
  - .args:
      - .offset:         0
        .size:           8
        .value_kind:     by_value
      - .offset:         8
        .size:           8
        .value_kind:     by_value
      - .offset:         16
        .size:           8
        .value_kind:     by_value
      - .offset:         24
        .size:           16
        .value_kind:     by_value
      - .address_space:  global
        .offset:         40
        .size:           8
        .value_kind:     global_buffer
      - .offset:         48
        .size:           8
        .value_kind:     by_value
      - .offset:         56
        .size:           8
        .value_kind:     by_value
      - .address_space:  global
        .offset:         64
        .size:           8
        .value_kind:     global_buffer
      - .offset:         72
        .size:           8
        .value_kind:     by_value
      - .offset:         80
        .size:           8
        .value_kind:     by_value
      - .offset:         88
        .size:           16
        .value_kind:     by_value
      - .address_space:  global
        .offset:         104
        .size:           8
        .value_kind:     global_buffer
      - .offset:         112
        .size:           8
        .value_kind:     by_value
      - .offset:         120
        .size:           8
        .value_kind:     by_value
      - .address_space:  global
        .offset:         128
        .size:           8
        .value_kind:     global_buffer
      - .offset:         136
        .size:           8
        .value_kind:     by_value
      - .offset:         144
        .size:           8
        .value_kind:     by_value
      - .offset:         152
        .size:           4
        .value_kind:     by_value
    .group_segment_fixed_size: 8192
    .kernarg_segment_align: 8
    .kernarg_segment_size: 156
    .language:       OpenCL C
    .language_version:
      - 2
      - 0
    .max_flat_workgroup_size: 256
    .name:           _ZN12_GLOBAL__N_135rocblas_gemm_batched_general_kernelI19rocblas_complex_numIdELi16ELi16ELi32ELi32ELi8ELi32ELi8ELi8ELi32ELc67ELc78EKS2_S3_S2_EEvlllT_PT11_llS6_llS4_PT12_llPT13_lli
    .private_segment_fixed_size: 0
    .sgpr_count:     54
    .sgpr_spill_count: 0
    .symbol:         _ZN12_GLOBAL__N_135rocblas_gemm_batched_general_kernelI19rocblas_complex_numIdELi16ELi16ELi32ELi32ELi8ELi32ELi8ELi8ELi32ELc67ELc78EKS2_S3_S2_EEvlllT_PT11_llS6_llS4_PT12_llPT13_lli.kd
    .uniform_work_group_size: 1
    .uses_dynamic_stack: false
    .vgpr_count:     132
    .vgpr_spill_count: 0
    .wavefront_size: 32
  - .args:
      - .offset:         0
        .size:           8
        .value_kind:     by_value
      - .offset:         8
        .size:           8
        .value_kind:     by_value
      - .offset:         16
        .size:           8
        .value_kind:     by_value
      - .offset:         24
        .size:           16
        .value_kind:     by_value
      - .address_space:  global
        .offset:         40
        .size:           8
        .value_kind:     global_buffer
      - .offset:         48
        .size:           8
        .value_kind:     by_value
      - .offset:         56
        .size:           8
        .value_kind:     by_value
      - .address_space:  global
        .offset:         64
        .size:           8
        .value_kind:     global_buffer
      - .offset:         72
        .size:           8
        .value_kind:     by_value
      - .offset:         80
        .size:           8
        .value_kind:     by_value
      - .offset:         88
        .size:           16
        .value_kind:     by_value
      - .address_space:  global
        .offset:         104
        .size:           8
        .value_kind:     global_buffer
      - .offset:         112
        .size:           8
        .value_kind:     by_value
      - .offset:         120
        .size:           8
        .value_kind:     by_value
      - .address_space:  global
        .offset:         128
        .size:           8
        .value_kind:     global_buffer
      - .offset:         136
        .size:           8
        .value_kind:     by_value
      - .offset:         144
        .size:           8
        .value_kind:     by_value
      - .offset:         152
        .size:           4
        .value_kind:     by_value
    .group_segment_fixed_size: 8192
    .kernarg_segment_align: 8
    .kernarg_segment_size: 156
    .language:       OpenCL C
    .language_version:
      - 2
      - 0
    .max_flat_workgroup_size: 256
    .name:           _ZN12_GLOBAL__N_135rocblas_gemm_batched_general_kernelI19rocblas_complex_numIdELi16ELi16ELi32ELi32ELi8ELi32ELi8ELi8ELi32ELc67ELc84EKS2_S3_S2_EEvlllT_PT11_llS6_llS4_PT12_llPT13_lli
    .private_segment_fixed_size: 0
    .sgpr_count:     54
    .sgpr_spill_count: 0
    .symbol:         _ZN12_GLOBAL__N_135rocblas_gemm_batched_general_kernelI19rocblas_complex_numIdELi16ELi16ELi32ELi32ELi8ELi32ELi8ELi8ELi32ELc67ELc84EKS2_S3_S2_EEvlllT_PT11_llS6_llS4_PT12_llPT13_lli.kd
    .uniform_work_group_size: 1
    .uses_dynamic_stack: false
    .vgpr_count:     132
    .vgpr_spill_count: 0
    .wavefront_size: 32
  - .args:
      - .offset:         0
        .size:           8
        .value_kind:     by_value
      - .offset:         8
        .size:           8
        .value_kind:     by_value
      - .offset:         16
        .size:           8
        .value_kind:     by_value
      - .offset:         24
        .size:           16
        .value_kind:     by_value
      - .address_space:  global
        .offset:         40
        .size:           8
        .value_kind:     global_buffer
      - .offset:         48
        .size:           8
        .value_kind:     by_value
      - .offset:         56
        .size:           8
        .value_kind:     by_value
      - .address_space:  global
        .offset:         64
        .size:           8
        .value_kind:     global_buffer
      - .offset:         72
        .size:           8
        .value_kind:     by_value
      - .offset:         80
        .size:           8
        .value_kind:     by_value
      - .offset:         88
        .size:           16
        .value_kind:     by_value
      - .address_space:  global
        .offset:         104
        .size:           8
        .value_kind:     global_buffer
      - .offset:         112
        .size:           8
        .value_kind:     by_value
      - .offset:         120
        .size:           8
        .value_kind:     by_value
      - .address_space:  global
        .offset:         128
        .size:           8
        .value_kind:     global_buffer
      - .offset:         136
        .size:           8
        .value_kind:     by_value
      - .offset:         144
        .size:           8
        .value_kind:     by_value
      - .offset:         152
        .size:           4
        .value_kind:     by_value
    .group_segment_fixed_size: 8192
    .kernarg_segment_align: 8
    .kernarg_segment_size: 156
    .language:       OpenCL C
    .language_version:
      - 2
      - 0
    .max_flat_workgroup_size: 256
    .name:           _ZN12_GLOBAL__N_135rocblas_gemm_batched_general_kernelI19rocblas_complex_numIdELi16ELi16ELi32ELi32ELi8ELi32ELi8ELi8ELi32ELc78ELc67EKS2_S3_S2_EEvlllT_PT11_llS6_llS4_PT12_llPT13_lli
    .private_segment_fixed_size: 0
    .sgpr_count:     54
    .sgpr_spill_count: 0
    .symbol:         _ZN12_GLOBAL__N_135rocblas_gemm_batched_general_kernelI19rocblas_complex_numIdELi16ELi16ELi32ELi32ELi8ELi32ELi8ELi8ELi32ELc78ELc67EKS2_S3_S2_EEvlllT_PT11_llS6_llS4_PT12_llPT13_lli.kd
    .uniform_work_group_size: 1
    .uses_dynamic_stack: false
    .vgpr_count:     132
    .vgpr_spill_count: 0
    .wavefront_size: 32
  - .args:
      - .offset:         0
        .size:           8
        .value_kind:     by_value
      - .offset:         8
        .size:           8
        .value_kind:     by_value
      - .offset:         16
        .size:           8
        .value_kind:     by_value
      - .offset:         24
        .size:           16
        .value_kind:     by_value
      - .address_space:  global
        .offset:         40
        .size:           8
        .value_kind:     global_buffer
      - .offset:         48
        .size:           8
        .value_kind:     by_value
      - .offset:         56
        .size:           8
        .value_kind:     by_value
      - .address_space:  global
        .offset:         64
        .size:           8
        .value_kind:     global_buffer
      - .offset:         72
        .size:           8
        .value_kind:     by_value
      - .offset:         80
        .size:           8
        .value_kind:     by_value
      - .offset:         88
        .size:           16
        .value_kind:     by_value
      - .address_space:  global
        .offset:         104
        .size:           8
        .value_kind:     global_buffer
      - .offset:         112
        .size:           8
        .value_kind:     by_value
      - .offset:         120
        .size:           8
        .value_kind:     by_value
      - .address_space:  global
        .offset:         128
        .size:           8
        .value_kind:     global_buffer
      - .offset:         136
        .size:           8
        .value_kind:     by_value
      - .offset:         144
        .size:           8
        .value_kind:     by_value
      - .offset:         152
        .size:           4
        .value_kind:     by_value
    .group_segment_fixed_size: 8192
    .kernarg_segment_align: 8
    .kernarg_segment_size: 156
    .language:       OpenCL C
    .language_version:
      - 2
      - 0
    .max_flat_workgroup_size: 256
    .name:           _ZN12_GLOBAL__N_135rocblas_gemm_batched_general_kernelI19rocblas_complex_numIdELi16ELi16ELi32ELi32ELi8ELi32ELi8ELi8ELi32ELc84ELc67EKS2_S3_S2_EEvlllT_PT11_llS6_llS4_PT12_llPT13_lli
    .private_segment_fixed_size: 0
    .sgpr_count:     54
    .sgpr_spill_count: 0
    .symbol:         _ZN12_GLOBAL__N_135rocblas_gemm_batched_general_kernelI19rocblas_complex_numIdELi16ELi16ELi32ELi32ELi8ELi32ELi8ELi8ELi32ELc84ELc67EKS2_S3_S2_EEvlllT_PT11_llS6_llS4_PT12_llPT13_lli.kd
    .uniform_work_group_size: 1
    .uses_dynamic_stack: false
    .vgpr_count:     132
    .vgpr_spill_count: 0
    .wavefront_size: 32
amdhsa.target:   amdgcn-amd-amdhsa--gfx1250
amdhsa.version:
  - 1
  - 2
...

	.end_amdgpu_metadata
